;; amdgpu-corpus repo=pytorch/pytorch kind=compiled arch=gfx1250 opt=O3
	.amdgcn_target "amdgcn-amd-amdhsa--gfx1250"
	.amdhsa_code_object_version 6
	.section	.text._ZN2at4cuda17kernelHistogram1DIfhlLi1ELi2ELin1ELNS0_23CUDAHistogramMemoryTypeE0EZNS0_21CUDA_tensor_histogramIfhLb1EEEbNS_6TensorES4_S4_lNS_14AccumulateTypeIT0_Lb1EE4typeES8_NS0_13TensorArgTypeES9_S9_EUllE_EEvNS0_6detail10TensorInfoIT_T1_EESF_NSC_IKS6_SE_EElS8_S8_SE_T6_,"axG",@progbits,_ZN2at4cuda17kernelHistogram1DIfhlLi1ELi2ELin1ELNS0_23CUDAHistogramMemoryTypeE0EZNS0_21CUDA_tensor_histogramIfhLb1EEEbNS_6TensorES4_S4_lNS_14AccumulateTypeIT0_Lb1EE4typeES8_NS0_13TensorArgTypeES9_S9_EUllE_EEvNS0_6detail10TensorInfoIT_T1_EESF_NSC_IKS6_SE_EElS8_S8_SE_T6_,comdat
	.protected	_ZN2at4cuda17kernelHistogram1DIfhlLi1ELi2ELin1ELNS0_23CUDAHistogramMemoryTypeE0EZNS0_21CUDA_tensor_histogramIfhLb1EEEbNS_6TensorES4_S4_lNS_14AccumulateTypeIT0_Lb1EE4typeES8_NS0_13TensorArgTypeES9_S9_EUllE_EEvNS0_6detail10TensorInfoIT_T1_EESF_NSC_IKS6_SE_EElS8_S8_SE_T6_ ; -- Begin function _ZN2at4cuda17kernelHistogram1DIfhlLi1ELi2ELin1ELNS0_23CUDAHistogramMemoryTypeE0EZNS0_21CUDA_tensor_histogramIfhLb1EEEbNS_6TensorES4_S4_lNS_14AccumulateTypeIT0_Lb1EE4typeES8_NS0_13TensorArgTypeES9_S9_EUllE_EEvNS0_6detail10TensorInfoIT_T1_EESF_NSC_IKS6_SE_EElS8_S8_SE_T6_
	.globl	_ZN2at4cuda17kernelHistogram1DIfhlLi1ELi2ELin1ELNS0_23CUDAHistogramMemoryTypeE0EZNS0_21CUDA_tensor_histogramIfhLb1EEEbNS_6TensorES4_S4_lNS_14AccumulateTypeIT0_Lb1EE4typeES8_NS0_13TensorArgTypeES9_S9_EUllE_EEvNS0_6detail10TensorInfoIT_T1_EESF_NSC_IKS6_SE_EElS8_S8_SE_T6_
	.p2align	8
	.type	_ZN2at4cuda17kernelHistogram1DIfhlLi1ELi2ELin1ELNS0_23CUDAHistogramMemoryTypeE0EZNS0_21CUDA_tensor_histogramIfhLb1EEEbNS_6TensorES4_S4_lNS_14AccumulateTypeIT0_Lb1EE4typeES8_NS0_13TensorArgTypeES9_S9_EUllE_EEvNS0_6detail10TensorInfoIT_T1_EESF_NSC_IKS6_SE_EElS8_S8_SE_T6_,@function
_ZN2at4cuda17kernelHistogram1DIfhlLi1ELi2ELin1ELNS0_23CUDAHistogramMemoryTypeE0EZNS0_21CUDA_tensor_histogramIfhLb1EEEbNS_6TensorES4_S4_lNS_14AccumulateTypeIT0_Lb1EE4typeES8_NS0_13TensorArgTypeES9_S9_EUllE_EEvNS0_6detail10TensorInfoIT_T1_EESF_NSC_IKS6_SE_EElS8_S8_SE_T6_: ; @_ZN2at4cuda17kernelHistogram1DIfhlLi1ELi2ELin1ELNS0_23CUDAHistogramMemoryTypeE0EZNS0_21CUDA_tensor_histogramIfhLb1EEEbNS_6TensorES4_S4_lNS_14AccumulateTypeIT0_Lb1EE4typeES8_NS0_13TensorArgTypeES9_S9_EUllE_EEvNS0_6detail10TensorInfoIT_T1_EESF_NSC_IKS6_SE_EElS8_S8_SE_T6_
; %bb.0:
	s_clause 0x2
	s_load_b128 s[12:15], s[0:1], 0x0
	s_load_b64 s[16:17], s[0:1], 0x500
	s_load_b256 s[4:11], s[0:1], 0x4e0
	v_mov_b32_e32 v1, 0
	s_add_nc_u64 s[26:27], s[0:1], 0x6a0
	s_mov_b32 s3, exec_lo
                                        ; implicit-def: $sgpr18
	s_wait_kmcnt 0x0
	s_delay_alu instid0(VALU_DEP_1)
	v_cmp_gt_i64_e64 s2, s[14:15], v[0:1]
	v_cmpx_le_i64_e64 s[14:15], v[0:1]
	s_xor_b32 s3, exec_lo, s3
; %bb.1:
	s_load_b32 s18, s[26:27], 0xc
; %bb.2:
	s_or_saveexec_b32 s3, s3
	s_wait_kmcnt 0x0
	v_mov_b32_e32 v4, s18
	s_xor_b32 exec_lo, exec_lo, s3
	s_cbranch_execz .LBB0_12
; %bb.3:
	v_dual_mov_b32 v5, 0 :: v_dual_add_nc_u32 v4, 1, v0
	s_load_b32 s20, s[26:27], 0xc
	s_mov_b32 s22, -1
	s_delay_alu instid0(VALU_DEP_1) | instskip(SKIP_2) | instid1(SALU_CYCLE_1)
	v_max_i64 v[2:3], s[14:15], v[4:5]
	s_wait_kmcnt 0x0
	s_and_b32 s18, s20, 0xffff
	s_cmp_eq_u32 s18, 1
	s_cselect_b32 s19, -1, 0
	s_delay_alu instid0(VALU_DEP_1) | instskip(SKIP_1) | instid1(VALU_DEP_2)
	v_sub_nc_u64_e32 v[6:7], v[2:3], v[0:1]
	v_mov_b64_e32 v[2:3], v[0:1]
	v_cmp_lt_u64_e32 vcc_lo, 1, v[6:7]
	s_and_b32 s21, vcc_lo, s19
	s_delay_alu instid0(SALU_CYCLE_1)
	s_and_saveexec_b32 s19, s21
	s_cbranch_execz .LBB0_7
; %bb.4:
	v_dual_mov_b32 v3, v7 :: v_dual_bitop2_b32 v2, -2, v6 bitop3:0x40
	v_lshl_add_u32 v4, v0, 2, 0
	s_mov_b32 s21, 0
	s_delay_alu instid0(VALU_DEP_2)
	v_mov_b64_e32 v[8:9], v[2:3]
.LBB0_5:                                ; =>This Inner Loop Header: Depth=1
	s_delay_alu instid0(VALU_DEP_1) | instskip(SKIP_4) | instid1(SALU_CYCLE_1)
	v_add_nc_u64_e32 v[8:9], -2, v[8:9]
	ds_store_2addr_b32 v4, v5, v5 offset1:1
	v_add_nc_u32_e32 v4, 8, v4
	v_cmp_eq_u64_e32 vcc_lo, 0, v[8:9]
	s_or_b32 s21, vcc_lo, s21
	s_and_not1_b32 exec_lo, exec_lo, s21
	s_cbranch_execnz .LBB0_5
; %bb.6:
	s_or_b32 exec_lo, exec_lo, s21
	v_cmp_ne_u64_e32 vcc_lo, v[6:7], v[2:3]
	v_add_nc_u64_e32 v[2:3], v[2:3], v[0:1]
	s_or_not1_b32 s22, vcc_lo, exec_lo
.LBB0_7:
	s_or_b32 exec_lo, exec_lo, s19
	v_mov_b32_e32 v4, 1
	s_and_saveexec_b32 s21, s22
	s_cbranch_execz .LBB0_11
; %bb.8:
	s_delay_alu instid0(VALU_DEP_2)
	v_lshl_add_u32 v4, v2, 2, 0
	v_mov_b32_e32 v5, 0
	s_mov_b32 s19, 0
	s_lshl_b32 s23, s18, 2
	s_mov_b32 s22, s19
.LBB0_9:                                ; =>This Inner Loop Header: Depth=1
	v_add_nc_u64_e32 v[2:3], s[18:19], v[2:3]
	ds_store_b32 v4, v5
	v_add_nc_u32_e32 v4, s23, v4
	v_cmp_le_i64_e32 vcc_lo, s[14:15], v[2:3]
	s_or_b32 s22, vcc_lo, s22
	s_delay_alu instid0(SALU_CYCLE_1)
	s_and_not1_b32 exec_lo, exec_lo, s22
	s_cbranch_execnz .LBB0_9
; %bb.10:
	s_or_b32 exec_lo, exec_lo, s22
	v_mov_b32_e32 v4, s20
.LBB0_11:
	s_or_b32 exec_lo, exec_lo, s21
.LBB0_12:
	s_delay_alu instid0(SALU_CYCLE_1)
	s_or_b32 exec_lo, exec_lo, s3
	s_bfe_u32 s3, ttmp6, 0x4000c
	s_and_b32 s18, ttmp6, 15
	s_add_co_i32 s3, s3, 1
	s_getreg_b32 s19, hwreg(HW_REG_IB_STS2, 6, 4)
	s_mul_i32 s3, ttmp9, s3
	v_and_b32_e32 v2, 0xffff, v4
	s_add_co_i32 s18, s18, s3
	s_cmp_eq_u32 s19, 0
	v_mov_b32_e32 v6, 0
	s_cselect_b32 s3, ttmp9, s18
	s_mov_b32 s19, 0
	v_mad_u32 v4, s3, v2, v0
	s_mov_b32 s33, exec_lo
	v_mov_b32_e32 v5, v6
	s_wait_dscnt 0x0
	s_barrier_signal -1
	s_barrier_wait -1
	s_delay_alu instid0(VALU_DEP_1)
	v_cmpx_gt_i64_e64 s[10:11], v[4:5]
	s_cbranch_execz .LBB0_28
; %bb.13:
	s_load_b32 s3, s[0:1], 0x4d8
	s_load_b32 s18, s[26:27], 0x0
	s_clause 0x2
	s_load_b64 s[20:21], s[0:1], 0x5d0
	s_load_b64 s[22:23], s[0:1], 0x410
	;; [unrolled: 1-line block ×3, first 2 shown]
	s_add_nc_u64 s[30:31], s[0:1], 0x340
	v_mov_b32_e32 v9, v6
	s_wait_xcnt 0x0
	s_sub_nc_u64 s[26:27], s[8:9], s[6:7]
	s_mov_b64 s[28:29], 0xffffffff
	s_mov_b32 s46, 0
	s_wait_kmcnt 0x0
	s_cmp_gt_i32 s3, 1
	v_mul_lo_u32 v8, s18, v2
	s_cselect_b32 s44, -1, 0
	s_add_co_i32 s18, s3, -1
	s_add_co_i32 s45, s3, 1
	s_lshl_b64 s[34:35], s[18:19], 3
	s_delay_alu instid0(SALU_CYCLE_1)
	s_add_nc_u64 s[30:31], s[30:31], s[34:35]
	s_ashr_i32 s34, s27, 31
	s_add_nc_u64 s[30:31], s[30:31], 8
	s_branch .LBB0_16
.LBB0_14:                               ;   in Loop: Header=BB0_16 Depth=1
	s_or_b32 exec_lo, exec_lo, s3
	v_mul_u64_e32 v[10:11], s[20:21], v[4:5]
	s_delay_alu instid0(VALU_DEP_2) | instskip(NEXT) | instid1(VALU_DEP_1)
	v_ashrrev_i32_e32 v13, 31, v12
	v_cmp_eq_u64_e32 vcc_lo, s[4:5], v[12:13]
	v_subrev_co_ci_u32_e64 v7, null, 0, v12, vcc_lo
	s_delay_alu instid0(VALU_DEP_1)
	v_lshl_add_u32 v7, v7, 2, 0
	v_lshl_add_u64 v[10:11], v[10:11], 2, s[16:17]
	global_load_b32 v3, v[10:11], off
	s_wait_loadcnt 0x0
	ds_add_f32 v7, v3
.LBB0_15:                               ;   in Loop: Header=BB0_16 Depth=1
	s_wait_xcnt 0x0
	s_or_b32 exec_lo, exec_lo, s38
	v_add_nc_u64_e32 v[4:5], v[4:5], v[8:9]
	s_delay_alu instid0(VALU_DEP_1) | instskip(SKIP_1) | instid1(SALU_CYCLE_1)
	v_cmp_le_i64_e32 vcc_lo, s[10:11], v[4:5]
	s_or_b32 s46, vcc_lo, s46
	s_and_not1_b32 exec_lo, exec_lo, s46
	s_cbranch_execz .LBB0_28
.LBB0_16:                               ; =>This Loop Header: Depth=1
                                        ;     Child Loop BB0_17 Depth 2
	v_mov_b64_e32 v[10:11], 0
	v_mov_b64_e32 v[12:13], v[4:5]
	;; [unrolled: 1-line block ×3, first 2 shown]
	s_and_not1_b32 vcc_lo, exec_lo, s44
	s_mov_b64 s[36:37], s[30:31]
	s_mov_b32 s35, s45
	s_cbranch_vccnz .LBB0_23
.LBB0_17:                               ;   Parent Loop BB0_16 Depth=1
                                        ; =>  This Inner Loop Header: Depth=2
	s_load_b64 s[38:39], s[36:37], 0x0
                                        ; implicit-def: $vgpr14_vgpr15
	s_mov_b32 s3, exec_lo
	s_wait_kmcnt 0x0
	s_delay_alu instid0(VALU_DEP_1) | instskip(NEXT) | instid1(VALU_DEP_1)
	v_or_b32_e32 v7, s39, v13
	v_cmpx_ne_u64_e32 0, v[6:7]
	s_xor_b32 s47, exec_lo, s3
	s_cbranch_execz .LBB0_19
; %bb.18:                               ;   in Loop: Header=BB0_17 Depth=2
	s_ashr_i32 s40, s39, 31
	v_dual_mov_b32 v19, v6 :: v_dual_ashrrev_i32 v14, 31, v13
	s_mov_b32 s41, s40
	v_mov_b32_e32 v27, v6
	s_add_nc_u64 s[42:43], s[38:39], s[40:41]
	s_delay_alu instid0(VALU_DEP_2) | instskip(SKIP_1) | instid1(SALU_CYCLE_1)
	v_mov_b32_e32 v15, v14
	s_xor_b64 s[42:43], s[42:43], s[40:41]
	s_cvt_f32_u32 s3, s42
	s_cvt_f32_u32 s18, s43
	s_sub_nc_u64 s[50:51], 0, s[42:43]
	v_add_nc_u64_e32 v[16:17], v[12:13], v[14:15]
	v_mov_b32_e32 v23, v6
	s_fmamk_f32 s3, s18, 0x4f800000, s3
	s_delay_alu instid0(SALU_CYCLE_3) | instskip(NEXT) | instid1(VALU_DEP_2)
	v_s_rcp_f32 s3, s3
	v_xor_b32_e32 v18, v16, v14
	s_delay_alu instid0(VALU_DEP_3) | instskip(SKIP_1) | instid1(TRANS32_DEP_1)
	v_xor_b32_e32 v22, v17, v14
	v_xor_b32_e32 v14, s40, v14
	s_mul_f32 s3, s3, 0x5f7ffffc
	s_delay_alu instid0(SALU_CYCLE_3) | instskip(NEXT) | instid1(SALU_CYCLE_3)
	s_mul_f32 s18, s3, 0x2f800000
	s_trunc_f32 s18, s18
	s_delay_alu instid0(SALU_CYCLE_3) | instskip(SKIP_1) | instid1(SALU_CYCLE_2)
	s_fmamk_f32 s3, s18, 0xcf800000, s3
	s_cvt_u32_f32 s49, s18
	s_cvt_u32_f32 s48, s3
	s_delay_alu instid0(SALU_CYCLE_3) | instskip(NEXT) | instid1(SALU_CYCLE_1)
	s_mul_u64 s[52:53], s[50:51], s[48:49]
	s_mul_hi_u32 s55, s48, s53
	s_mul_i32 s54, s48, s53
	s_mul_hi_u32 s18, s48, s52
	s_mul_i32 s41, s49, s52
	s_add_nc_u64 s[54:55], s[18:19], s[54:55]
	s_mul_hi_u32 s3, s49, s52
	s_mul_hi_u32 s56, s49, s53
	s_add_co_u32 s18, s54, s41
	s_add_co_ci_u32 s18, s55, s3
	s_mul_i32 s52, s49, s53
	s_add_co_ci_u32 s53, s56, 0
	s_delay_alu instid0(SALU_CYCLE_1) | instskip(NEXT) | instid1(SALU_CYCLE_1)
	s_add_nc_u64 s[52:53], s[18:19], s[52:53]
	s_add_co_u32 s48, s48, s52
	s_cselect_b32 s3, -1, 0
	s_delay_alu instid0(SALU_CYCLE_1) | instskip(SKIP_1) | instid1(SALU_CYCLE_1)
	s_cmp_lg_u32 s3, 0
	s_add_co_ci_u32 s49, s49, s53
	s_mul_u64 s[50:51], s[50:51], s[48:49]
	s_delay_alu instid0(SALU_CYCLE_1)
	s_mul_hi_u32 s53, s48, s51
	s_mul_i32 s52, s48, s51
	s_mul_hi_u32 s18, s48, s50
	s_mul_i32 s41, s49, s50
	s_add_nc_u64 s[52:53], s[18:19], s[52:53]
	s_mul_hi_u32 s3, s49, s50
	s_mul_hi_u32 s54, s49, s51
	s_add_co_u32 s18, s52, s41
	s_add_co_ci_u32 s18, s53, s3
	s_mul_i32 s50, s49, s51
	s_add_co_ci_u32 s51, s54, 0
	s_delay_alu instid0(SALU_CYCLE_1) | instskip(NEXT) | instid1(SALU_CYCLE_1)
	s_add_nc_u64 s[50:51], s[18:19], s[50:51]
	s_add_co_u32 s48, s48, s50
	s_cselect_b32 s3, -1, 0
	v_mul_hi_u32 v26, v18, s48
	s_cmp_lg_u32 s3, 0
	s_add_co_ci_u32 s18, s49, s51
	s_and_b64 s[50:51], s[48:49], s[28:29]
	v_mul_u64_e32 v[20:21], s[18:19], v[18:19]
	v_mul_u64_e32 v[16:17], s[50:51], v[22:23]
	;; [unrolled: 1-line block ×3, first 2 shown]
	s_delay_alu instid0(VALU_DEP_3) | instskip(NEXT) | instid1(VALU_DEP_1)
	v_add_nc_u64_e32 v[20:21], v[26:27], v[20:21]
	v_add_co_u32 v3, vcc_lo, v20, v16
	s_delay_alu instid0(VALU_DEP_2) | instskip(NEXT) | instid1(VALU_DEP_4)
	v_add_co_ci_u32_e32 v26, vcc_lo, v21, v17, vcc_lo
	v_add_co_ci_u32_e32 v25, vcc_lo, 0, v25, vcc_lo
	s_delay_alu instid0(VALU_DEP_1) | instskip(NEXT) | instid1(VALU_DEP_1)
	v_add_nc_u64_e32 v[16:17], v[26:27], v[24:25]
	v_mul_u64_e32 v[20:21], s[42:43], v[16:17]
	s_delay_alu instid0(VALU_DEP_1) | instskip(NEXT) | instid1(VALU_DEP_2)
	v_sub_nc_u32_e32 v3, v22, v21
	v_sub_co_u32 v7, vcc_lo, v18, v20
	s_delay_alu instid0(VALU_DEP_1) | instskip(NEXT) | instid1(VALU_DEP_3)
	v_sub_co_ci_u32_e64 v22, null, v22, v21, vcc_lo
	v_subrev_co_ci_u32_e64 v3, null, s43, v3, vcc_lo
	s_delay_alu instid0(VALU_DEP_3) | instskip(SKIP_1) | instid1(VALU_DEP_3)
	v_sub_co_u32 v15, s3, v7, s42
	v_add_nc_u64_e32 v[20:21], 1, v[16:17]
	v_subrev_co_ci_u32_e64 v3, null, 0, v3, s3
	s_delay_alu instid0(VALU_DEP_3) | instskip(SKIP_1) | instid1(VALU_DEP_3)
	v_cmp_le_u32_e32 vcc_lo, s42, v15
	v_cndmask_b32_e64 v15, 0, -1, vcc_lo
	v_cmp_le_u32_e32 vcc_lo, s43, v3
	v_cndmask_b32_e64 v18, 0, -1, vcc_lo
	;; [unrolled: 2-line block ×4, first 2 shown]
	v_cmp_eq_u32_e32 vcc_lo, s43, v3
	v_cndmask_b32_e32 v3, v18, v15, vcc_lo
	v_cmp_eq_u32_e32 vcc_lo, s43, v22
	v_add_nc_u64_e32 v[18:19], 2, v[16:17]
	v_dual_mov_b32 v15, v14 :: v_dual_cndmask_b32 v7, v23, v7, vcc_lo
	s_delay_alu instid0(VALU_DEP_4) | instskip(NEXT) | instid1(VALU_DEP_2)
	v_cmp_ne_u32_e32 vcc_lo, 0, v3
	v_cmp_ne_u32_e64 s3, 0, v7
	s_delay_alu instid0(VALU_DEP_4) | instskip(NEXT) | instid1(VALU_DEP_1)
	v_dual_cndmask_b32 v3, v21, v19, vcc_lo :: v_dual_cndmask_b32 v7, v20, v18, vcc_lo
	v_cndmask_b32_e64 v7, v16, v7, s3
	s_delay_alu instid0(VALU_DEP_1) | instskip(NEXT) | instid1(VALU_DEP_1)
	v_dual_cndmask_b32 v3, v17, v3, s3 :: v_dual_bitop2_b32 v16, v7, v14 bitop3:0x14
	v_xor_b32_e32 v17, v3, v14
	s_delay_alu instid0(VALU_DEP_1)
	v_sub_nc_u64_e32 v[14:15], v[16:17], v[14:15]
.LBB0_19:                               ;   in Loop: Header=BB0_17 Depth=2
	s_and_not1_saveexec_b32 s3, s47
	s_cbranch_execz .LBB0_21
; %bb.20:                               ;   in Loop: Header=BB0_17 Depth=2
	v_cvt_f32_u32_e32 v3, s38
	s_sub_co_i32 s18, 0, s38
	s_delay_alu instid0(VALU_DEP_1) | instskip(SKIP_1) | instid1(TRANS32_DEP_1)
	v_rcp_iflag_f32_e32 v3, v3
	v_nop
	v_mul_f32_e32 v3, 0x4f7ffffe, v3
	s_delay_alu instid0(VALU_DEP_1) | instskip(NEXT) | instid1(VALU_DEP_1)
	v_cvt_u32_f32_e32 v3, v3
	v_mul_lo_u32 v7, s18, v3
	s_delay_alu instid0(VALU_DEP_1) | instskip(NEXT) | instid1(VALU_DEP_1)
	v_mul_hi_u32 v7, v3, v7
	v_add_nc_u32_e32 v3, v3, v7
	s_delay_alu instid0(VALU_DEP_1) | instskip(NEXT) | instid1(VALU_DEP_1)
	v_mul_hi_u32 v3, v12, v3
	v_mul_lo_u32 v7, v3, s38
	v_add_nc_u32_e32 v14, 1, v3
	s_delay_alu instid0(VALU_DEP_2) | instskip(NEXT) | instid1(VALU_DEP_1)
	v_sub_nc_u32_e32 v7, v12, v7
	v_subrev_nc_u32_e32 v15, s38, v7
	v_cmp_le_u32_e32 vcc_lo, s38, v7
	s_delay_alu instid0(VALU_DEP_2) | instskip(SKIP_1) | instid1(VALU_DEP_2)
	v_dual_cndmask_b32 v7, v7, v15, vcc_lo :: v_dual_mov_b32 v15, v6
	v_cndmask_b32_e32 v3, v3, v14, vcc_lo
	v_cmp_le_u32_e32 vcc_lo, s38, v7
	s_delay_alu instid0(VALU_DEP_2) | instskip(NEXT) | instid1(VALU_DEP_1)
	v_add_nc_u32_e32 v14, 1, v3
	v_cndmask_b32_e32 v14, v3, v14, vcc_lo
.LBB0_21:                               ;   in Loop: Header=BB0_17 Depth=2
	s_or_b32 exec_lo, exec_lo, s3
	s_delay_alu instid0(VALU_DEP_1)
	v_mul_u64_e32 v[16:17], s[38:39], v[14:15]
	s_load_b64 s[38:39], s[36:37], 0xc8
	s_add_co_i32 s35, s35, -1
	s_wait_xcnt 0x0
	s_add_nc_u64 s[36:37], s[36:37], -8
	s_cmp_gt_u32 s35, 2
	s_delay_alu instid0(VALU_DEP_1) | instskip(SKIP_1) | instid1(VALU_DEP_1)
	v_sub_nc_u64_e32 v[12:13], v[12:13], v[16:17]
	s_wait_kmcnt 0x0
	v_mad_nc_u64_u32 v[10:11], s38, v12, v[10:11]
	s_delay_alu instid0(VALU_DEP_1) | instskip(NEXT) | instid1(VALU_DEP_1)
	v_mad_u32 v3, s39, v12, v11
	v_mad_u32 v11, s38, v13, v3
	s_cbranch_scc0 .LBB0_23
; %bb.22:                               ;   in Loop: Header=BB0_17 Depth=2
	v_mov_b64_e32 v[12:13], v[14:15]
	s_branch .LBB0_17
.LBB0_23:                               ;   in Loop: Header=BB0_16 Depth=1
	s_delay_alu instid0(VALU_DEP_1) | instskip(NEXT) | instid1(VALU_DEP_1)
	v_mad_nc_u64_u32 v[12:13], s22, v14, s[24:25]
	v_mad_u32 v3, s23, v14, v13
	s_delay_alu instid0(VALU_DEP_1) | instskip(NEXT) | instid1(VALU_DEP_1)
	v_mad_u32 v13, s22, v15, v3
	v_add_nc_u64_e32 v[10:11], v[12:13], v[10:11]
	global_load_u8 v3, v[10:11], off
	s_wait_xcnt 0x0
	v_mov_b32_e32 v11, s19
	s_wait_loadcnt 0x0
	v_and_b32_e32 v10, 0xffff, v3
	s_delay_alu instid0(VALU_DEP_1) | instskip(SKIP_2) | instid1(SALU_CYCLE_1)
	v_cmp_le_i64_e32 vcc_lo, s[6:7], v[10:11]
	v_cmp_ge_i64_e64 s3, s[8:9], v[10:11]
	s_and_b32 s3, vcc_lo, s3
	s_and_saveexec_b32 s38, s3
	s_cbranch_execz .LBB0_15
; %bb.24:                               ;   in Loop: Header=BB0_16 Depth=1
	v_sub_nc_u64_e64 v[10:11], v[10:11], s[6:7]
                                        ; implicit-def: $vgpr12_vgpr13
	s_mov_b32 s3, exec_lo
	s_delay_alu instid0(VALU_DEP_1) | instskip(NEXT) | instid1(VALU_DEP_1)
	v_mul_u64_e32 v[10:11], s[4:5], v[10:11]
	v_or_b32_e32 v7, s27, v11
	s_delay_alu instid0(VALU_DEP_1)
	v_cmpx_ne_u64_e32 0, v[6:7]
	s_xor_b32 s39, exec_lo, s3
	s_cbranch_execz .LBB0_26
; %bb.25:                               ;   in Loop: Header=BB0_16 Depth=1
	s_mov_b32 s35, s34
	v_dual_mov_b32 v15, v6 :: v_dual_ashrrev_i32 v12, 31, v11
	s_add_nc_u64 s[36:37], s[26:27], s[34:35]
	v_mov_b32_e32 v23, v6
	s_xor_b64 s[36:37], s[36:37], s[34:35]
	s_delay_alu instid0(VALU_DEP_2) | instskip(SKIP_3) | instid1(VALU_DEP_1)
	v_mov_b32_e32 v13, v12
	s_cvt_f32_u32 s3, s36
	s_cvt_f32_u32 s18, s37
	s_sub_nc_u64 s[42:43], 0, s[36:37]
	v_add_nc_u64_e32 v[10:11], v[10:11], v[12:13]
	s_delay_alu instid0(SALU_CYCLE_1) | instskip(SKIP_1) | instid1(SALU_CYCLE_2)
	s_fmamk_f32 s3, s18, 0x4f800000, s3
	v_mov_b32_e32 v19, v6
	v_s_rcp_f32 s3, s3
	s_delay_alu instid0(VALU_DEP_2) | instskip(NEXT) | instid1(VALU_DEP_3)
	v_xor_b32_e32 v14, v10, v12
	v_xor_b32_e32 v18, v11, v12
	;; [unrolled: 1-line block ×3, first 2 shown]
	s_delay_alu instid0(TRANS32_DEP_1) | instskip(NEXT) | instid1(SALU_CYCLE_3)
	s_mul_f32 s3, s3, 0x5f7ffffc
	s_mul_f32 s18, s3, 0x2f800000
	s_delay_alu instid0(SALU_CYCLE_3) | instskip(NEXT) | instid1(SALU_CYCLE_3)
	s_trunc_f32 s18, s18
	s_fmamk_f32 s3, s18, 0xcf800000, s3
	s_cvt_u32_f32 s41, s18
	s_delay_alu instid0(SALU_CYCLE_2) | instskip(NEXT) | instid1(SALU_CYCLE_3)
	s_cvt_u32_f32 s40, s3
	s_mul_u64 s[48:49], s[42:43], s[40:41]
	s_delay_alu instid0(SALU_CYCLE_1)
	s_mul_hi_u32 s51, s40, s49
	s_mul_i32 s50, s40, s49
	s_mul_hi_u32 s18, s40, s48
	s_mul_i32 s35, s41, s48
	s_add_nc_u64 s[50:51], s[18:19], s[50:51]
	s_mul_hi_u32 s3, s41, s48
	s_mul_hi_u32 s47, s41, s49
	s_add_co_u32 s18, s50, s35
	s_add_co_ci_u32 s18, s51, s3
	s_mul_i32 s48, s41, s49
	s_add_co_ci_u32 s49, s47, 0
	s_delay_alu instid0(SALU_CYCLE_1) | instskip(NEXT) | instid1(SALU_CYCLE_1)
	s_add_nc_u64 s[48:49], s[18:19], s[48:49]
	s_add_co_u32 s40, s40, s48
	s_cselect_b32 s3, -1, 0
	s_delay_alu instid0(SALU_CYCLE_1) | instskip(SKIP_1) | instid1(SALU_CYCLE_1)
	s_cmp_lg_u32 s3, 0
	s_add_co_ci_u32 s41, s41, s49
	s_mul_u64 s[42:43], s[42:43], s[40:41]
	s_delay_alu instid0(SALU_CYCLE_1)
	s_mul_hi_u32 s49, s40, s43
	s_mul_i32 s48, s40, s43
	s_mul_hi_u32 s18, s40, s42
	s_mul_i32 s35, s41, s42
	s_add_nc_u64 s[48:49], s[18:19], s[48:49]
	s_mul_hi_u32 s3, s41, s42
	s_mul_hi_u32 s47, s41, s43
	s_add_co_u32 s18, s48, s35
	s_add_co_ci_u32 s18, s49, s3
	s_mul_i32 s42, s41, s43
	s_add_co_ci_u32 s43, s47, 0
	s_delay_alu instid0(SALU_CYCLE_1) | instskip(NEXT) | instid1(SALU_CYCLE_1)
	s_add_nc_u64 s[42:43], s[18:19], s[42:43]
	s_add_co_u32 s40, s40, s42
	s_cselect_b32 s3, -1, 0
	v_mul_hi_u32 v22, v14, s40
	s_cmp_lg_u32 s3, 0
	s_add_co_ci_u32 s18, s41, s43
	s_and_b64 s[42:43], s[40:41], s[28:29]
	v_mul_u64_e32 v[16:17], s[18:19], v[14:15]
	v_mul_u64_e32 v[10:11], s[42:43], v[18:19]
	;; [unrolled: 1-line block ×3, first 2 shown]
	s_delay_alu instid0(VALU_DEP_3) | instskip(NEXT) | instid1(VALU_DEP_1)
	v_add_nc_u64_e32 v[16:17], v[22:23], v[16:17]
	v_add_co_u32 v3, vcc_lo, v16, v10
	s_delay_alu instid0(VALU_DEP_2) | instskip(NEXT) | instid1(VALU_DEP_4)
	v_add_co_ci_u32_e32 v22, vcc_lo, v17, v11, vcc_lo
	v_add_co_ci_u32_e32 v21, vcc_lo, 0, v21, vcc_lo
	s_delay_alu instid0(VALU_DEP_1) | instskip(NEXT) | instid1(VALU_DEP_1)
	v_add_nc_u64_e32 v[10:11], v[22:23], v[20:21]
	v_mul_u64_e32 v[16:17], s[36:37], v[10:11]
	s_delay_alu instid0(VALU_DEP_1) | instskip(NEXT) | instid1(VALU_DEP_2)
	v_sub_nc_u32_e32 v3, v18, v17
	v_sub_co_u32 v7, vcc_lo, v14, v16
	s_delay_alu instid0(VALU_DEP_1) | instskip(NEXT) | instid1(VALU_DEP_3)
	v_sub_co_ci_u32_e64 v18, null, v18, v17, vcc_lo
	v_subrev_co_ci_u32_e64 v3, null, s37, v3, vcc_lo
	s_delay_alu instid0(VALU_DEP_3) | instskip(SKIP_1) | instid1(VALU_DEP_3)
	v_sub_co_u32 v13, s3, v7, s36
	v_add_nc_u64_e32 v[16:17], 1, v[10:11]
	v_subrev_co_ci_u32_e64 v3, null, 0, v3, s3
	s_delay_alu instid0(VALU_DEP_3) | instskip(SKIP_1) | instid1(VALU_DEP_3)
	v_cmp_le_u32_e32 vcc_lo, s36, v13
	v_cndmask_b32_e64 v13, 0, -1, vcc_lo
	v_cmp_le_u32_e32 vcc_lo, s37, v3
	v_cndmask_b32_e64 v14, 0, -1, vcc_lo
	;; [unrolled: 2-line block ×4, first 2 shown]
	v_cmp_eq_u32_e32 vcc_lo, s37, v3
	v_cndmask_b32_e32 v3, v14, v13, vcc_lo
	v_cmp_eq_u32_e32 vcc_lo, s37, v18
	v_add_nc_u64_e32 v[14:15], 2, v[10:11]
	v_dual_mov_b32 v13, v12 :: v_dual_cndmask_b32 v7, v19, v7, vcc_lo
	s_delay_alu instid0(VALU_DEP_4) | instskip(NEXT) | instid1(VALU_DEP_2)
	v_cmp_ne_u32_e32 vcc_lo, 0, v3
	v_cmp_ne_u32_e64 s3, 0, v7
	s_delay_alu instid0(VALU_DEP_4) | instskip(NEXT) | instid1(VALU_DEP_1)
	v_dual_cndmask_b32 v3, v17, v15, vcc_lo :: v_dual_cndmask_b32 v7, v16, v14, vcc_lo
	v_cndmask_b32_e64 v3, v11, v3, s3
	s_delay_alu instid0(VALU_DEP_1) | instskip(NEXT) | instid1(VALU_DEP_1)
	v_dual_cndmask_b32 v7, v10, v7, s3 :: v_dual_bitop2_b32 v11, v3, v12 bitop3:0x14
	v_xor_b32_e32 v10, v7, v12
	s_delay_alu instid0(VALU_DEP_1)
	v_sub_nc_u64_e32 v[12:13], v[10:11], v[12:13]
                                        ; implicit-def: $vgpr10_vgpr11
.LBB0_26:                               ;   in Loop: Header=BB0_16 Depth=1
	s_and_not1_saveexec_b32 s3, s39
	s_cbranch_execz .LBB0_14
; %bb.27:                               ;   in Loop: Header=BB0_16 Depth=1
	v_cvt_f32_u32_e32 v3, s26
	s_sub_co_i32 s18, 0, s26
	s_delay_alu instid0(VALU_DEP_1) | instskip(SKIP_1) | instid1(TRANS32_DEP_1)
	v_rcp_iflag_f32_e32 v3, v3
	v_nop
	v_mul_f32_e32 v3, 0x4f7ffffe, v3
	s_delay_alu instid0(VALU_DEP_1) | instskip(NEXT) | instid1(VALU_DEP_1)
	v_cvt_u32_f32_e32 v3, v3
	v_mul_lo_u32 v7, s18, v3
	s_delay_alu instid0(VALU_DEP_1) | instskip(NEXT) | instid1(VALU_DEP_1)
	v_mul_hi_u32 v7, v3, v7
	v_add_nc_u32_e32 v3, v3, v7
	s_delay_alu instid0(VALU_DEP_1) | instskip(NEXT) | instid1(VALU_DEP_1)
	v_mul_hi_u32 v3, v10, v3
	v_mul_lo_u32 v7, v3, s26
	s_delay_alu instid0(VALU_DEP_1) | instskip(SKIP_1) | instid1(VALU_DEP_2)
	v_sub_nc_u32_e32 v7, v10, v7
	v_add_nc_u32_e32 v10, 1, v3
	v_subrev_nc_u32_e32 v11, s26, v7
	v_cmp_le_u32_e32 vcc_lo, s26, v7
	s_delay_alu instid0(VALU_DEP_2) | instskip(NEXT) | instid1(VALU_DEP_4)
	v_cndmask_b32_e32 v7, v7, v11, vcc_lo
	v_cndmask_b32_e32 v3, v3, v10, vcc_lo
	s_delay_alu instid0(VALU_DEP_2) | instskip(NEXT) | instid1(VALU_DEP_2)
	v_cmp_le_u32_e32 vcc_lo, s26, v7
	v_add_nc_u32_e32 v10, 1, v3
	s_delay_alu instid0(VALU_DEP_1)
	v_cndmask_b32_e32 v12, v3, v10, vcc_lo
	s_branch .LBB0_14
.LBB0_28:
	s_or_b32 exec_lo, exec_lo, s33
	s_load_b64 s[0:1], s[0:1], 0xd0
; %bb.29:
	s_wait_dscnt 0x0
	s_barrier_signal -1
	s_barrier_wait -1
	s_and_saveexec_b32 s3, s2
	s_cbranch_execz .LBB0_32
; %bb.30:
	v_dual_mov_b32 v3, 0 :: v_dual_lshlrev_b32 v9, 2, v2
	s_wait_kmcnt 0x0
	v_mul_u64_e32 v[4:5], s[0:1], v[0:1]
	v_lshl_add_u32 v8, v0, 2, 0
	s_delay_alu instid0(VALU_DEP_3) | instskip(SKIP_1) | instid1(VALU_DEP_3)
	v_mul_u64_e32 v[6:7], s[0:1], v[2:3]
	s_mov_b32 s0, 0
	v_lshl_add_u64 v[4:5], v[4:5], 2, s[12:13]
	s_delay_alu instid0(VALU_DEP_2)
	v_lshlrev_b64_e32 v[6:7], 2, v[6:7]
.LBB0_31:                               ; =>This Inner Loop Header: Depth=1
	ds_load_b32 v10, v8
	v_add_nc_u64_e32 v[0:1], v[0:1], v[2:3]
	v_add_nc_u32_e32 v8, v8, v9
	s_delay_alu instid0(VALU_DEP_2)
	v_cmp_le_i64_e32 vcc_lo, s[14:15], v[0:1]
	s_or_b32 s0, vcc_lo, s0
	s_wait_dscnt 0x0
	global_atomic_add_f32 v[4:5], v10, off scope:SCOPE_DEV
	s_wait_xcnt 0x0
	v_add_nc_u64_e32 v[4:5], v[4:5], v[6:7]
	s_and_not1_b32 exec_lo, exec_lo, s0
	s_cbranch_execnz .LBB0_31
.LBB0_32:
	s_endpgm
	.section	.rodata,"a",@progbits
	.p2align	6, 0x0
	.amdhsa_kernel _ZN2at4cuda17kernelHistogram1DIfhlLi1ELi2ELin1ELNS0_23CUDAHistogramMemoryTypeE0EZNS0_21CUDA_tensor_histogramIfhLb1EEEbNS_6TensorES4_S4_lNS_14AccumulateTypeIT0_Lb1EE4typeES8_NS0_13TensorArgTypeES9_S9_EUllE_EEvNS0_6detail10TensorInfoIT_T1_EESF_NSC_IKS6_SE_EElS8_S8_SE_T6_
		.amdhsa_group_segment_fixed_size 0
		.amdhsa_private_segment_fixed_size 0
		.amdhsa_kernarg_size 1952
		.amdhsa_user_sgpr_count 2
		.amdhsa_user_sgpr_dispatch_ptr 0
		.amdhsa_user_sgpr_queue_ptr 0
		.amdhsa_user_sgpr_kernarg_segment_ptr 1
		.amdhsa_user_sgpr_dispatch_id 0
		.amdhsa_user_sgpr_kernarg_preload_length 0
		.amdhsa_user_sgpr_kernarg_preload_offset 0
		.amdhsa_user_sgpr_private_segment_size 0
		.amdhsa_wavefront_size32 1
		.amdhsa_uses_dynamic_stack 0
		.amdhsa_enable_private_segment 0
		.amdhsa_system_sgpr_workgroup_id_x 1
		.amdhsa_system_sgpr_workgroup_id_y 0
		.amdhsa_system_sgpr_workgroup_id_z 0
		.amdhsa_system_sgpr_workgroup_info 0
		.amdhsa_system_vgpr_workitem_id 0
		.amdhsa_next_free_vgpr 28
		.amdhsa_next_free_sgpr 57
		.amdhsa_named_barrier_count 0
		.amdhsa_reserve_vcc 1
		.amdhsa_float_round_mode_32 0
		.amdhsa_float_round_mode_16_64 0
		.amdhsa_float_denorm_mode_32 3
		.amdhsa_float_denorm_mode_16_64 3
		.amdhsa_fp16_overflow 0
		.amdhsa_memory_ordered 1
		.amdhsa_forward_progress 1
		.amdhsa_inst_pref_size 20
		.amdhsa_round_robin_scheduling 0
		.amdhsa_exception_fp_ieee_invalid_op 0
		.amdhsa_exception_fp_denorm_src 0
		.amdhsa_exception_fp_ieee_div_zero 0
		.amdhsa_exception_fp_ieee_overflow 0
		.amdhsa_exception_fp_ieee_underflow 0
		.amdhsa_exception_fp_ieee_inexact 0
		.amdhsa_exception_int_div_zero 0
	.end_amdhsa_kernel
	.section	.text._ZN2at4cuda17kernelHistogram1DIfhlLi1ELi2ELin1ELNS0_23CUDAHistogramMemoryTypeE0EZNS0_21CUDA_tensor_histogramIfhLb1EEEbNS_6TensorES4_S4_lNS_14AccumulateTypeIT0_Lb1EE4typeES8_NS0_13TensorArgTypeES9_S9_EUllE_EEvNS0_6detail10TensorInfoIT_T1_EESF_NSC_IKS6_SE_EElS8_S8_SE_T6_,"axG",@progbits,_ZN2at4cuda17kernelHistogram1DIfhlLi1ELi2ELin1ELNS0_23CUDAHistogramMemoryTypeE0EZNS0_21CUDA_tensor_histogramIfhLb1EEEbNS_6TensorES4_S4_lNS_14AccumulateTypeIT0_Lb1EE4typeES8_NS0_13TensorArgTypeES9_S9_EUllE_EEvNS0_6detail10TensorInfoIT_T1_EESF_NSC_IKS6_SE_EElS8_S8_SE_T6_,comdat
.Lfunc_end0:
	.size	_ZN2at4cuda17kernelHistogram1DIfhlLi1ELi2ELin1ELNS0_23CUDAHistogramMemoryTypeE0EZNS0_21CUDA_tensor_histogramIfhLb1EEEbNS_6TensorES4_S4_lNS_14AccumulateTypeIT0_Lb1EE4typeES8_NS0_13TensorArgTypeES9_S9_EUllE_EEvNS0_6detail10TensorInfoIT_T1_EESF_NSC_IKS6_SE_EElS8_S8_SE_T6_, .Lfunc_end0-_ZN2at4cuda17kernelHistogram1DIfhlLi1ELi2ELin1ELNS0_23CUDAHistogramMemoryTypeE0EZNS0_21CUDA_tensor_histogramIfhLb1EEEbNS_6TensorES4_S4_lNS_14AccumulateTypeIT0_Lb1EE4typeES8_NS0_13TensorArgTypeES9_S9_EUllE_EEvNS0_6detail10TensorInfoIT_T1_EESF_NSC_IKS6_SE_EElS8_S8_SE_T6_
                                        ; -- End function
	.set _ZN2at4cuda17kernelHistogram1DIfhlLi1ELi2ELin1ELNS0_23CUDAHistogramMemoryTypeE0EZNS0_21CUDA_tensor_histogramIfhLb1EEEbNS_6TensorES4_S4_lNS_14AccumulateTypeIT0_Lb1EE4typeES8_NS0_13TensorArgTypeES9_S9_EUllE_EEvNS0_6detail10TensorInfoIT_T1_EESF_NSC_IKS6_SE_EElS8_S8_SE_T6_.num_vgpr, 28
	.set _ZN2at4cuda17kernelHistogram1DIfhlLi1ELi2ELin1ELNS0_23CUDAHistogramMemoryTypeE0EZNS0_21CUDA_tensor_histogramIfhLb1EEEbNS_6TensorES4_S4_lNS_14AccumulateTypeIT0_Lb1EE4typeES8_NS0_13TensorArgTypeES9_S9_EUllE_EEvNS0_6detail10TensorInfoIT_T1_EESF_NSC_IKS6_SE_EElS8_S8_SE_T6_.num_agpr, 0
	.set _ZN2at4cuda17kernelHistogram1DIfhlLi1ELi2ELin1ELNS0_23CUDAHistogramMemoryTypeE0EZNS0_21CUDA_tensor_histogramIfhLb1EEEbNS_6TensorES4_S4_lNS_14AccumulateTypeIT0_Lb1EE4typeES8_NS0_13TensorArgTypeES9_S9_EUllE_EEvNS0_6detail10TensorInfoIT_T1_EESF_NSC_IKS6_SE_EElS8_S8_SE_T6_.numbered_sgpr, 57
	.set _ZN2at4cuda17kernelHistogram1DIfhlLi1ELi2ELin1ELNS0_23CUDAHistogramMemoryTypeE0EZNS0_21CUDA_tensor_histogramIfhLb1EEEbNS_6TensorES4_S4_lNS_14AccumulateTypeIT0_Lb1EE4typeES8_NS0_13TensorArgTypeES9_S9_EUllE_EEvNS0_6detail10TensorInfoIT_T1_EESF_NSC_IKS6_SE_EElS8_S8_SE_T6_.num_named_barrier, 0
	.set _ZN2at4cuda17kernelHistogram1DIfhlLi1ELi2ELin1ELNS0_23CUDAHistogramMemoryTypeE0EZNS0_21CUDA_tensor_histogramIfhLb1EEEbNS_6TensorES4_S4_lNS_14AccumulateTypeIT0_Lb1EE4typeES8_NS0_13TensorArgTypeES9_S9_EUllE_EEvNS0_6detail10TensorInfoIT_T1_EESF_NSC_IKS6_SE_EElS8_S8_SE_T6_.private_seg_size, 0
	.set _ZN2at4cuda17kernelHistogram1DIfhlLi1ELi2ELin1ELNS0_23CUDAHistogramMemoryTypeE0EZNS0_21CUDA_tensor_histogramIfhLb1EEEbNS_6TensorES4_S4_lNS_14AccumulateTypeIT0_Lb1EE4typeES8_NS0_13TensorArgTypeES9_S9_EUllE_EEvNS0_6detail10TensorInfoIT_T1_EESF_NSC_IKS6_SE_EElS8_S8_SE_T6_.uses_vcc, 1
	.set _ZN2at4cuda17kernelHistogram1DIfhlLi1ELi2ELin1ELNS0_23CUDAHistogramMemoryTypeE0EZNS0_21CUDA_tensor_histogramIfhLb1EEEbNS_6TensorES4_S4_lNS_14AccumulateTypeIT0_Lb1EE4typeES8_NS0_13TensorArgTypeES9_S9_EUllE_EEvNS0_6detail10TensorInfoIT_T1_EESF_NSC_IKS6_SE_EElS8_S8_SE_T6_.uses_flat_scratch, 0
	.set _ZN2at4cuda17kernelHistogram1DIfhlLi1ELi2ELin1ELNS0_23CUDAHistogramMemoryTypeE0EZNS0_21CUDA_tensor_histogramIfhLb1EEEbNS_6TensorES4_S4_lNS_14AccumulateTypeIT0_Lb1EE4typeES8_NS0_13TensorArgTypeES9_S9_EUllE_EEvNS0_6detail10TensorInfoIT_T1_EESF_NSC_IKS6_SE_EElS8_S8_SE_T6_.has_dyn_sized_stack, 0
	.set _ZN2at4cuda17kernelHistogram1DIfhlLi1ELi2ELin1ELNS0_23CUDAHistogramMemoryTypeE0EZNS0_21CUDA_tensor_histogramIfhLb1EEEbNS_6TensorES4_S4_lNS_14AccumulateTypeIT0_Lb1EE4typeES8_NS0_13TensorArgTypeES9_S9_EUllE_EEvNS0_6detail10TensorInfoIT_T1_EESF_NSC_IKS6_SE_EElS8_S8_SE_T6_.has_recursion, 0
	.set _ZN2at4cuda17kernelHistogram1DIfhlLi1ELi2ELin1ELNS0_23CUDAHistogramMemoryTypeE0EZNS0_21CUDA_tensor_histogramIfhLb1EEEbNS_6TensorES4_S4_lNS_14AccumulateTypeIT0_Lb1EE4typeES8_NS0_13TensorArgTypeES9_S9_EUllE_EEvNS0_6detail10TensorInfoIT_T1_EESF_NSC_IKS6_SE_EElS8_S8_SE_T6_.has_indirect_call, 0
	.section	.AMDGPU.csdata,"",@progbits
; Kernel info:
; codeLenInByte = 2552
; TotalNumSgprs: 59
; NumVgprs: 28
; ScratchSize: 0
; MemoryBound: 0
; FloatMode: 240
; IeeeMode: 1
; LDSByteSize: 0 bytes/workgroup (compile time only)
; SGPRBlocks: 0
; VGPRBlocks: 1
; NumSGPRsForWavesPerEU: 59
; NumVGPRsForWavesPerEU: 28
; NamedBarCnt: 0
; Occupancy: 16
; WaveLimiterHint : 1
; COMPUTE_PGM_RSRC2:SCRATCH_EN: 0
; COMPUTE_PGM_RSRC2:USER_SGPR: 2
; COMPUTE_PGM_RSRC2:TRAP_HANDLER: 0
; COMPUTE_PGM_RSRC2:TGID_X_EN: 1
; COMPUTE_PGM_RSRC2:TGID_Y_EN: 0
; COMPUTE_PGM_RSRC2:TGID_Z_EN: 0
; COMPUTE_PGM_RSRC2:TIDIG_COMP_CNT: 0
	.section	.text._ZN2at4cuda17kernelHistogram1DIfhlLi1ELi2ELin1ELNS0_23CUDAHistogramMemoryTypeE1EZNS0_21CUDA_tensor_histogramIfhLb1EEEbNS_6TensorES4_S4_lNS_14AccumulateTypeIT0_Lb1EE4typeES8_NS0_13TensorArgTypeES9_S9_EUllE_EEvNS0_6detail10TensorInfoIT_T1_EESF_NSC_IKS6_SE_EElS8_S8_SE_T6_,"axG",@progbits,_ZN2at4cuda17kernelHistogram1DIfhlLi1ELi2ELin1ELNS0_23CUDAHistogramMemoryTypeE1EZNS0_21CUDA_tensor_histogramIfhLb1EEEbNS_6TensorES4_S4_lNS_14AccumulateTypeIT0_Lb1EE4typeES8_NS0_13TensorArgTypeES9_S9_EUllE_EEvNS0_6detail10TensorInfoIT_T1_EESF_NSC_IKS6_SE_EElS8_S8_SE_T6_,comdat
	.protected	_ZN2at4cuda17kernelHistogram1DIfhlLi1ELi2ELin1ELNS0_23CUDAHistogramMemoryTypeE1EZNS0_21CUDA_tensor_histogramIfhLb1EEEbNS_6TensorES4_S4_lNS_14AccumulateTypeIT0_Lb1EE4typeES8_NS0_13TensorArgTypeES9_S9_EUllE_EEvNS0_6detail10TensorInfoIT_T1_EESF_NSC_IKS6_SE_EElS8_S8_SE_T6_ ; -- Begin function _ZN2at4cuda17kernelHistogram1DIfhlLi1ELi2ELin1ELNS0_23CUDAHistogramMemoryTypeE1EZNS0_21CUDA_tensor_histogramIfhLb1EEEbNS_6TensorES4_S4_lNS_14AccumulateTypeIT0_Lb1EE4typeES8_NS0_13TensorArgTypeES9_S9_EUllE_EEvNS0_6detail10TensorInfoIT_T1_EESF_NSC_IKS6_SE_EElS8_S8_SE_T6_
	.globl	_ZN2at4cuda17kernelHistogram1DIfhlLi1ELi2ELin1ELNS0_23CUDAHistogramMemoryTypeE1EZNS0_21CUDA_tensor_histogramIfhLb1EEEbNS_6TensorES4_S4_lNS_14AccumulateTypeIT0_Lb1EE4typeES8_NS0_13TensorArgTypeES9_S9_EUllE_EEvNS0_6detail10TensorInfoIT_T1_EESF_NSC_IKS6_SE_EElS8_S8_SE_T6_
	.p2align	8
	.type	_ZN2at4cuda17kernelHistogram1DIfhlLi1ELi2ELin1ELNS0_23CUDAHistogramMemoryTypeE1EZNS0_21CUDA_tensor_histogramIfhLb1EEEbNS_6TensorES4_S4_lNS_14AccumulateTypeIT0_Lb1EE4typeES8_NS0_13TensorArgTypeES9_S9_EUllE_EEvNS0_6detail10TensorInfoIT_T1_EESF_NSC_IKS6_SE_EElS8_S8_SE_T6_,@function
_ZN2at4cuda17kernelHistogram1DIfhlLi1ELi2ELin1ELNS0_23CUDAHistogramMemoryTypeE1EZNS0_21CUDA_tensor_histogramIfhLb1EEEbNS_6TensorES4_S4_lNS_14AccumulateTypeIT0_Lb1EE4typeES8_NS0_13TensorArgTypeES9_S9_EUllE_EEvNS0_6detail10TensorInfoIT_T1_EESF_NSC_IKS6_SE_EElS8_S8_SE_T6_: ; @_ZN2at4cuda17kernelHistogram1DIfhlLi1ELi2ELin1ELNS0_23CUDAHistogramMemoryTypeE1EZNS0_21CUDA_tensor_histogramIfhLb1EEEbNS_6TensorES4_S4_lNS_14AccumulateTypeIT0_Lb1EE4typeES8_NS0_13TensorArgTypeES9_S9_EUllE_EEvNS0_6detail10TensorInfoIT_T1_EESF_NSC_IKS6_SE_EElS8_S8_SE_T6_
; %bb.0:
	s_load_b32 s2, s[0:1], 0x6ac
	s_bfe_u32 s12, ttmp6, 0x4000c
	s_load_b256 s[4:11], s[0:1], 0x4e0
	s_add_co_i32 s12, s12, 1
	s_and_b32 s3, ttmp6, 15
	s_mul_i32 s12, ttmp9, s12
	s_getreg_b32 s13, hwreg(HW_REG_IB_STS2, 6, 4)
	s_add_co_i32 s3, s3, s12
	v_mov_b32_e32 v2, 0
	s_mov_b32 s12, exec_lo
	s_delay_alu instid0(VALU_DEP_1) | instskip(SKIP_4) | instid1(SALU_CYCLE_1)
	v_mov_b32_e32 v1, v2
	s_wait_kmcnt 0x0
	s_and_b32 s2, s2, 0xffff
	s_cmp_eq_u32 s13, 0
	s_cselect_b32 s3, ttmp9, s3
	v_mad_u32 v0, s3, s2, v0
	s_mov_b32 s3, 0
	s_delay_alu instid0(VALU_DEP_1)
	v_cmpx_gt_i64_e64 s[10:11], v[0:1]
	s_cbranch_execz .LBB1_16
; %bb.1:
	s_clause 0x1
	s_load_b64 s[12:13], s[0:1], 0x5d0
	s_load_b32 s33, s[0:1], 0x4d8
	s_add_nc_u64 s[24:25], s[0:1], 0x6a0
	s_load_b32 s26, s[24:25], 0x0
	s_clause 0x4
	s_load_b64 s[14:15], s[0:1], 0x500
	s_load_b64 s[16:17], s[0:1], 0x0
	;; [unrolled: 1-line block ×5, first 2 shown]
	s_add_nc_u64 s[30:31], s[0:1], 0x340
	s_wait_xcnt 0x0
	s_sub_nc_u64 s[24:25], s[8:9], s[6:7]
	s_mov_b32 s27, s3
	s_mov_b64 s[28:29], 0xffffffff
	s_mov_b32 s44, 0
	s_wait_kmcnt 0x0
	s_mul_i32 s26, s26, s2
	s_cmp_gt_i32 s33, 1
	s_cselect_b32 s1, -1, 0
	s_add_co_i32 s2, s33, -1
	s_add_co_i32 s33, s33, 1
	s_lshl_b64 s[34:35], s[2:3], 3
	s_delay_alu instid0(SALU_CYCLE_1)
	s_add_nc_u64 s[34:35], s[30:31], s[34:35]
	s_ashr_i32 s30, s25, 31
	s_add_nc_u64 s[34:35], s[34:35], 8
	s_branch .LBB1_4
.LBB1_2:                                ;   in Loop: Header=BB1_4 Depth=1
	s_or_b32 exec_lo, exec_lo, s0
	v_mul_u64_e32 v[4:5], s[12:13], v[0:1]
	s_delay_alu instid0(VALU_DEP_2) | instskip(NEXT) | instid1(VALU_DEP_2)
	v_ashrrev_i32_e32 v7, 31, v6
	v_lshl_add_u64 v[4:5], v[4:5], 2, s[14:15]
	global_load_b32 v3, v[4:5], off
	s_wait_xcnt 0x0
	v_mov_b32_e32 v5, s3
	v_cmp_eq_u64_e32 vcc_lo, s[4:5], v[6:7]
	v_cndmask_b32_e64 v4, 0, 1, vcc_lo
	s_delay_alu instid0(VALU_DEP_1) | instskip(NEXT) | instid1(VALU_DEP_1)
	v_sub_nc_u64_e32 v[4:5], v[6:7], v[4:5]
	v_mul_u64_e32 v[4:5], s[18:19], v[4:5]
	s_delay_alu instid0(VALU_DEP_1)
	v_lshl_add_u64 v[4:5], v[4:5], 2, s[16:17]
	s_wait_loadcnt 0x0
	global_atomic_add_f32 v[4:5], v3, off scope:SCOPE_DEV
.LBB1_3:                                ;   in Loop: Header=BB1_4 Depth=1
	s_wait_xcnt 0x0
	s_or_b32 exec_lo, exec_lo, s38
	v_add_nc_u64_e32 v[0:1], s[26:27], v[0:1]
	s_delay_alu instid0(VALU_DEP_1) | instskip(SKIP_1) | instid1(SALU_CYCLE_1)
	v_cmp_le_i64_e32 vcc_lo, s[10:11], v[0:1]
	s_or_b32 s44, vcc_lo, s44
	s_and_not1_b32 exec_lo, exec_lo, s44
	s_cbranch_execz .LBB1_16
.LBB1_4:                                ; =>This Loop Header: Depth=1
                                        ;     Child Loop BB1_5 Depth 2
	v_mov_b64_e32 v[4:5], 0
	v_mov_b64_e32 v[6:7], v[0:1]
	v_mov_b64_e32 v[8:9], v[0:1]
	s_and_not1_b32 vcc_lo, exec_lo, s1
	s_mov_b64 s[36:37], s[34:35]
	s_mov_b32 s31, s33
	s_cbranch_vccnz .LBB1_11
.LBB1_5:                                ;   Parent Loop BB1_4 Depth=1
                                        ; =>  This Inner Loop Header: Depth=2
	s_load_b64 s[38:39], s[36:37], 0x0
                                        ; implicit-def: $vgpr8_vgpr9
	s_mov_b32 s0, exec_lo
	s_wait_kmcnt 0x0
	s_delay_alu instid0(VALU_DEP_1) | instskip(NEXT) | instid1(VALU_DEP_1)
	v_or_b32_e32 v3, s39, v7
	v_cmpx_ne_u64_e32 0, v[2:3]
	s_xor_b32 s45, exec_lo, s0
	s_cbranch_execz .LBB1_7
; %bb.6:                                ;   in Loop: Header=BB1_5 Depth=2
	s_ashr_i32 s40, s39, 31
	v_dual_mov_b32 v13, v2 :: v_dual_ashrrev_i32 v8, 31, v7
	s_mov_b32 s41, s40
	s_delay_alu instid0(SALU_CYCLE_1) | instskip(NEXT) | instid1(VALU_DEP_1)
	s_add_nc_u64 s[42:43], s[38:39], s[40:41]
	v_mov_b32_e32 v9, v8
	s_xor_b64 s[42:43], s[42:43], s[40:41]
	s_delay_alu instid0(SALU_CYCLE_1)
	s_cvt_f32_u32 s0, s42
	s_cvt_f32_u32 s2, s43
	s_sub_nc_u64 s[48:49], 0, s[42:43]
	v_add_nc_u64_e32 v[10:11], v[6:7], v[8:9]
	v_mov_b32_e32 v17, v2
	s_fmamk_f32 s0, s2, 0x4f800000, s0
	s_delay_alu instid0(SALU_CYCLE_3) | instskip(NEXT) | instid1(VALU_DEP_2)
	v_s_rcp_f32 s0, s0
	v_xor_b32_e32 v12, v10, v8
	s_delay_alu instid0(VALU_DEP_3) | instskip(SKIP_1) | instid1(TRANS32_DEP_1)
	v_dual_mov_b32 v21, v2 :: v_dual_bitop2_b32 v16, v11, v8 bitop3:0x14
	v_xor_b32_e32 v8, s40, v8
	s_mul_f32 s0, s0, 0x5f7ffffc
	s_delay_alu instid0(SALU_CYCLE_3) | instskip(NEXT) | instid1(SALU_CYCLE_3)
	s_mul_f32 s2, s0, 0x2f800000
	s_trunc_f32 s2, s2
	s_delay_alu instid0(SALU_CYCLE_3) | instskip(SKIP_1) | instid1(SALU_CYCLE_2)
	s_fmamk_f32 s0, s2, 0xcf800000, s0
	s_cvt_u32_f32 s47, s2
	s_cvt_u32_f32 s46, s0
	s_delay_alu instid0(SALU_CYCLE_3) | instskip(NEXT) | instid1(SALU_CYCLE_1)
	s_mul_u64 s[50:51], s[48:49], s[46:47]
	s_mul_hi_u32 s53, s46, s51
	s_mul_i32 s52, s46, s51
	s_mul_hi_u32 s2, s46, s50
	s_mul_i32 s41, s47, s50
	s_add_nc_u64 s[52:53], s[2:3], s[52:53]
	s_mul_hi_u32 s0, s47, s50
	s_mul_hi_u32 s54, s47, s51
	s_add_co_u32 s2, s52, s41
	s_add_co_ci_u32 s2, s53, s0
	s_mul_i32 s50, s47, s51
	s_add_co_ci_u32 s51, s54, 0
	s_delay_alu instid0(SALU_CYCLE_1) | instskip(NEXT) | instid1(SALU_CYCLE_1)
	s_add_nc_u64 s[50:51], s[2:3], s[50:51]
	s_add_co_u32 s46, s46, s50
	s_cselect_b32 s0, -1, 0
	s_delay_alu instid0(SALU_CYCLE_1) | instskip(SKIP_1) | instid1(SALU_CYCLE_1)
	s_cmp_lg_u32 s0, 0
	s_add_co_ci_u32 s47, s47, s51
	s_mul_u64 s[48:49], s[48:49], s[46:47]
	s_delay_alu instid0(SALU_CYCLE_1)
	s_mul_hi_u32 s51, s46, s49
	s_mul_i32 s50, s46, s49
	s_mul_hi_u32 s2, s46, s48
	s_mul_i32 s41, s47, s48
	s_add_nc_u64 s[50:51], s[2:3], s[50:51]
	s_mul_hi_u32 s0, s47, s48
	s_mul_hi_u32 s52, s47, s49
	s_add_co_u32 s2, s50, s41
	s_add_co_ci_u32 s2, s51, s0
	s_mul_i32 s48, s47, s49
	s_add_co_ci_u32 s49, s52, 0
	s_delay_alu instid0(SALU_CYCLE_1) | instskip(NEXT) | instid1(SALU_CYCLE_1)
	s_add_nc_u64 s[48:49], s[2:3], s[48:49]
	s_add_co_u32 s0, s46, s48
	s_cselect_b32 s2, -1, 0
	v_mul_hi_u32 v20, v12, s0
	s_cmp_lg_u32 s2, 0
	s_add_co_ci_u32 s2, s47, s49
	s_and_b64 s[46:47], s[0:1], s[28:29]
	v_mul_u64_e32 v[14:15], s[2:3], v[12:13]
	v_mul_u64_e32 v[10:11], s[46:47], v[16:17]
	;; [unrolled: 1-line block ×3, first 2 shown]
	s_delay_alu instid0(VALU_DEP_3) | instskip(NEXT) | instid1(VALU_DEP_1)
	v_add_nc_u64_e32 v[14:15], v[20:21], v[14:15]
	v_add_co_u32 v3, vcc_lo, v14, v10
	s_delay_alu instid0(VALU_DEP_2) | instskip(NEXT) | instid1(VALU_DEP_4)
	v_add_co_ci_u32_e32 v20, vcc_lo, v15, v11, vcc_lo
	v_add_co_ci_u32_e32 v19, vcc_lo, 0, v19, vcc_lo
	s_delay_alu instid0(VALU_DEP_1) | instskip(NEXT) | instid1(VALU_DEP_1)
	v_add_nc_u64_e32 v[10:11], v[20:21], v[18:19]
	v_mul_u64_e32 v[14:15], s[42:43], v[10:11]
	s_delay_alu instid0(VALU_DEP_1) | instskip(NEXT) | instid1(VALU_DEP_2)
	v_sub_nc_u32_e32 v3, v16, v15
	v_sub_co_u32 v9, vcc_lo, v12, v14
	s_delay_alu instid0(VALU_DEP_1) | instskip(NEXT) | instid1(VALU_DEP_3)
	v_sub_co_ci_u32_e64 v16, null, v16, v15, vcc_lo
	v_subrev_co_ci_u32_e64 v3, null, s43, v3, vcc_lo
	s_delay_alu instid0(VALU_DEP_3) | instskip(SKIP_1) | instid1(VALU_DEP_3)
	v_sub_co_u32 v12, s0, v9, s42
	v_add_nc_u64_e32 v[14:15], 1, v[10:11]
	v_subrev_co_ci_u32_e64 v3, null, 0, v3, s0
	s_delay_alu instid0(VALU_DEP_3) | instskip(SKIP_1) | instid1(VALU_DEP_3)
	v_cmp_le_u32_e32 vcc_lo, s42, v12
	v_cndmask_b32_e64 v12, 0, -1, vcc_lo
	v_cmp_le_u32_e32 vcc_lo, s43, v3
	v_cndmask_b32_e64 v13, 0, -1, vcc_lo
	;; [unrolled: 2-line block ×4, first 2 shown]
	v_cmp_eq_u32_e32 vcc_lo, s43, v3
	v_cndmask_b32_e32 v3, v13, v12, vcc_lo
	v_cmp_eq_u32_e32 vcc_lo, s43, v16
	v_add_nc_u64_e32 v[12:13], 2, v[10:11]
	v_cndmask_b32_e32 v9, v17, v9, vcc_lo
	s_delay_alu instid0(VALU_DEP_4) | instskip(NEXT) | instid1(VALU_DEP_2)
	v_cmp_ne_u32_e32 vcc_lo, 0, v3
	v_cmp_ne_u32_e64 s0, 0, v9
	s_delay_alu instid0(VALU_DEP_4) | instskip(NEXT) | instid1(VALU_DEP_1)
	v_dual_cndmask_b32 v3, v15, v13, vcc_lo :: v_dual_cndmask_b32 v9, v14, v12, vcc_lo
	v_dual_cndmask_b32 v10, v10, v9, s0 :: v_dual_mov_b32 v9, v8
	s_delay_alu instid0(VALU_DEP_1) | instskip(NEXT) | instid1(VALU_DEP_1)
	v_dual_cndmask_b32 v3, v11, v3, s0 :: v_dual_bitop2_b32 v10, v10, v8 bitop3:0x14
	v_xor_b32_e32 v11, v3, v8
	s_delay_alu instid0(VALU_DEP_1)
	v_sub_nc_u64_e32 v[8:9], v[10:11], v[8:9]
.LBB1_7:                                ;   in Loop: Header=BB1_5 Depth=2
	s_and_not1_saveexec_b32 s0, s45
	s_cbranch_execz .LBB1_9
; %bb.8:                                ;   in Loop: Header=BB1_5 Depth=2
	v_cvt_f32_u32_e32 v3, s38
	s_sub_co_i32 s2, 0, s38
	s_delay_alu instid0(VALU_DEP_1) | instskip(SKIP_1) | instid1(TRANS32_DEP_1)
	v_rcp_iflag_f32_e32 v3, v3
	v_nop
	v_mul_f32_e32 v3, 0x4f7ffffe, v3
	s_delay_alu instid0(VALU_DEP_1) | instskip(NEXT) | instid1(VALU_DEP_1)
	v_cvt_u32_f32_e32 v3, v3
	v_mul_lo_u32 v8, s2, v3
	s_delay_alu instid0(VALU_DEP_1) | instskip(NEXT) | instid1(VALU_DEP_1)
	v_mul_hi_u32 v8, v3, v8
	v_add_nc_u32_e32 v3, v3, v8
	s_delay_alu instid0(VALU_DEP_1) | instskip(NEXT) | instid1(VALU_DEP_1)
	v_mul_hi_u32 v3, v6, v3
	v_mul_lo_u32 v8, v3, s38
	s_delay_alu instid0(VALU_DEP_1) | instskip(NEXT) | instid1(VALU_DEP_1)
	v_dual_add_nc_u32 v9, 1, v3 :: v_dual_sub_nc_u32 v8, v6, v8
	v_subrev_nc_u32_e32 v10, s38, v8
	v_cmp_le_u32_e32 vcc_lo, s38, v8
	s_delay_alu instid0(VALU_DEP_2) | instskip(NEXT) | instid1(VALU_DEP_1)
	v_dual_cndmask_b32 v8, v8, v10 :: v_dual_cndmask_b32 v3, v3, v9
	v_cmp_le_u32_e32 vcc_lo, s38, v8
	s_delay_alu instid0(VALU_DEP_2) | instskip(NEXT) | instid1(VALU_DEP_1)
	v_add_nc_u32_e32 v9, 1, v3
	v_dual_cndmask_b32 v8, v3, v9 :: v_dual_mov_b32 v9, v2
.LBB1_9:                                ;   in Loop: Header=BB1_5 Depth=2
	s_or_b32 exec_lo, exec_lo, s0
	s_delay_alu instid0(VALU_DEP_1)
	v_mul_u64_e32 v[10:11], s[38:39], v[8:9]
	s_load_b64 s[38:39], s[36:37], 0xc8
	s_add_co_i32 s31, s31, -1
	s_wait_xcnt 0x0
	s_add_nc_u64 s[36:37], s[36:37], -8
	s_cmp_gt_u32 s31, 2
	s_delay_alu instid0(VALU_DEP_1) | instskip(SKIP_1) | instid1(VALU_DEP_1)
	v_sub_nc_u64_e32 v[6:7], v[6:7], v[10:11]
	s_wait_kmcnt 0x0
	v_mad_nc_u64_u32 v[4:5], s38, v6, v[4:5]
	s_delay_alu instid0(VALU_DEP_1) | instskip(NEXT) | instid1(VALU_DEP_1)
	v_mad_u32 v3, s39, v6, v5
	v_mad_u32 v5, s38, v7, v3
	s_cbranch_scc0 .LBB1_11
; %bb.10:                               ;   in Loop: Header=BB1_5 Depth=2
	v_mov_b64_e32 v[6:7], v[8:9]
	s_branch .LBB1_5
.LBB1_11:                               ;   in Loop: Header=BB1_4 Depth=1
	s_delay_alu instid0(VALU_DEP_1) | instskip(NEXT) | instid1(VALU_DEP_1)
	v_mad_nc_u64_u32 v[6:7], s20, v8, s[22:23]
	v_mad_u32 v3, s21, v8, v7
	s_delay_alu instid0(VALU_DEP_1) | instskip(NEXT) | instid1(VALU_DEP_1)
	v_mad_u32 v7, s20, v9, v3
	v_add_nc_u64_e32 v[4:5], v[6:7], v[4:5]
	global_load_u8 v3, v[4:5], off
	s_wait_xcnt 0x0
	v_mov_b32_e32 v5, s3
	s_wait_loadcnt 0x0
	v_and_b32_e32 v4, 0xffff, v3
	s_delay_alu instid0(VALU_DEP_1) | instskip(SKIP_2) | instid1(SALU_CYCLE_1)
	v_cmp_le_i64_e32 vcc_lo, s[6:7], v[4:5]
	v_cmp_ge_i64_e64 s0, s[8:9], v[4:5]
	s_and_b32 s0, vcc_lo, s0
	s_and_saveexec_b32 s38, s0
	s_cbranch_execz .LBB1_3
; %bb.12:                               ;   in Loop: Header=BB1_4 Depth=1
	v_sub_nc_u64_e64 v[4:5], v[4:5], s[6:7]
                                        ; implicit-def: $vgpr6_vgpr7
	s_mov_b32 s0, exec_lo
	s_delay_alu instid0(VALU_DEP_1) | instskip(NEXT) | instid1(VALU_DEP_1)
	v_mul_u64_e32 v[4:5], s[4:5], v[4:5]
	v_or_b32_e32 v3, s25, v5
	s_delay_alu instid0(VALU_DEP_1)
	v_cmpx_ne_u64_e32 0, v[2:3]
	s_xor_b32 s39, exec_lo, s0
	s_cbranch_execz .LBB1_14
; %bb.13:                               ;   in Loop: Header=BB1_4 Depth=1
	s_mov_b32 s31, s30
	v_dual_mov_b32 v9, v2 :: v_dual_ashrrev_i32 v6, 31, v5
	s_add_nc_u64 s[36:37], s[24:25], s[30:31]
	s_delay_alu instid0(SALU_CYCLE_1) | instskip(NEXT) | instid1(VALU_DEP_1)
	s_xor_b64 s[36:37], s[36:37], s[30:31]
	v_mov_b32_e32 v7, v6
	s_cvt_f32_u32 s0, s36
	s_cvt_f32_u32 s2, s37
	s_sub_nc_u64 s[42:43], 0, s[36:37]
	s_delay_alu instid0(VALU_DEP_1) | instskip(NEXT) | instid1(SALU_CYCLE_1)
	v_add_nc_u64_e32 v[4:5], v[4:5], v[6:7]
	s_fmamk_f32 s0, s2, 0x4f800000, s0
	v_mov_b32_e32 v13, v2
	s_delay_alu instid0(SALU_CYCLE_2) | instskip(NEXT) | instid1(VALU_DEP_2)
	v_s_rcp_f32 s0, s0
	v_xor_b32_e32 v8, v4, v6
	s_delay_alu instid0(VALU_DEP_3) | instskip(NEXT) | instid1(TRANS32_DEP_1)
	v_dual_mov_b32 v17, v2 :: v_dual_bitop2_b32 v12, v5, v6 bitop3:0x14
	s_mul_f32 s0, s0, 0x5f7ffffc
	s_delay_alu instid0(SALU_CYCLE_3) | instskip(NEXT) | instid1(SALU_CYCLE_3)
	s_mul_f32 s2, s0, 0x2f800000
	s_trunc_f32 s2, s2
	s_delay_alu instid0(SALU_CYCLE_3) | instskip(SKIP_1) | instid1(SALU_CYCLE_2)
	s_fmamk_f32 s0, s2, 0xcf800000, s0
	s_cvt_u32_f32 s41, s2
	s_cvt_u32_f32 s40, s0
	s_delay_alu instid0(SALU_CYCLE_3) | instskip(NEXT) | instid1(SALU_CYCLE_1)
	s_mul_u64 s[46:47], s[42:43], s[40:41]
	s_mul_hi_u32 s49, s40, s47
	s_mul_i32 s48, s40, s47
	s_mul_hi_u32 s2, s40, s46
	s_mul_i32 s31, s41, s46
	s_add_nc_u64 s[48:49], s[2:3], s[48:49]
	s_mul_hi_u32 s0, s41, s46
	s_mul_hi_u32 s45, s41, s47
	s_add_co_u32 s2, s48, s31
	s_add_co_ci_u32 s2, s49, s0
	s_mul_i32 s46, s41, s47
	s_add_co_ci_u32 s47, s45, 0
	s_delay_alu instid0(SALU_CYCLE_1) | instskip(NEXT) | instid1(SALU_CYCLE_1)
	s_add_nc_u64 s[46:47], s[2:3], s[46:47]
	s_add_co_u32 s40, s40, s46
	s_cselect_b32 s0, -1, 0
	s_delay_alu instid0(SALU_CYCLE_1) | instskip(SKIP_1) | instid1(SALU_CYCLE_1)
	s_cmp_lg_u32 s0, 0
	s_add_co_ci_u32 s41, s41, s47
	s_mul_u64 s[42:43], s[42:43], s[40:41]
	s_delay_alu instid0(SALU_CYCLE_1)
	s_mul_hi_u32 s47, s40, s43
	s_mul_i32 s46, s40, s43
	s_mul_hi_u32 s2, s40, s42
	s_mul_i32 s31, s41, s42
	s_add_nc_u64 s[46:47], s[2:3], s[46:47]
	s_mul_hi_u32 s0, s41, s42
	s_mul_hi_u32 s45, s41, s43
	s_add_co_u32 s2, s46, s31
	s_add_co_ci_u32 s2, s47, s0
	s_mul_i32 s42, s41, s43
	s_add_co_ci_u32 s43, s45, 0
	s_delay_alu instid0(SALU_CYCLE_1) | instskip(NEXT) | instid1(SALU_CYCLE_1)
	s_add_nc_u64 s[42:43], s[2:3], s[42:43]
	s_add_co_u32 s0, s40, s42
	s_cselect_b32 s2, -1, 0
	v_mul_hi_u32 v16, v8, s0
	s_cmp_lg_u32 s2, 0
	s_add_co_ci_u32 s2, s41, s43
	s_and_b64 s[40:41], s[0:1], s[28:29]
	v_mul_u64_e32 v[10:11], s[2:3], v[8:9]
	v_mul_u64_e32 v[4:5], s[40:41], v[12:13]
	;; [unrolled: 1-line block ×3, first 2 shown]
	s_delay_alu instid0(VALU_DEP_3) | instskip(NEXT) | instid1(VALU_DEP_1)
	v_add_nc_u64_e32 v[10:11], v[16:17], v[10:11]
	v_add_co_u32 v3, vcc_lo, v10, v4
	s_delay_alu instid0(VALU_DEP_2) | instskip(NEXT) | instid1(VALU_DEP_4)
	v_add_co_ci_u32_e32 v16, vcc_lo, v11, v5, vcc_lo
	v_add_co_ci_u32_e32 v15, vcc_lo, 0, v15, vcc_lo
	s_delay_alu instid0(VALU_DEP_1) | instskip(NEXT) | instid1(VALU_DEP_1)
	v_add_nc_u64_e32 v[4:5], v[16:17], v[14:15]
	v_mul_u64_e32 v[10:11], s[36:37], v[4:5]
	s_delay_alu instid0(VALU_DEP_1) | instskip(NEXT) | instid1(VALU_DEP_2)
	v_sub_nc_u32_e32 v3, v12, v11
	v_sub_co_u32 v7, vcc_lo, v8, v10
	s_delay_alu instid0(VALU_DEP_1) | instskip(NEXT) | instid1(VALU_DEP_3)
	v_sub_co_ci_u32_e64 v12, null, v12, v11, vcc_lo
	v_subrev_co_ci_u32_e64 v3, null, s37, v3, vcc_lo
	s_delay_alu instid0(VALU_DEP_3) | instskip(SKIP_1) | instid1(VALU_DEP_3)
	v_sub_co_u32 v8, s0, v7, s36
	v_add_nc_u64_e32 v[10:11], 1, v[4:5]
	v_subrev_co_ci_u32_e64 v3, null, 0, v3, s0
	s_delay_alu instid0(VALU_DEP_3) | instskip(SKIP_1) | instid1(VALU_DEP_3)
	v_cmp_le_u32_e32 vcc_lo, s36, v8
	v_cndmask_b32_e64 v8, 0, -1, vcc_lo
	v_cmp_le_u32_e32 vcc_lo, s37, v3
	v_cndmask_b32_e64 v9, 0, -1, vcc_lo
	;; [unrolled: 2-line block ×4, first 2 shown]
	v_cmp_eq_u32_e32 vcc_lo, s37, v3
	v_cndmask_b32_e32 v3, v9, v8, vcc_lo
	v_cmp_eq_u32_e32 vcc_lo, s37, v12
	v_add_nc_u64_e32 v[8:9], 2, v[4:5]
	v_cndmask_b32_e32 v7, v13, v7, vcc_lo
	s_delay_alu instid0(VALU_DEP_4) | instskip(NEXT) | instid1(VALU_DEP_3)
	v_cmp_ne_u32_e32 vcc_lo, 0, v3
	v_cndmask_b32_e32 v3, v11, v9, vcc_lo
	s_delay_alu instid0(VALU_DEP_3) | instskip(SKIP_1) | instid1(VALU_DEP_2)
	v_cmp_ne_u32_e64 s0, 0, v7
	v_dual_cndmask_b32 v7, v10, v8, vcc_lo :: v_dual_bitop2_b32 v6, s30, v6 bitop3:0x14
	v_cndmask_b32_e64 v3, v5, v3, s0
	s_delay_alu instid0(VALU_DEP_2) | instskip(NEXT) | instid1(VALU_DEP_2)
	v_dual_cndmask_b32 v4, v4, v7, s0 :: v_dual_mov_b32 v7, v6
	v_xor_b32_e32 v5, v3, v6
	s_delay_alu instid0(VALU_DEP_2) | instskip(NEXT) | instid1(VALU_DEP_1)
	v_xor_b32_e32 v4, v4, v6
	v_sub_nc_u64_e32 v[6:7], v[4:5], v[6:7]
                                        ; implicit-def: $vgpr4_vgpr5
.LBB1_14:                               ;   in Loop: Header=BB1_4 Depth=1
	s_and_not1_saveexec_b32 s0, s39
	s_cbranch_execz .LBB1_2
; %bb.15:                               ;   in Loop: Header=BB1_4 Depth=1
	v_cvt_f32_u32_e32 v3, s24
	s_sub_co_i32 s2, 0, s24
	s_delay_alu instid0(VALU_DEP_1) | instskip(SKIP_1) | instid1(TRANS32_DEP_1)
	v_rcp_iflag_f32_e32 v3, v3
	v_nop
	v_mul_f32_e32 v3, 0x4f7ffffe, v3
	s_delay_alu instid0(VALU_DEP_1) | instskip(NEXT) | instid1(VALU_DEP_1)
	v_cvt_u32_f32_e32 v3, v3
	v_mul_lo_u32 v5, s2, v3
	s_delay_alu instid0(VALU_DEP_1) | instskip(NEXT) | instid1(VALU_DEP_1)
	v_mul_hi_u32 v5, v3, v5
	v_add_nc_u32_e32 v3, v3, v5
	s_delay_alu instid0(VALU_DEP_1) | instskip(NEXT) | instid1(VALU_DEP_1)
	v_mul_hi_u32 v3, v4, v3
	v_mul_lo_u32 v5, v3, s24
	s_delay_alu instid0(VALU_DEP_1) | instskip(NEXT) | instid1(VALU_DEP_1)
	v_dual_sub_nc_u32 v4, v4, v5 :: v_dual_add_nc_u32 v5, 1, v3
	v_subrev_nc_u32_e32 v6, s24, v4
	v_cmp_le_u32_e32 vcc_lo, s24, v4
	s_delay_alu instid0(VALU_DEP_2) | instskip(NEXT) | instid1(VALU_DEP_1)
	v_dual_cndmask_b32 v4, v4, v6 :: v_dual_cndmask_b32 v3, v3, v5
	v_cmp_le_u32_e32 vcc_lo, s24, v4
	s_delay_alu instid0(VALU_DEP_2) | instskip(NEXT) | instid1(VALU_DEP_1)
	v_add_nc_u32_e32 v5, 1, v3
	v_cndmask_b32_e32 v6, v3, v5, vcc_lo
	s_branch .LBB1_2
.LBB1_16:
	s_endpgm
	.section	.rodata,"a",@progbits
	.p2align	6, 0x0
	.amdhsa_kernel _ZN2at4cuda17kernelHistogram1DIfhlLi1ELi2ELin1ELNS0_23CUDAHistogramMemoryTypeE1EZNS0_21CUDA_tensor_histogramIfhLb1EEEbNS_6TensorES4_S4_lNS_14AccumulateTypeIT0_Lb1EE4typeES8_NS0_13TensorArgTypeES9_S9_EUllE_EEvNS0_6detail10TensorInfoIT_T1_EESF_NSC_IKS6_SE_EElS8_S8_SE_T6_
		.amdhsa_group_segment_fixed_size 0
		.amdhsa_private_segment_fixed_size 0
		.amdhsa_kernarg_size 1952
		.amdhsa_user_sgpr_count 2
		.amdhsa_user_sgpr_dispatch_ptr 0
		.amdhsa_user_sgpr_queue_ptr 0
		.amdhsa_user_sgpr_kernarg_segment_ptr 1
		.amdhsa_user_sgpr_dispatch_id 0
		.amdhsa_user_sgpr_kernarg_preload_length 0
		.amdhsa_user_sgpr_kernarg_preload_offset 0
		.amdhsa_user_sgpr_private_segment_size 0
		.amdhsa_wavefront_size32 1
		.amdhsa_uses_dynamic_stack 0
		.amdhsa_enable_private_segment 0
		.amdhsa_system_sgpr_workgroup_id_x 1
		.amdhsa_system_sgpr_workgroup_id_y 0
		.amdhsa_system_sgpr_workgroup_id_z 0
		.amdhsa_system_sgpr_workgroup_info 0
		.amdhsa_system_vgpr_workitem_id 0
		.amdhsa_next_free_vgpr 22
		.amdhsa_next_free_sgpr 55
		.amdhsa_named_barrier_count 0
		.amdhsa_reserve_vcc 1
		.amdhsa_float_round_mode_32 0
		.amdhsa_float_round_mode_16_64 0
		.amdhsa_float_denorm_mode_32 3
		.amdhsa_float_denorm_mode_16_64 3
		.amdhsa_fp16_overflow 0
		.amdhsa_memory_ordered 1
		.amdhsa_forward_progress 1
		.amdhsa_inst_pref_size 17
		.amdhsa_round_robin_scheduling 0
		.amdhsa_exception_fp_ieee_invalid_op 0
		.amdhsa_exception_fp_denorm_src 0
		.amdhsa_exception_fp_ieee_div_zero 0
		.amdhsa_exception_fp_ieee_overflow 0
		.amdhsa_exception_fp_ieee_underflow 0
		.amdhsa_exception_fp_ieee_inexact 0
		.amdhsa_exception_int_div_zero 0
	.end_amdhsa_kernel
	.section	.text._ZN2at4cuda17kernelHistogram1DIfhlLi1ELi2ELin1ELNS0_23CUDAHistogramMemoryTypeE1EZNS0_21CUDA_tensor_histogramIfhLb1EEEbNS_6TensorES4_S4_lNS_14AccumulateTypeIT0_Lb1EE4typeES8_NS0_13TensorArgTypeES9_S9_EUllE_EEvNS0_6detail10TensorInfoIT_T1_EESF_NSC_IKS6_SE_EElS8_S8_SE_T6_,"axG",@progbits,_ZN2at4cuda17kernelHistogram1DIfhlLi1ELi2ELin1ELNS0_23CUDAHistogramMemoryTypeE1EZNS0_21CUDA_tensor_histogramIfhLb1EEEbNS_6TensorES4_S4_lNS_14AccumulateTypeIT0_Lb1EE4typeES8_NS0_13TensorArgTypeES9_S9_EUllE_EEvNS0_6detail10TensorInfoIT_T1_EESF_NSC_IKS6_SE_EElS8_S8_SE_T6_,comdat
.Lfunc_end1:
	.size	_ZN2at4cuda17kernelHistogram1DIfhlLi1ELi2ELin1ELNS0_23CUDAHistogramMemoryTypeE1EZNS0_21CUDA_tensor_histogramIfhLb1EEEbNS_6TensorES4_S4_lNS_14AccumulateTypeIT0_Lb1EE4typeES8_NS0_13TensorArgTypeES9_S9_EUllE_EEvNS0_6detail10TensorInfoIT_T1_EESF_NSC_IKS6_SE_EElS8_S8_SE_T6_, .Lfunc_end1-_ZN2at4cuda17kernelHistogram1DIfhlLi1ELi2ELin1ELNS0_23CUDAHistogramMemoryTypeE1EZNS0_21CUDA_tensor_histogramIfhLb1EEEbNS_6TensorES4_S4_lNS_14AccumulateTypeIT0_Lb1EE4typeES8_NS0_13TensorArgTypeES9_S9_EUllE_EEvNS0_6detail10TensorInfoIT_T1_EESF_NSC_IKS6_SE_EElS8_S8_SE_T6_
                                        ; -- End function
	.set _ZN2at4cuda17kernelHistogram1DIfhlLi1ELi2ELin1ELNS0_23CUDAHistogramMemoryTypeE1EZNS0_21CUDA_tensor_histogramIfhLb1EEEbNS_6TensorES4_S4_lNS_14AccumulateTypeIT0_Lb1EE4typeES8_NS0_13TensorArgTypeES9_S9_EUllE_EEvNS0_6detail10TensorInfoIT_T1_EESF_NSC_IKS6_SE_EElS8_S8_SE_T6_.num_vgpr, 22
	.set _ZN2at4cuda17kernelHistogram1DIfhlLi1ELi2ELin1ELNS0_23CUDAHistogramMemoryTypeE1EZNS0_21CUDA_tensor_histogramIfhLb1EEEbNS_6TensorES4_S4_lNS_14AccumulateTypeIT0_Lb1EE4typeES8_NS0_13TensorArgTypeES9_S9_EUllE_EEvNS0_6detail10TensorInfoIT_T1_EESF_NSC_IKS6_SE_EElS8_S8_SE_T6_.num_agpr, 0
	.set _ZN2at4cuda17kernelHistogram1DIfhlLi1ELi2ELin1ELNS0_23CUDAHistogramMemoryTypeE1EZNS0_21CUDA_tensor_histogramIfhLb1EEEbNS_6TensorES4_S4_lNS_14AccumulateTypeIT0_Lb1EE4typeES8_NS0_13TensorArgTypeES9_S9_EUllE_EEvNS0_6detail10TensorInfoIT_T1_EESF_NSC_IKS6_SE_EElS8_S8_SE_T6_.numbered_sgpr, 55
	.set _ZN2at4cuda17kernelHistogram1DIfhlLi1ELi2ELin1ELNS0_23CUDAHistogramMemoryTypeE1EZNS0_21CUDA_tensor_histogramIfhLb1EEEbNS_6TensorES4_S4_lNS_14AccumulateTypeIT0_Lb1EE4typeES8_NS0_13TensorArgTypeES9_S9_EUllE_EEvNS0_6detail10TensorInfoIT_T1_EESF_NSC_IKS6_SE_EElS8_S8_SE_T6_.num_named_barrier, 0
	.set _ZN2at4cuda17kernelHistogram1DIfhlLi1ELi2ELin1ELNS0_23CUDAHistogramMemoryTypeE1EZNS0_21CUDA_tensor_histogramIfhLb1EEEbNS_6TensorES4_S4_lNS_14AccumulateTypeIT0_Lb1EE4typeES8_NS0_13TensorArgTypeES9_S9_EUllE_EEvNS0_6detail10TensorInfoIT_T1_EESF_NSC_IKS6_SE_EElS8_S8_SE_T6_.private_seg_size, 0
	.set _ZN2at4cuda17kernelHistogram1DIfhlLi1ELi2ELin1ELNS0_23CUDAHistogramMemoryTypeE1EZNS0_21CUDA_tensor_histogramIfhLb1EEEbNS_6TensorES4_S4_lNS_14AccumulateTypeIT0_Lb1EE4typeES8_NS0_13TensorArgTypeES9_S9_EUllE_EEvNS0_6detail10TensorInfoIT_T1_EESF_NSC_IKS6_SE_EElS8_S8_SE_T6_.uses_vcc, 1
	.set _ZN2at4cuda17kernelHistogram1DIfhlLi1ELi2ELin1ELNS0_23CUDAHistogramMemoryTypeE1EZNS0_21CUDA_tensor_histogramIfhLb1EEEbNS_6TensorES4_S4_lNS_14AccumulateTypeIT0_Lb1EE4typeES8_NS0_13TensorArgTypeES9_S9_EUllE_EEvNS0_6detail10TensorInfoIT_T1_EESF_NSC_IKS6_SE_EElS8_S8_SE_T6_.uses_flat_scratch, 0
	.set _ZN2at4cuda17kernelHistogram1DIfhlLi1ELi2ELin1ELNS0_23CUDAHistogramMemoryTypeE1EZNS0_21CUDA_tensor_histogramIfhLb1EEEbNS_6TensorES4_S4_lNS_14AccumulateTypeIT0_Lb1EE4typeES8_NS0_13TensorArgTypeES9_S9_EUllE_EEvNS0_6detail10TensorInfoIT_T1_EESF_NSC_IKS6_SE_EElS8_S8_SE_T6_.has_dyn_sized_stack, 0
	.set _ZN2at4cuda17kernelHistogram1DIfhlLi1ELi2ELin1ELNS0_23CUDAHistogramMemoryTypeE1EZNS0_21CUDA_tensor_histogramIfhLb1EEEbNS_6TensorES4_S4_lNS_14AccumulateTypeIT0_Lb1EE4typeES8_NS0_13TensorArgTypeES9_S9_EUllE_EEvNS0_6detail10TensorInfoIT_T1_EESF_NSC_IKS6_SE_EElS8_S8_SE_T6_.has_recursion, 0
	.set _ZN2at4cuda17kernelHistogram1DIfhlLi1ELi2ELin1ELNS0_23CUDAHistogramMemoryTypeE1EZNS0_21CUDA_tensor_histogramIfhLb1EEEbNS_6TensorES4_S4_lNS_14AccumulateTypeIT0_Lb1EE4typeES8_NS0_13TensorArgTypeES9_S9_EUllE_EEvNS0_6detail10TensorInfoIT_T1_EESF_NSC_IKS6_SE_EElS8_S8_SE_T6_.has_indirect_call, 0
	.section	.AMDGPU.csdata,"",@progbits
; Kernel info:
; codeLenInByte = 2108
; TotalNumSgprs: 57
; NumVgprs: 22
; ScratchSize: 0
; MemoryBound: 0
; FloatMode: 240
; IeeeMode: 1
; LDSByteSize: 0 bytes/workgroup (compile time only)
; SGPRBlocks: 0
; VGPRBlocks: 1
; NumSGPRsForWavesPerEU: 57
; NumVGPRsForWavesPerEU: 22
; NamedBarCnt: 0
; Occupancy: 16
; WaveLimiterHint : 1
; COMPUTE_PGM_RSRC2:SCRATCH_EN: 0
; COMPUTE_PGM_RSRC2:USER_SGPR: 2
; COMPUTE_PGM_RSRC2:TRAP_HANDLER: 0
; COMPUTE_PGM_RSRC2:TGID_X_EN: 1
; COMPUTE_PGM_RSRC2:TGID_Y_EN: 0
; COMPUTE_PGM_RSRC2:TGID_Z_EN: 0
; COMPUTE_PGM_RSRC2:TIDIG_COMP_CNT: 0
	.section	.text._ZN2at4cuda17kernelHistogram1DIfhlLi1ELi2ELin1ELNS0_23CUDAHistogramMemoryTypeE0EZNS0_21CUDA_tensor_histogramIfhLb1EEEbNS_6TensorES4_S4_lNS_14AccumulateTypeIT0_Lb1EE4typeES8_NS0_13TensorArgTypeES9_S9_EUllE0_EEvNS0_6detail10TensorInfoIT_T1_EESF_NSC_IKS6_SE_EElS8_S8_SE_T6_,"axG",@progbits,_ZN2at4cuda17kernelHistogram1DIfhlLi1ELi2ELin1ELNS0_23CUDAHistogramMemoryTypeE0EZNS0_21CUDA_tensor_histogramIfhLb1EEEbNS_6TensorES4_S4_lNS_14AccumulateTypeIT0_Lb1EE4typeES8_NS0_13TensorArgTypeES9_S9_EUllE0_EEvNS0_6detail10TensorInfoIT_T1_EESF_NSC_IKS6_SE_EElS8_S8_SE_T6_,comdat
	.protected	_ZN2at4cuda17kernelHistogram1DIfhlLi1ELi2ELin1ELNS0_23CUDAHistogramMemoryTypeE0EZNS0_21CUDA_tensor_histogramIfhLb1EEEbNS_6TensorES4_S4_lNS_14AccumulateTypeIT0_Lb1EE4typeES8_NS0_13TensorArgTypeES9_S9_EUllE0_EEvNS0_6detail10TensorInfoIT_T1_EESF_NSC_IKS6_SE_EElS8_S8_SE_T6_ ; -- Begin function _ZN2at4cuda17kernelHistogram1DIfhlLi1ELi2ELin1ELNS0_23CUDAHistogramMemoryTypeE0EZNS0_21CUDA_tensor_histogramIfhLb1EEEbNS_6TensorES4_S4_lNS_14AccumulateTypeIT0_Lb1EE4typeES8_NS0_13TensorArgTypeES9_S9_EUllE0_EEvNS0_6detail10TensorInfoIT_T1_EESF_NSC_IKS6_SE_EElS8_S8_SE_T6_
	.globl	_ZN2at4cuda17kernelHistogram1DIfhlLi1ELi2ELin1ELNS0_23CUDAHistogramMemoryTypeE0EZNS0_21CUDA_tensor_histogramIfhLb1EEEbNS_6TensorES4_S4_lNS_14AccumulateTypeIT0_Lb1EE4typeES8_NS0_13TensorArgTypeES9_S9_EUllE0_EEvNS0_6detail10TensorInfoIT_T1_EESF_NSC_IKS6_SE_EElS8_S8_SE_T6_
	.p2align	8
	.type	_ZN2at4cuda17kernelHistogram1DIfhlLi1ELi2ELin1ELNS0_23CUDAHistogramMemoryTypeE0EZNS0_21CUDA_tensor_histogramIfhLb1EEEbNS_6TensorES4_S4_lNS_14AccumulateTypeIT0_Lb1EE4typeES8_NS0_13TensorArgTypeES9_S9_EUllE0_EEvNS0_6detail10TensorInfoIT_T1_EESF_NSC_IKS6_SE_EElS8_S8_SE_T6_,@function
_ZN2at4cuda17kernelHistogram1DIfhlLi1ELi2ELin1ELNS0_23CUDAHistogramMemoryTypeE0EZNS0_21CUDA_tensor_histogramIfhLb1EEEbNS_6TensorES4_S4_lNS_14AccumulateTypeIT0_Lb1EE4typeES8_NS0_13TensorArgTypeES9_S9_EUllE0_EEvNS0_6detail10TensorInfoIT_T1_EESF_NSC_IKS6_SE_EElS8_S8_SE_T6_: ; @_ZN2at4cuda17kernelHistogram1DIfhlLi1ELi2ELin1ELNS0_23CUDAHistogramMemoryTypeE0EZNS0_21CUDA_tensor_histogramIfhLb1EEEbNS_6TensorES4_S4_lNS_14AccumulateTypeIT0_Lb1EE4typeES8_NS0_13TensorArgTypeES9_S9_EUllE0_EEvNS0_6detail10TensorInfoIT_T1_EESF_NSC_IKS6_SE_EElS8_S8_SE_T6_
; %bb.0:
	s_load_b128 s[12:15], s[0:1], 0x0
	v_mov_b32_e32 v1, 0
	s_add_nc_u64 s[22:23], s[0:1], 0x508
	s_mov_b32 s3, exec_lo
                                        ; implicit-def: $sgpr4
	s_wait_kmcnt 0x0
	s_delay_alu instid0(VALU_DEP_1)
	v_cmp_gt_i64_e64 s2, s[14:15], v[0:1]
	v_cmpx_le_i64_e64 s[14:15], v[0:1]
	s_xor_b32 s3, exec_lo, s3
; %bb.1:
	s_load_b32 s4, s[22:23], 0xc
; %bb.2:
	s_or_saveexec_b32 s3, s3
	s_wait_kmcnt 0x0
	v_mov_b32_e32 v4, s4
	s_xor_b32 exec_lo, exec_lo, s3
	s_cbranch_execz .LBB2_12
; %bb.3:
	v_dual_mov_b32 v5, 0 :: v_dual_add_nc_u32 v4, 1, v0
	s_load_b32 s6, s[22:23], 0xc
	s_mov_b32 s8, -1
	s_delay_alu instid0(VALU_DEP_1) | instskip(SKIP_2) | instid1(SALU_CYCLE_1)
	v_max_i64 v[2:3], s[14:15], v[4:5]
	s_wait_kmcnt 0x0
	s_and_b32 s4, s6, 0xffff
	s_cmp_eq_u32 s4, 1
	s_cselect_b32 s5, -1, 0
	s_delay_alu instid0(VALU_DEP_1) | instskip(SKIP_1) | instid1(VALU_DEP_2)
	v_sub_nc_u64_e32 v[6:7], v[2:3], v[0:1]
	v_mov_b64_e32 v[2:3], v[0:1]
	v_cmp_lt_u64_e32 vcc_lo, 1, v[6:7]
	s_and_b32 s7, vcc_lo, s5
	s_delay_alu instid0(SALU_CYCLE_1)
	s_and_saveexec_b32 s5, s7
	s_cbranch_execz .LBB2_7
; %bb.4:
	v_dual_mov_b32 v3, v7 :: v_dual_bitop2_b32 v2, -2, v6 bitop3:0x40
	v_lshl_add_u32 v4, v0, 2, 0
	s_mov_b32 s7, 0
	s_delay_alu instid0(VALU_DEP_2)
	v_mov_b64_e32 v[8:9], v[2:3]
.LBB2_5:                                ; =>This Inner Loop Header: Depth=1
	s_delay_alu instid0(VALU_DEP_1) | instskip(SKIP_4) | instid1(SALU_CYCLE_1)
	v_add_nc_u64_e32 v[8:9], -2, v[8:9]
	ds_store_2addr_b32 v4, v5, v5 offset1:1
	v_add_nc_u32_e32 v4, 8, v4
	v_cmp_eq_u64_e32 vcc_lo, 0, v[8:9]
	s_or_b32 s7, vcc_lo, s7
	s_and_not1_b32 exec_lo, exec_lo, s7
	s_cbranch_execnz .LBB2_5
; %bb.6:
	s_or_b32 exec_lo, exec_lo, s7
	v_cmp_ne_u64_e32 vcc_lo, v[6:7], v[2:3]
	v_add_nc_u64_e32 v[2:3], v[2:3], v[0:1]
	s_or_not1_b32 s8, vcc_lo, exec_lo
.LBB2_7:
	s_or_b32 exec_lo, exec_lo, s5
	v_mov_b32_e32 v4, 1
	s_and_saveexec_b32 s7, s8
	s_cbranch_execz .LBB2_11
; %bb.8:
	s_delay_alu instid0(VALU_DEP_2)
	v_lshl_add_u32 v4, v2, 2, 0
	v_mov_b32_e32 v5, 0
	s_mov_b32 s5, 0
	s_lshl_b32 s9, s4, 2
	s_mov_b32 s8, s5
.LBB2_9:                                ; =>This Inner Loop Header: Depth=1
	v_add_nc_u64_e32 v[2:3], s[4:5], v[2:3]
	ds_store_b32 v4, v5
	v_add_nc_u32_e32 v4, s9, v4
	v_cmp_le_i64_e32 vcc_lo, s[14:15], v[2:3]
	s_or_b32 s8, vcc_lo, s8
	s_delay_alu instid0(SALU_CYCLE_1)
	s_and_not1_b32 exec_lo, exec_lo, s8
	s_cbranch_execnz .LBB2_9
; %bb.10:
	s_or_b32 exec_lo, exec_lo, s8
	v_mov_b32_e32 v4, s6
.LBB2_11:
	s_or_b32 exec_lo, exec_lo, s7
.LBB2_12:
	s_delay_alu instid0(SALU_CYCLE_1)
	s_or_b32 exec_lo, exec_lo, s3
	s_bfe_u32 s3, ttmp6, 0x4000c
	s_load_b256 s[4:11], s[0:1], 0x4e0
	s_add_co_i32 s3, s3, 1
	s_and_b32 s16, ttmp6, 15
	s_mul_i32 s3, ttmp9, s3
	s_getreg_b32 s17, hwreg(HW_REG_IB_STS2, 6, 4)
	v_and_b32_e32 v2, 0xffff, v4
	s_add_co_i32 s16, s16, s3
	s_cmp_eq_u32 s17, 0
	v_mov_b32_e32 v6, 0
	s_cselect_b32 s3, ttmp9, s16
	s_mov_b32 s17, 0
	v_mad_u32 v4, s3, v2, v0
	s_mov_b32 s33, exec_lo
	v_mov_b32_e32 v5, v6
	s_wait_dscnt 0x0
	s_barrier_signal -1
	s_barrier_wait -1
	s_wait_kmcnt 0x0
	s_delay_alu instid0(VALU_DEP_2)
	v_cmpx_gt_i64_e64 s[10:11], v[4:5]
	s_cbranch_execz .LBB2_28
; %bb.13:
	s_load_b32 s3, s[0:1], 0x4d8
	s_load_b32 s16, s[22:23], 0x0
	s_clause 0x1
	s_load_b64 s[18:19], s[0:1], 0x410
	s_load_b64 s[20:21], s[0:1], 0x340
	s_add_nc_u64 s[26:27], s[0:1], 0x340
	v_dual_mov_b32 v9, v6 :: v_dual_mov_b32 v3, 1.0
	s_wait_xcnt 0x0
	s_sub_nc_u64 s[22:23], s[8:9], s[6:7]
	s_mov_b64 s[24:25], 0xffffffff
	s_mov_b32 s42, 0
	s_wait_kmcnt 0x0
	s_cmp_gt_i32 s3, 1
	v_mul_lo_u32 v8, s16, v2
	s_cselect_b32 s40, -1, 0
	s_add_co_i32 s16, s3, -1
	s_add_co_i32 s41, s3, 1
	s_lshl_b64 s[28:29], s[16:17], 3
	s_delay_alu instid0(SALU_CYCLE_1)
	s_add_nc_u64 s[26:27], s[26:27], s[28:29]
	s_ashr_i32 s28, s23, 31
	s_add_nc_u64 s[26:27], s[26:27], 8
	s_branch .LBB2_16
.LBB2_14:                               ;   in Loop: Header=BB2_16 Depth=1
	s_or_b32 exec_lo, exec_lo, s3
	s_delay_alu instid0(VALU_DEP_1) | instskip(NEXT) | instid1(VALU_DEP_1)
	v_ashrrev_i32_e32 v13, 31, v12
	v_cmp_eq_u64_e32 vcc_lo, s[4:5], v[12:13]
	v_subrev_co_ci_u32_e64 v7, null, 0, v12, vcc_lo
	s_delay_alu instid0(VALU_DEP_1)
	v_lshl_add_u32 v7, v7, 2, 0
	ds_add_f32 v7, v3
.LBB2_15:                               ;   in Loop: Header=BB2_16 Depth=1
	s_or_b32 exec_lo, exec_lo, s34
	v_add_nc_u64_e32 v[4:5], v[4:5], v[8:9]
	s_delay_alu instid0(VALU_DEP_1) | instskip(SKIP_1) | instid1(SALU_CYCLE_1)
	v_cmp_le_i64_e32 vcc_lo, s[10:11], v[4:5]
	s_or_b32 s42, vcc_lo, s42
	s_and_not1_b32 exec_lo, exec_lo, s42
	s_cbranch_execz .LBB2_28
.LBB2_16:                               ; =>This Loop Header: Depth=1
                                        ;     Child Loop BB2_17 Depth 2
	v_mov_b64_e32 v[10:11], 0
	v_mov_b64_e32 v[12:13], v[4:5]
	;; [unrolled: 1-line block ×3, first 2 shown]
	s_and_not1_b32 vcc_lo, exec_lo, s40
	s_mov_b64 s[30:31], s[26:27]
	s_mov_b32 s29, s41
	s_cbranch_vccnz .LBB2_23
.LBB2_17:                               ;   Parent Loop BB2_16 Depth=1
                                        ; =>  This Inner Loop Header: Depth=2
	s_load_b64 s[34:35], s[30:31], 0x0
                                        ; implicit-def: $vgpr14_vgpr15
	s_mov_b32 s3, exec_lo
	s_wait_kmcnt 0x0
	s_delay_alu instid0(VALU_DEP_1) | instskip(NEXT) | instid1(VALU_DEP_1)
	v_or_b32_e32 v7, s35, v13
	v_cmpx_ne_u64_e32 0, v[6:7]
	s_xor_b32 s43, exec_lo, s3
	s_cbranch_execz .LBB2_19
; %bb.18:                               ;   in Loop: Header=BB2_17 Depth=2
	s_ashr_i32 s36, s35, 31
	v_dual_mov_b32 v19, v6 :: v_dual_ashrrev_i32 v14, 31, v13
	s_mov_b32 s37, s36
	v_mov_b32_e32 v27, v6
	s_add_nc_u64 s[38:39], s[34:35], s[36:37]
	s_delay_alu instid0(VALU_DEP_2) | instskip(SKIP_1) | instid1(SALU_CYCLE_1)
	v_mov_b32_e32 v15, v14
	s_xor_b64 s[38:39], s[38:39], s[36:37]
	s_cvt_f32_u32 s3, s38
	s_cvt_f32_u32 s16, s39
	s_sub_nc_u64 s[46:47], 0, s[38:39]
	v_add_nc_u64_e32 v[16:17], v[12:13], v[14:15]
	v_mov_b32_e32 v23, v6
	s_fmamk_f32 s3, s16, 0x4f800000, s3
	s_delay_alu instid0(SALU_CYCLE_3) | instskip(NEXT) | instid1(VALU_DEP_2)
	v_s_rcp_f32 s3, s3
	v_xor_b32_e32 v18, v16, v14
	s_delay_alu instid0(VALU_DEP_3) | instskip(NEXT) | instid1(TRANS32_DEP_1)
	v_xor_b32_e32 v22, v17, v14
	s_mul_f32 s3, s3, 0x5f7ffffc
	s_delay_alu instid0(SALU_CYCLE_3) | instskip(NEXT) | instid1(SALU_CYCLE_3)
	s_mul_f32 s16, s3, 0x2f800000
	s_trunc_f32 s16, s16
	s_delay_alu instid0(SALU_CYCLE_3) | instskip(SKIP_1) | instid1(SALU_CYCLE_2)
	s_fmamk_f32 s3, s16, 0xcf800000, s3
	s_cvt_u32_f32 s45, s16
	s_cvt_u32_f32 s44, s3
	s_delay_alu instid0(SALU_CYCLE_3) | instskip(NEXT) | instid1(SALU_CYCLE_1)
	s_mul_u64 s[48:49], s[46:47], s[44:45]
	s_mul_hi_u32 s51, s44, s49
	s_mul_i32 s50, s44, s49
	s_mul_hi_u32 s16, s44, s48
	s_mul_i32 s37, s45, s48
	s_add_nc_u64 s[50:51], s[16:17], s[50:51]
	s_mul_hi_u32 s3, s45, s48
	s_mul_hi_u32 s52, s45, s49
	s_add_co_u32 s16, s50, s37
	s_add_co_ci_u32 s16, s51, s3
	s_mul_i32 s48, s45, s49
	s_add_co_ci_u32 s49, s52, 0
	s_delay_alu instid0(SALU_CYCLE_1) | instskip(NEXT) | instid1(SALU_CYCLE_1)
	s_add_nc_u64 s[48:49], s[16:17], s[48:49]
	s_add_co_u32 s44, s44, s48
	s_cselect_b32 s3, -1, 0
	s_delay_alu instid0(SALU_CYCLE_1) | instskip(SKIP_1) | instid1(SALU_CYCLE_1)
	s_cmp_lg_u32 s3, 0
	s_add_co_ci_u32 s45, s45, s49
	s_mul_u64 s[46:47], s[46:47], s[44:45]
	s_delay_alu instid0(SALU_CYCLE_1)
	s_mul_hi_u32 s49, s44, s47
	s_mul_i32 s48, s44, s47
	s_mul_hi_u32 s16, s44, s46
	s_mul_i32 s37, s45, s46
	s_add_nc_u64 s[48:49], s[16:17], s[48:49]
	s_mul_hi_u32 s3, s45, s46
	s_mul_hi_u32 s50, s45, s47
	s_add_co_u32 s16, s48, s37
	s_add_co_ci_u32 s16, s49, s3
	s_mul_i32 s46, s45, s47
	s_add_co_ci_u32 s47, s50, 0
	s_delay_alu instid0(SALU_CYCLE_1) | instskip(NEXT) | instid1(SALU_CYCLE_1)
	s_add_nc_u64 s[46:47], s[16:17], s[46:47]
	s_add_co_u32 s44, s44, s46
	s_cselect_b32 s3, -1, 0
	v_mul_hi_u32 v26, v18, s44
	s_cmp_lg_u32 s3, 0
	s_add_co_ci_u32 s16, s45, s47
	s_and_b64 s[46:47], s[44:45], s[24:25]
	v_mul_u64_e32 v[20:21], s[16:17], v[18:19]
	v_mul_u64_e32 v[16:17], s[46:47], v[22:23]
	;; [unrolled: 1-line block ×3, first 2 shown]
	s_delay_alu instid0(VALU_DEP_3) | instskip(NEXT) | instid1(VALU_DEP_1)
	v_add_nc_u64_e32 v[20:21], v[26:27], v[20:21]
	v_add_co_u32 v7, vcc_lo, v20, v16
	s_delay_alu instid0(VALU_DEP_2) | instskip(NEXT) | instid1(VALU_DEP_4)
	v_add_co_ci_u32_e32 v26, vcc_lo, v21, v17, vcc_lo
	v_add_co_ci_u32_e32 v25, vcc_lo, 0, v25, vcc_lo
	s_delay_alu instid0(VALU_DEP_1) | instskip(NEXT) | instid1(VALU_DEP_1)
	v_add_nc_u64_e32 v[16:17], v[26:27], v[24:25]
	v_mul_u64_e32 v[20:21], s[38:39], v[16:17]
	s_delay_alu instid0(VALU_DEP_1) | instskip(NEXT) | instid1(VALU_DEP_2)
	v_sub_nc_u32_e32 v7, v22, v21
	v_sub_co_u32 v15, vcc_lo, v18, v20
	s_delay_alu instid0(VALU_DEP_1) | instskip(NEXT) | instid1(VALU_DEP_3)
	v_sub_co_ci_u32_e64 v22, null, v22, v21, vcc_lo
	v_subrev_co_ci_u32_e64 v7, null, s39, v7, vcc_lo
	s_delay_alu instid0(VALU_DEP_3) | instskip(SKIP_1) | instid1(VALU_DEP_3)
	v_sub_co_u32 v18, s3, v15, s38
	v_add_nc_u64_e32 v[20:21], 1, v[16:17]
	v_subrev_co_ci_u32_e64 v7, null, 0, v7, s3
	s_delay_alu instid0(VALU_DEP_3) | instskip(SKIP_1) | instid1(VALU_DEP_3)
	v_cmp_le_u32_e32 vcc_lo, s38, v18
	v_cndmask_b32_e64 v18, 0, -1, vcc_lo
	v_cmp_le_u32_e32 vcc_lo, s39, v7
	v_cndmask_b32_e64 v19, 0, -1, vcc_lo
	;; [unrolled: 2-line block ×4, first 2 shown]
	v_cmp_eq_u32_e32 vcc_lo, s39, v7
	v_cndmask_b32_e32 v7, v19, v18, vcc_lo
	v_cmp_eq_u32_e32 vcc_lo, s39, v22
	v_add_nc_u64_e32 v[18:19], 2, v[16:17]
	v_cndmask_b32_e32 v15, v23, v15, vcc_lo
	s_delay_alu instid0(VALU_DEP_4) | instskip(NEXT) | instid1(VALU_DEP_2)
	v_cmp_ne_u32_e32 vcc_lo, 0, v7
	v_cmp_ne_u32_e64 s3, 0, v15
	s_delay_alu instid0(VALU_DEP_4) | instskip(NEXT) | instid1(VALU_DEP_1)
	v_dual_cndmask_b32 v7, v21, v19, vcc_lo :: v_dual_cndmask_b32 v15, v20, v18, vcc_lo
	v_dual_cndmask_b32 v7, v17, v7, s3 :: v_dual_bitop2_b32 v14, s36, v14 bitop3:0x14
	s_delay_alu instid0(VALU_DEP_1) | instskip(NEXT) | instid1(VALU_DEP_2)
	v_dual_cndmask_b32 v16, v16, v15, s3 :: v_dual_mov_b32 v15, v14
	v_xor_b32_e32 v17, v7, v14
	s_delay_alu instid0(VALU_DEP_2) | instskip(NEXT) | instid1(VALU_DEP_1)
	v_xor_b32_e32 v16, v16, v14
	v_sub_nc_u64_e32 v[14:15], v[16:17], v[14:15]
.LBB2_19:                               ;   in Loop: Header=BB2_17 Depth=2
	s_and_not1_saveexec_b32 s3, s43
	s_cbranch_execz .LBB2_21
; %bb.20:                               ;   in Loop: Header=BB2_17 Depth=2
	v_cvt_f32_u32_e32 v7, s34
	s_sub_co_i32 s16, 0, s34
	s_delay_alu instid0(VALU_DEP_1) | instskip(SKIP_1) | instid1(TRANS32_DEP_1)
	v_rcp_iflag_f32_e32 v7, v7
	v_nop
	v_mul_f32_e32 v7, 0x4f7ffffe, v7
	s_delay_alu instid0(VALU_DEP_1) | instskip(NEXT) | instid1(VALU_DEP_1)
	v_cvt_u32_f32_e32 v7, v7
	v_mul_lo_u32 v14, s16, v7
	s_delay_alu instid0(VALU_DEP_1) | instskip(NEXT) | instid1(VALU_DEP_1)
	v_mul_hi_u32 v14, v7, v14
	v_add_nc_u32_e32 v7, v7, v14
	s_delay_alu instid0(VALU_DEP_1) | instskip(NEXT) | instid1(VALU_DEP_1)
	v_mul_hi_u32 v7, v12, v7
	v_mul_lo_u32 v14, v7, s34
	s_delay_alu instid0(VALU_DEP_1) | instskip(NEXT) | instid1(VALU_DEP_1)
	v_dual_add_nc_u32 v15, 1, v7 :: v_dual_sub_nc_u32 v14, v12, v14
	v_subrev_nc_u32_e32 v16, s34, v14
	v_cmp_le_u32_e32 vcc_lo, s34, v14
	s_delay_alu instid0(VALU_DEP_2) | instskip(NEXT) | instid1(VALU_DEP_1)
	v_dual_cndmask_b32 v14, v14, v16 :: v_dual_cndmask_b32 v7, v7, v15
	v_cmp_le_u32_e32 vcc_lo, s34, v14
	s_delay_alu instid0(VALU_DEP_2) | instskip(NEXT) | instid1(VALU_DEP_1)
	v_add_nc_u32_e32 v15, 1, v7
	v_dual_cndmask_b32 v14, v7, v15 :: v_dual_mov_b32 v15, v6
.LBB2_21:                               ;   in Loop: Header=BB2_17 Depth=2
	s_or_b32 exec_lo, exec_lo, s3
	s_delay_alu instid0(VALU_DEP_1)
	v_mul_u64_e32 v[16:17], s[34:35], v[14:15]
	s_load_b64 s[34:35], s[30:31], 0xc8
	s_add_co_i32 s29, s29, -1
	s_wait_xcnt 0x0
	s_add_nc_u64 s[30:31], s[30:31], -8
	s_cmp_gt_u32 s29, 2
	s_delay_alu instid0(VALU_DEP_1) | instskip(SKIP_1) | instid1(VALU_DEP_1)
	v_sub_nc_u64_e32 v[12:13], v[12:13], v[16:17]
	s_wait_kmcnt 0x0
	v_mad_nc_u64_u32 v[10:11], s34, v12, v[10:11]
	s_delay_alu instid0(VALU_DEP_1) | instskip(NEXT) | instid1(VALU_DEP_1)
	v_mad_u32 v7, s35, v12, v11
	v_mad_u32 v11, s34, v13, v7
	s_cbranch_scc0 .LBB2_23
; %bb.22:                               ;   in Loop: Header=BB2_17 Depth=2
	v_mov_b64_e32 v[12:13], v[14:15]
	s_branch .LBB2_17
.LBB2_23:                               ;   in Loop: Header=BB2_16 Depth=1
	s_delay_alu instid0(VALU_DEP_1) | instskip(NEXT) | instid1(VALU_DEP_1)
	v_mad_nc_u64_u32 v[12:13], s18, v14, s[20:21]
	v_mad_u32 v7, s19, v14, v13
	s_delay_alu instid0(VALU_DEP_1) | instskip(NEXT) | instid1(VALU_DEP_1)
	v_mad_u32 v13, s18, v15, v7
	v_add_nc_u64_e32 v[10:11], v[12:13], v[10:11]
	global_load_u8 v7, v[10:11], off
	s_wait_xcnt 0x0
	v_mov_b32_e32 v11, s17
	s_wait_loadcnt 0x0
	v_and_b32_e32 v10, 0xffff, v7
	s_delay_alu instid0(VALU_DEP_1) | instskip(SKIP_2) | instid1(SALU_CYCLE_1)
	v_cmp_le_i64_e32 vcc_lo, s[6:7], v[10:11]
	v_cmp_ge_i64_e64 s3, s[8:9], v[10:11]
	s_and_b32 s3, vcc_lo, s3
	s_and_saveexec_b32 s34, s3
	s_cbranch_execz .LBB2_15
; %bb.24:                               ;   in Loop: Header=BB2_16 Depth=1
	v_sub_nc_u64_e64 v[10:11], v[10:11], s[6:7]
                                        ; implicit-def: $vgpr12_vgpr13
	s_mov_b32 s3, exec_lo
	s_delay_alu instid0(VALU_DEP_1) | instskip(NEXT) | instid1(VALU_DEP_1)
	v_mul_u64_e32 v[10:11], s[4:5], v[10:11]
	v_or_b32_e32 v7, s23, v11
	s_delay_alu instid0(VALU_DEP_1)
	v_cmpx_ne_u64_e32 0, v[6:7]
	s_xor_b32 s35, exec_lo, s3
	s_cbranch_execz .LBB2_26
; %bb.25:                               ;   in Loop: Header=BB2_16 Depth=1
	s_mov_b32 s29, s28
	v_dual_mov_b32 v15, v6 :: v_dual_ashrrev_i32 v12, 31, v11
	s_add_nc_u64 s[30:31], s[22:23], s[28:29]
	v_mov_b32_e32 v23, v6
	s_xor_b64 s[30:31], s[30:31], s[28:29]
	s_delay_alu instid0(VALU_DEP_2) | instskip(SKIP_3) | instid1(VALU_DEP_1)
	v_mov_b32_e32 v13, v12
	s_cvt_f32_u32 s3, s30
	s_cvt_f32_u32 s16, s31
	s_sub_nc_u64 s[38:39], 0, s[30:31]
	v_add_nc_u64_e32 v[10:11], v[10:11], v[12:13]
	s_delay_alu instid0(SALU_CYCLE_1) | instskip(SKIP_1) | instid1(SALU_CYCLE_2)
	s_fmamk_f32 s3, s16, 0x4f800000, s3
	v_mov_b32_e32 v19, v6
	v_s_rcp_f32 s3, s3
	s_delay_alu instid0(VALU_DEP_2) | instskip(NEXT) | instid1(VALU_DEP_3)
	v_xor_b32_e32 v14, v10, v12
	v_xor_b32_e32 v18, v11, v12
	s_delay_alu instid0(TRANS32_DEP_1) | instskip(NEXT) | instid1(SALU_CYCLE_3)
	s_mul_f32 s3, s3, 0x5f7ffffc
	s_mul_f32 s16, s3, 0x2f800000
	s_delay_alu instid0(SALU_CYCLE_3) | instskip(NEXT) | instid1(SALU_CYCLE_3)
	s_trunc_f32 s16, s16
	s_fmamk_f32 s3, s16, 0xcf800000, s3
	s_cvt_u32_f32 s37, s16
	s_delay_alu instid0(SALU_CYCLE_2) | instskip(NEXT) | instid1(SALU_CYCLE_3)
	s_cvt_u32_f32 s36, s3
	s_mul_u64 s[44:45], s[38:39], s[36:37]
	s_delay_alu instid0(SALU_CYCLE_1)
	s_mul_hi_u32 s47, s36, s45
	s_mul_i32 s46, s36, s45
	s_mul_hi_u32 s16, s36, s44
	s_mul_i32 s29, s37, s44
	s_add_nc_u64 s[46:47], s[16:17], s[46:47]
	s_mul_hi_u32 s3, s37, s44
	s_mul_hi_u32 s43, s37, s45
	s_add_co_u32 s16, s46, s29
	s_add_co_ci_u32 s16, s47, s3
	s_mul_i32 s44, s37, s45
	s_add_co_ci_u32 s45, s43, 0
	s_delay_alu instid0(SALU_CYCLE_1) | instskip(NEXT) | instid1(SALU_CYCLE_1)
	s_add_nc_u64 s[44:45], s[16:17], s[44:45]
	s_add_co_u32 s36, s36, s44
	s_cselect_b32 s3, -1, 0
	s_delay_alu instid0(SALU_CYCLE_1) | instskip(SKIP_1) | instid1(SALU_CYCLE_1)
	s_cmp_lg_u32 s3, 0
	s_add_co_ci_u32 s37, s37, s45
	s_mul_u64 s[38:39], s[38:39], s[36:37]
	s_delay_alu instid0(SALU_CYCLE_1)
	s_mul_hi_u32 s45, s36, s39
	s_mul_i32 s44, s36, s39
	s_mul_hi_u32 s16, s36, s38
	s_mul_i32 s29, s37, s38
	s_add_nc_u64 s[44:45], s[16:17], s[44:45]
	s_mul_hi_u32 s3, s37, s38
	s_mul_hi_u32 s43, s37, s39
	s_add_co_u32 s16, s44, s29
	s_add_co_ci_u32 s16, s45, s3
	s_mul_i32 s38, s37, s39
	s_add_co_ci_u32 s39, s43, 0
	s_delay_alu instid0(SALU_CYCLE_1) | instskip(NEXT) | instid1(SALU_CYCLE_1)
	s_add_nc_u64 s[38:39], s[16:17], s[38:39]
	s_add_co_u32 s36, s36, s38
	s_cselect_b32 s3, -1, 0
	v_mul_hi_u32 v22, v14, s36
	s_cmp_lg_u32 s3, 0
	s_add_co_ci_u32 s16, s37, s39
	s_and_b64 s[38:39], s[36:37], s[24:25]
	v_mul_u64_e32 v[16:17], s[16:17], v[14:15]
	v_mul_u64_e32 v[10:11], s[38:39], v[18:19]
	;; [unrolled: 1-line block ×3, first 2 shown]
	s_delay_alu instid0(VALU_DEP_3) | instskip(NEXT) | instid1(VALU_DEP_1)
	v_add_nc_u64_e32 v[16:17], v[22:23], v[16:17]
	v_add_co_u32 v7, vcc_lo, v16, v10
	s_delay_alu instid0(VALU_DEP_2) | instskip(NEXT) | instid1(VALU_DEP_4)
	v_add_co_ci_u32_e32 v22, vcc_lo, v17, v11, vcc_lo
	v_add_co_ci_u32_e32 v21, vcc_lo, 0, v21, vcc_lo
	s_delay_alu instid0(VALU_DEP_1) | instskip(NEXT) | instid1(VALU_DEP_1)
	v_add_nc_u64_e32 v[10:11], v[22:23], v[20:21]
	v_mul_u64_e32 v[16:17], s[30:31], v[10:11]
	s_delay_alu instid0(VALU_DEP_1) | instskip(NEXT) | instid1(VALU_DEP_2)
	v_sub_nc_u32_e32 v7, v18, v17
	v_sub_co_u32 v13, vcc_lo, v14, v16
	s_delay_alu instid0(VALU_DEP_1) | instskip(NEXT) | instid1(VALU_DEP_3)
	v_sub_co_ci_u32_e64 v18, null, v18, v17, vcc_lo
	v_subrev_co_ci_u32_e64 v7, null, s31, v7, vcc_lo
	s_delay_alu instid0(VALU_DEP_3) | instskip(SKIP_1) | instid1(VALU_DEP_3)
	v_sub_co_u32 v14, s3, v13, s30
	v_add_nc_u64_e32 v[16:17], 1, v[10:11]
	v_subrev_co_ci_u32_e64 v7, null, 0, v7, s3
	s_delay_alu instid0(VALU_DEP_3) | instskip(SKIP_1) | instid1(VALU_DEP_3)
	v_cmp_le_u32_e32 vcc_lo, s30, v14
	v_cndmask_b32_e64 v14, 0, -1, vcc_lo
	v_cmp_le_u32_e32 vcc_lo, s31, v7
	v_cndmask_b32_e64 v15, 0, -1, vcc_lo
	;; [unrolled: 2-line block ×4, first 2 shown]
	v_cmp_eq_u32_e32 vcc_lo, s31, v7
	v_cndmask_b32_e32 v7, v15, v14, vcc_lo
	v_cmp_eq_u32_e32 vcc_lo, s31, v18
	v_add_nc_u64_e32 v[14:15], 2, v[10:11]
	v_cndmask_b32_e32 v13, v19, v13, vcc_lo
	s_delay_alu instid0(VALU_DEP_4) | instskip(NEXT) | instid1(VALU_DEP_3)
	v_cmp_ne_u32_e32 vcc_lo, 0, v7
	v_cndmask_b32_e32 v7, v17, v15, vcc_lo
	s_delay_alu instid0(VALU_DEP_3) | instskip(SKIP_1) | instid1(VALU_DEP_1)
	v_cmp_ne_u32_e64 s3, 0, v13
	v_dual_cndmask_b32 v13, v16, v14, vcc_lo :: v_dual_bitop2_b32 v12, s28, v12 bitop3:0x14
	v_dual_cndmask_b32 v7, v11, v7, s3 :: v_dual_cndmask_b32 v10, v10, v13, s3
	s_delay_alu instid0(VALU_DEP_1) | instskip(NEXT) | instid1(VALU_DEP_2)
	v_dual_mov_b32 v13, v12 :: v_dual_bitop2_b32 v11, v7, v12 bitop3:0x14
	v_xor_b32_e32 v10, v10, v12
	s_delay_alu instid0(VALU_DEP_1)
	v_sub_nc_u64_e32 v[12:13], v[10:11], v[12:13]
                                        ; implicit-def: $vgpr10_vgpr11
.LBB2_26:                               ;   in Loop: Header=BB2_16 Depth=1
	s_and_not1_saveexec_b32 s3, s35
	s_cbranch_execz .LBB2_14
; %bb.27:                               ;   in Loop: Header=BB2_16 Depth=1
	v_cvt_f32_u32_e32 v7, s22
	s_sub_co_i32 s16, 0, s22
	s_delay_alu instid0(VALU_DEP_1) | instskip(SKIP_1) | instid1(TRANS32_DEP_1)
	v_rcp_iflag_f32_e32 v7, v7
	v_nop
	v_mul_f32_e32 v7, 0x4f7ffffe, v7
	s_delay_alu instid0(VALU_DEP_1) | instskip(NEXT) | instid1(VALU_DEP_1)
	v_cvt_u32_f32_e32 v7, v7
	v_mul_lo_u32 v11, s16, v7
	s_delay_alu instid0(VALU_DEP_1) | instskip(NEXT) | instid1(VALU_DEP_1)
	v_mul_hi_u32 v11, v7, v11
	v_add_nc_u32_e32 v7, v7, v11
	s_delay_alu instid0(VALU_DEP_1) | instskip(NEXT) | instid1(VALU_DEP_1)
	v_mul_hi_u32 v7, v10, v7
	v_mul_lo_u32 v11, v7, s22
	s_delay_alu instid0(VALU_DEP_1) | instskip(SKIP_1) | instid1(VALU_DEP_2)
	v_sub_nc_u32_e32 v10, v10, v11
	v_add_nc_u32_e32 v11, 1, v7
	v_subrev_nc_u32_e32 v12, s22, v10
	v_cmp_le_u32_e32 vcc_lo, s22, v10
	s_delay_alu instid0(VALU_DEP_2) | instskip(NEXT) | instid1(VALU_DEP_1)
	v_dual_cndmask_b32 v10, v10, v12 :: v_dual_cndmask_b32 v7, v7, v11
	v_cmp_le_u32_e32 vcc_lo, s22, v10
	s_delay_alu instid0(VALU_DEP_2) | instskip(NEXT) | instid1(VALU_DEP_1)
	v_add_nc_u32_e32 v11, 1, v7
	v_cndmask_b32_e32 v12, v7, v11, vcc_lo
	s_branch .LBB2_14
.LBB2_28:
	s_or_b32 exec_lo, exec_lo, s33
	s_load_b64 s[0:1], s[0:1], 0xd0
; %bb.29:
	s_wait_dscnt 0x0
	s_barrier_signal -1
	s_barrier_wait -1
	s_and_saveexec_b32 s3, s2
	s_cbranch_execz .LBB2_32
; %bb.30:
	v_dual_mov_b32 v3, 0 :: v_dual_lshlrev_b32 v9, 2, v2
	s_wait_kmcnt 0x0
	v_mul_u64_e32 v[4:5], s[0:1], v[0:1]
	v_lshl_add_u32 v8, v0, 2, 0
	s_delay_alu instid0(VALU_DEP_3) | instskip(SKIP_1) | instid1(VALU_DEP_3)
	v_mul_u64_e32 v[6:7], s[0:1], v[2:3]
	s_mov_b32 s0, 0
	v_lshl_add_u64 v[4:5], v[4:5], 2, s[12:13]
	s_delay_alu instid0(VALU_DEP_2)
	v_lshlrev_b64_e32 v[6:7], 2, v[6:7]
.LBB2_31:                               ; =>This Inner Loop Header: Depth=1
	ds_load_b32 v10, v8
	v_add_nc_u64_e32 v[0:1], v[0:1], v[2:3]
	v_add_nc_u32_e32 v8, v8, v9
	s_delay_alu instid0(VALU_DEP_2)
	v_cmp_le_i64_e32 vcc_lo, s[14:15], v[0:1]
	s_or_b32 s0, vcc_lo, s0
	s_wait_dscnt 0x0
	global_atomic_add_f32 v[4:5], v10, off scope:SCOPE_DEV
	s_wait_xcnt 0x0
	v_add_nc_u64_e32 v[4:5], v[4:5], v[6:7]
	s_and_not1_b32 exec_lo, exec_lo, s0
	s_cbranch_execnz .LBB2_31
.LBB2_32:
	s_endpgm
	.section	.rodata,"a",@progbits
	.p2align	6, 0x0
	.amdhsa_kernel _ZN2at4cuda17kernelHistogram1DIfhlLi1ELi2ELin1ELNS0_23CUDAHistogramMemoryTypeE0EZNS0_21CUDA_tensor_histogramIfhLb1EEEbNS_6TensorES4_S4_lNS_14AccumulateTypeIT0_Lb1EE4typeES8_NS0_13TensorArgTypeES9_S9_EUllE0_EEvNS0_6detail10TensorInfoIT_T1_EESF_NSC_IKS6_SE_EElS8_S8_SE_T6_
		.amdhsa_group_segment_fixed_size 0
		.amdhsa_private_segment_fixed_size 0
		.amdhsa_kernarg_size 1544
		.amdhsa_user_sgpr_count 2
		.amdhsa_user_sgpr_dispatch_ptr 0
		.amdhsa_user_sgpr_queue_ptr 0
		.amdhsa_user_sgpr_kernarg_segment_ptr 1
		.amdhsa_user_sgpr_dispatch_id 0
		.amdhsa_user_sgpr_kernarg_preload_length 0
		.amdhsa_user_sgpr_kernarg_preload_offset 0
		.amdhsa_user_sgpr_private_segment_size 0
		.amdhsa_wavefront_size32 1
		.amdhsa_uses_dynamic_stack 0
		.amdhsa_enable_private_segment 0
		.amdhsa_system_sgpr_workgroup_id_x 1
		.amdhsa_system_sgpr_workgroup_id_y 0
		.amdhsa_system_sgpr_workgroup_id_z 0
		.amdhsa_system_sgpr_workgroup_info 0
		.amdhsa_system_vgpr_workitem_id 0
		.amdhsa_next_free_vgpr 28
		.amdhsa_next_free_sgpr 53
		.amdhsa_named_barrier_count 0
		.amdhsa_reserve_vcc 1
		.amdhsa_float_round_mode_32 0
		.amdhsa_float_round_mode_16_64 0
		.amdhsa_float_denorm_mode_32 3
		.amdhsa_float_denorm_mode_16_64 3
		.amdhsa_fp16_overflow 0
		.amdhsa_memory_ordered 1
		.amdhsa_forward_progress 1
		.amdhsa_inst_pref_size 20
		.amdhsa_round_robin_scheduling 0
		.amdhsa_exception_fp_ieee_invalid_op 0
		.amdhsa_exception_fp_denorm_src 0
		.amdhsa_exception_fp_ieee_div_zero 0
		.amdhsa_exception_fp_ieee_overflow 0
		.amdhsa_exception_fp_ieee_underflow 0
		.amdhsa_exception_fp_ieee_inexact 0
		.amdhsa_exception_int_div_zero 0
	.end_amdhsa_kernel
	.section	.text._ZN2at4cuda17kernelHistogram1DIfhlLi1ELi2ELin1ELNS0_23CUDAHistogramMemoryTypeE0EZNS0_21CUDA_tensor_histogramIfhLb1EEEbNS_6TensorES4_S4_lNS_14AccumulateTypeIT0_Lb1EE4typeES8_NS0_13TensorArgTypeES9_S9_EUllE0_EEvNS0_6detail10TensorInfoIT_T1_EESF_NSC_IKS6_SE_EElS8_S8_SE_T6_,"axG",@progbits,_ZN2at4cuda17kernelHistogram1DIfhlLi1ELi2ELin1ELNS0_23CUDAHistogramMemoryTypeE0EZNS0_21CUDA_tensor_histogramIfhLb1EEEbNS_6TensorES4_S4_lNS_14AccumulateTypeIT0_Lb1EE4typeES8_NS0_13TensorArgTypeES9_S9_EUllE0_EEvNS0_6detail10TensorInfoIT_T1_EESF_NSC_IKS6_SE_EElS8_S8_SE_T6_,comdat
.Lfunc_end2:
	.size	_ZN2at4cuda17kernelHistogram1DIfhlLi1ELi2ELin1ELNS0_23CUDAHistogramMemoryTypeE0EZNS0_21CUDA_tensor_histogramIfhLb1EEEbNS_6TensorES4_S4_lNS_14AccumulateTypeIT0_Lb1EE4typeES8_NS0_13TensorArgTypeES9_S9_EUllE0_EEvNS0_6detail10TensorInfoIT_T1_EESF_NSC_IKS6_SE_EElS8_S8_SE_T6_, .Lfunc_end2-_ZN2at4cuda17kernelHistogram1DIfhlLi1ELi2ELin1ELNS0_23CUDAHistogramMemoryTypeE0EZNS0_21CUDA_tensor_histogramIfhLb1EEEbNS_6TensorES4_S4_lNS_14AccumulateTypeIT0_Lb1EE4typeES8_NS0_13TensorArgTypeES9_S9_EUllE0_EEvNS0_6detail10TensorInfoIT_T1_EESF_NSC_IKS6_SE_EElS8_S8_SE_T6_
                                        ; -- End function
	.set _ZN2at4cuda17kernelHistogram1DIfhlLi1ELi2ELin1ELNS0_23CUDAHistogramMemoryTypeE0EZNS0_21CUDA_tensor_histogramIfhLb1EEEbNS_6TensorES4_S4_lNS_14AccumulateTypeIT0_Lb1EE4typeES8_NS0_13TensorArgTypeES9_S9_EUllE0_EEvNS0_6detail10TensorInfoIT_T1_EESF_NSC_IKS6_SE_EElS8_S8_SE_T6_.num_vgpr, 28
	.set _ZN2at4cuda17kernelHistogram1DIfhlLi1ELi2ELin1ELNS0_23CUDAHistogramMemoryTypeE0EZNS0_21CUDA_tensor_histogramIfhLb1EEEbNS_6TensorES4_S4_lNS_14AccumulateTypeIT0_Lb1EE4typeES8_NS0_13TensorArgTypeES9_S9_EUllE0_EEvNS0_6detail10TensorInfoIT_T1_EESF_NSC_IKS6_SE_EElS8_S8_SE_T6_.num_agpr, 0
	.set _ZN2at4cuda17kernelHistogram1DIfhlLi1ELi2ELin1ELNS0_23CUDAHistogramMemoryTypeE0EZNS0_21CUDA_tensor_histogramIfhLb1EEEbNS_6TensorES4_S4_lNS_14AccumulateTypeIT0_Lb1EE4typeES8_NS0_13TensorArgTypeES9_S9_EUllE0_EEvNS0_6detail10TensorInfoIT_T1_EESF_NSC_IKS6_SE_EElS8_S8_SE_T6_.numbered_sgpr, 53
	.set _ZN2at4cuda17kernelHistogram1DIfhlLi1ELi2ELin1ELNS0_23CUDAHistogramMemoryTypeE0EZNS0_21CUDA_tensor_histogramIfhLb1EEEbNS_6TensorES4_S4_lNS_14AccumulateTypeIT0_Lb1EE4typeES8_NS0_13TensorArgTypeES9_S9_EUllE0_EEvNS0_6detail10TensorInfoIT_T1_EESF_NSC_IKS6_SE_EElS8_S8_SE_T6_.num_named_barrier, 0
	.set _ZN2at4cuda17kernelHistogram1DIfhlLi1ELi2ELin1ELNS0_23CUDAHistogramMemoryTypeE0EZNS0_21CUDA_tensor_histogramIfhLb1EEEbNS_6TensorES4_S4_lNS_14AccumulateTypeIT0_Lb1EE4typeES8_NS0_13TensorArgTypeES9_S9_EUllE0_EEvNS0_6detail10TensorInfoIT_T1_EESF_NSC_IKS6_SE_EElS8_S8_SE_T6_.private_seg_size, 0
	.set _ZN2at4cuda17kernelHistogram1DIfhlLi1ELi2ELin1ELNS0_23CUDAHistogramMemoryTypeE0EZNS0_21CUDA_tensor_histogramIfhLb1EEEbNS_6TensorES4_S4_lNS_14AccumulateTypeIT0_Lb1EE4typeES8_NS0_13TensorArgTypeES9_S9_EUllE0_EEvNS0_6detail10TensorInfoIT_T1_EESF_NSC_IKS6_SE_EElS8_S8_SE_T6_.uses_vcc, 1
	.set _ZN2at4cuda17kernelHistogram1DIfhlLi1ELi2ELin1ELNS0_23CUDAHistogramMemoryTypeE0EZNS0_21CUDA_tensor_histogramIfhLb1EEEbNS_6TensorES4_S4_lNS_14AccumulateTypeIT0_Lb1EE4typeES8_NS0_13TensorArgTypeES9_S9_EUllE0_EEvNS0_6detail10TensorInfoIT_T1_EESF_NSC_IKS6_SE_EElS8_S8_SE_T6_.uses_flat_scratch, 0
	.set _ZN2at4cuda17kernelHistogram1DIfhlLi1ELi2ELin1ELNS0_23CUDAHistogramMemoryTypeE0EZNS0_21CUDA_tensor_histogramIfhLb1EEEbNS_6TensorES4_S4_lNS_14AccumulateTypeIT0_Lb1EE4typeES8_NS0_13TensorArgTypeES9_S9_EUllE0_EEvNS0_6detail10TensorInfoIT_T1_EESF_NSC_IKS6_SE_EElS8_S8_SE_T6_.has_dyn_sized_stack, 0
	.set _ZN2at4cuda17kernelHistogram1DIfhlLi1ELi2ELin1ELNS0_23CUDAHistogramMemoryTypeE0EZNS0_21CUDA_tensor_histogramIfhLb1EEEbNS_6TensorES4_S4_lNS_14AccumulateTypeIT0_Lb1EE4typeES8_NS0_13TensorArgTypeES9_S9_EUllE0_EEvNS0_6detail10TensorInfoIT_T1_EESF_NSC_IKS6_SE_EElS8_S8_SE_T6_.has_recursion, 0
	.set _ZN2at4cuda17kernelHistogram1DIfhlLi1ELi2ELin1ELNS0_23CUDAHistogramMemoryTypeE0EZNS0_21CUDA_tensor_histogramIfhLb1EEEbNS_6TensorES4_S4_lNS_14AccumulateTypeIT0_Lb1EE4typeES8_NS0_13TensorArgTypeES9_S9_EUllE0_EEvNS0_6detail10TensorInfoIT_T1_EESF_NSC_IKS6_SE_EElS8_S8_SE_T6_.has_indirect_call, 0
	.section	.AMDGPU.csdata,"",@progbits
; Kernel info:
; codeLenInByte = 2500
; TotalNumSgprs: 55
; NumVgprs: 28
; ScratchSize: 0
; MemoryBound: 0
; FloatMode: 240
; IeeeMode: 1
; LDSByteSize: 0 bytes/workgroup (compile time only)
; SGPRBlocks: 0
; VGPRBlocks: 1
; NumSGPRsForWavesPerEU: 55
; NumVGPRsForWavesPerEU: 28
; NamedBarCnt: 0
; Occupancy: 16
; WaveLimiterHint : 1
; COMPUTE_PGM_RSRC2:SCRATCH_EN: 0
; COMPUTE_PGM_RSRC2:USER_SGPR: 2
; COMPUTE_PGM_RSRC2:TRAP_HANDLER: 0
; COMPUTE_PGM_RSRC2:TGID_X_EN: 1
; COMPUTE_PGM_RSRC2:TGID_Y_EN: 0
; COMPUTE_PGM_RSRC2:TGID_Z_EN: 0
; COMPUTE_PGM_RSRC2:TIDIG_COMP_CNT: 0
	.section	.text._ZN2at4cuda17kernelHistogram1DIfhlLi1ELi2ELin1ELNS0_23CUDAHistogramMemoryTypeE1EZNS0_21CUDA_tensor_histogramIfhLb1EEEbNS_6TensorES4_S4_lNS_14AccumulateTypeIT0_Lb1EE4typeES8_NS0_13TensorArgTypeES9_S9_EUllE0_EEvNS0_6detail10TensorInfoIT_T1_EESF_NSC_IKS6_SE_EElS8_S8_SE_T6_,"axG",@progbits,_ZN2at4cuda17kernelHistogram1DIfhlLi1ELi2ELin1ELNS0_23CUDAHistogramMemoryTypeE1EZNS0_21CUDA_tensor_histogramIfhLb1EEEbNS_6TensorES4_S4_lNS_14AccumulateTypeIT0_Lb1EE4typeES8_NS0_13TensorArgTypeES9_S9_EUllE0_EEvNS0_6detail10TensorInfoIT_T1_EESF_NSC_IKS6_SE_EElS8_S8_SE_T6_,comdat
	.protected	_ZN2at4cuda17kernelHistogram1DIfhlLi1ELi2ELin1ELNS0_23CUDAHistogramMemoryTypeE1EZNS0_21CUDA_tensor_histogramIfhLb1EEEbNS_6TensorES4_S4_lNS_14AccumulateTypeIT0_Lb1EE4typeES8_NS0_13TensorArgTypeES9_S9_EUllE0_EEvNS0_6detail10TensorInfoIT_T1_EESF_NSC_IKS6_SE_EElS8_S8_SE_T6_ ; -- Begin function _ZN2at4cuda17kernelHistogram1DIfhlLi1ELi2ELin1ELNS0_23CUDAHistogramMemoryTypeE1EZNS0_21CUDA_tensor_histogramIfhLb1EEEbNS_6TensorES4_S4_lNS_14AccumulateTypeIT0_Lb1EE4typeES8_NS0_13TensorArgTypeES9_S9_EUllE0_EEvNS0_6detail10TensorInfoIT_T1_EESF_NSC_IKS6_SE_EElS8_S8_SE_T6_
	.globl	_ZN2at4cuda17kernelHistogram1DIfhlLi1ELi2ELin1ELNS0_23CUDAHistogramMemoryTypeE1EZNS0_21CUDA_tensor_histogramIfhLb1EEEbNS_6TensorES4_S4_lNS_14AccumulateTypeIT0_Lb1EE4typeES8_NS0_13TensorArgTypeES9_S9_EUllE0_EEvNS0_6detail10TensorInfoIT_T1_EESF_NSC_IKS6_SE_EElS8_S8_SE_T6_
	.p2align	8
	.type	_ZN2at4cuda17kernelHistogram1DIfhlLi1ELi2ELin1ELNS0_23CUDAHistogramMemoryTypeE1EZNS0_21CUDA_tensor_histogramIfhLb1EEEbNS_6TensorES4_S4_lNS_14AccumulateTypeIT0_Lb1EE4typeES8_NS0_13TensorArgTypeES9_S9_EUllE0_EEvNS0_6detail10TensorInfoIT_T1_EESF_NSC_IKS6_SE_EElS8_S8_SE_T6_,@function
_ZN2at4cuda17kernelHistogram1DIfhlLi1ELi2ELin1ELNS0_23CUDAHistogramMemoryTypeE1EZNS0_21CUDA_tensor_histogramIfhLb1EEEbNS_6TensorES4_S4_lNS_14AccumulateTypeIT0_Lb1EE4typeES8_NS0_13TensorArgTypeES9_S9_EUllE0_EEvNS0_6detail10TensorInfoIT_T1_EESF_NSC_IKS6_SE_EElS8_S8_SE_T6_: ; @_ZN2at4cuda17kernelHistogram1DIfhlLi1ELi2ELin1ELNS0_23CUDAHistogramMemoryTypeE1EZNS0_21CUDA_tensor_histogramIfhLb1EEEbNS_6TensorES4_S4_lNS_14AccumulateTypeIT0_Lb1EE4typeES8_NS0_13TensorArgTypeES9_S9_EUllE0_EEvNS0_6detail10TensorInfoIT_T1_EESF_NSC_IKS6_SE_EElS8_S8_SE_T6_
; %bb.0:
	s_load_b32 s2, s[0:1], 0x514
	s_bfe_u32 s12, ttmp6, 0x4000c
	s_load_b256 s[4:11], s[0:1], 0x4e0
	s_add_co_i32 s12, s12, 1
	s_and_b32 s3, ttmp6, 15
	s_mul_i32 s12, ttmp9, s12
	s_getreg_b32 s13, hwreg(HW_REG_IB_STS2, 6, 4)
	s_add_co_i32 s3, s3, s12
	v_mov_b32_e32 v2, 0
	s_mov_b32 s12, exec_lo
	s_delay_alu instid0(VALU_DEP_1) | instskip(SKIP_4) | instid1(SALU_CYCLE_1)
	v_mov_b32_e32 v1, v2
	s_wait_kmcnt 0x0
	s_and_b32 s2, s2, 0xffff
	s_cmp_eq_u32 s13, 0
	s_cselect_b32 s3, ttmp9, s3
	v_mad_u32 v0, s3, s2, v0
	s_mov_b32 s3, 0
	s_delay_alu instid0(VALU_DEP_1)
	v_cmpx_gt_i64_e64 s[10:11], v[0:1]
	s_cbranch_execz .LBB3_16
; %bb.1:
	s_load_b32 s28, s[0:1], 0x4d8
	s_add_nc_u64 s[20:21], s[0:1], 0x508
	s_load_b32 s22, s[20:21], 0x0
	s_clause 0x3
	s_load_b64 s[12:13], s[0:1], 0x0
	s_load_b64 s[14:15], s[0:1], 0xd0
	s_load_b64 s[16:17], s[0:1], 0x410
	s_load_b64 s[18:19], s[0:1], 0x340
	s_add_nc_u64 s[26:27], s[0:1], 0x340
	v_mov_b32_e32 v10, 1.0
	s_wait_xcnt 0x0
	s_sub_nc_u64 s[20:21], s[8:9], s[6:7]
	s_mov_b32 s23, s3
	s_mov_b64 s[24:25], 0xffffffff
	s_mov_b32 s40, 0
	s_wait_kmcnt 0x0
	s_mul_i32 s22, s22, s2
	s_cmp_gt_i32 s28, 1
	s_cselect_b32 s1, -1, 0
	s_add_co_i32 s2, s28, -1
	s_add_co_i32 s33, s28, 1
	s_lshl_b64 s[28:29], s[2:3], 3
	s_delay_alu instid0(SALU_CYCLE_1)
	s_add_nc_u64 s[28:29], s[26:27], s[28:29]
	s_ashr_i32 s26, s21, 31
	s_add_nc_u64 s[28:29], s[28:29], 8
	s_branch .LBB3_4
.LBB3_2:                                ;   in Loop: Header=BB3_4 Depth=1
	s_or_b32 exec_lo, exec_lo, s0
	s_delay_alu instid0(VALU_DEP_1) | instskip(NEXT) | instid1(VALU_DEP_1)
	v_dual_ashrrev_i32 v7, 31, v6 :: v_dual_mov_b32 v5, s3
	v_cmp_eq_u64_e32 vcc_lo, s[4:5], v[6:7]
	v_cndmask_b32_e64 v4, 0, 1, vcc_lo
	s_delay_alu instid0(VALU_DEP_1) | instskip(NEXT) | instid1(VALU_DEP_1)
	v_sub_nc_u64_e32 v[4:5], v[6:7], v[4:5]
	v_mul_u64_e32 v[4:5], s[14:15], v[4:5]
	s_delay_alu instid0(VALU_DEP_1)
	v_lshl_add_u64 v[4:5], v[4:5], 2, s[12:13]
	global_atomic_add_f32 v[4:5], v10, off scope:SCOPE_DEV
.LBB3_3:                                ;   in Loop: Header=BB3_4 Depth=1
	s_wait_xcnt 0x0
	s_or_b32 exec_lo, exec_lo, s34
	v_add_nc_u64_e32 v[0:1], s[22:23], v[0:1]
	s_delay_alu instid0(VALU_DEP_1) | instskip(SKIP_1) | instid1(SALU_CYCLE_1)
	v_cmp_le_i64_e32 vcc_lo, s[10:11], v[0:1]
	s_or_b32 s40, vcc_lo, s40
	s_and_not1_b32 exec_lo, exec_lo, s40
	s_cbranch_execz .LBB3_16
.LBB3_4:                                ; =>This Loop Header: Depth=1
                                        ;     Child Loop BB3_5 Depth 2
	v_mov_b64_e32 v[4:5], 0
	v_mov_b64_e32 v[6:7], v[0:1]
	;; [unrolled: 1-line block ×3, first 2 shown]
	s_and_not1_b32 vcc_lo, exec_lo, s1
	s_mov_b64 s[30:31], s[28:29]
	s_mov_b32 s27, s33
	s_cbranch_vccnz .LBB3_11
.LBB3_5:                                ;   Parent Loop BB3_4 Depth=1
                                        ; =>  This Inner Loop Header: Depth=2
	s_load_b64 s[34:35], s[30:31], 0x0
                                        ; implicit-def: $vgpr8_vgpr9
	s_mov_b32 s0, exec_lo
	s_wait_kmcnt 0x0
	s_delay_alu instid0(VALU_DEP_1) | instskip(NEXT) | instid1(VALU_DEP_1)
	v_or_b32_e32 v3, s35, v7
	v_cmpx_ne_u64_e32 0, v[2:3]
	s_xor_b32 s41, exec_lo, s0
	s_cbranch_execz .LBB3_7
; %bb.6:                                ;   in Loop: Header=BB3_5 Depth=2
	s_ashr_i32 s36, s35, 31
	v_dual_mov_b32 v15, v2 :: v_dual_ashrrev_i32 v8, 31, v7
	s_mov_b32 s37, s36
	v_mov_b32_e32 v19, v2
	s_add_nc_u64 s[38:39], s[34:35], s[36:37]
	s_delay_alu instid0(VALU_DEP_2)
	v_mov_b32_e32 v9, v8
	s_xor_b64 s[38:39], s[38:39], s[36:37]
	v_mov_b32_e32 v23, v2
	s_cvt_f32_u32 s0, s38
	s_cvt_f32_u32 s2, s39
	s_sub_nc_u64 s[44:45], 0, s[38:39]
	v_add_nc_u64_e32 v[12:13], v[6:7], v[8:9]
	s_delay_alu instid0(SALU_CYCLE_1) | instskip(NEXT) | instid1(SALU_CYCLE_3)
	s_fmamk_f32 s0, s2, 0x4f800000, s0
	v_s_rcp_f32 s0, s0
	s_delay_alu instid0(VALU_DEP_1) | instskip(NEXT) | instid1(VALU_DEP_2)
	v_xor_b32_e32 v14, v12, v8
	v_xor_b32_e32 v18, v13, v8
	s_delay_alu instid0(TRANS32_DEP_1) | instskip(NEXT) | instid1(SALU_CYCLE_3)
	s_mul_f32 s0, s0, 0x5f7ffffc
	s_mul_f32 s2, s0, 0x2f800000
	s_delay_alu instid0(SALU_CYCLE_3) | instskip(NEXT) | instid1(SALU_CYCLE_3)
	s_trunc_f32 s2, s2
	s_fmamk_f32 s0, s2, 0xcf800000, s0
	s_cvt_u32_f32 s43, s2
	s_delay_alu instid0(SALU_CYCLE_2) | instskip(NEXT) | instid1(SALU_CYCLE_3)
	s_cvt_u32_f32 s42, s0
	s_mul_u64 s[46:47], s[44:45], s[42:43]
	s_delay_alu instid0(SALU_CYCLE_1)
	s_mul_hi_u32 s49, s42, s47
	s_mul_i32 s48, s42, s47
	s_mul_hi_u32 s2, s42, s46
	s_mul_i32 s37, s43, s46
	s_add_nc_u64 s[48:49], s[2:3], s[48:49]
	s_mul_hi_u32 s0, s43, s46
	s_mul_hi_u32 s50, s43, s47
	s_add_co_u32 s2, s48, s37
	s_add_co_ci_u32 s2, s49, s0
	s_mul_i32 s46, s43, s47
	s_add_co_ci_u32 s47, s50, 0
	s_delay_alu instid0(SALU_CYCLE_1) | instskip(NEXT) | instid1(SALU_CYCLE_1)
	s_add_nc_u64 s[46:47], s[2:3], s[46:47]
	s_add_co_u32 s42, s42, s46
	s_cselect_b32 s0, -1, 0
	s_delay_alu instid0(SALU_CYCLE_1) | instskip(SKIP_1) | instid1(SALU_CYCLE_1)
	s_cmp_lg_u32 s0, 0
	s_add_co_ci_u32 s43, s43, s47
	s_mul_u64 s[44:45], s[44:45], s[42:43]
	s_delay_alu instid0(SALU_CYCLE_1)
	s_mul_hi_u32 s47, s42, s45
	s_mul_i32 s46, s42, s45
	s_mul_hi_u32 s2, s42, s44
	s_mul_i32 s37, s43, s44
	s_add_nc_u64 s[46:47], s[2:3], s[46:47]
	s_mul_hi_u32 s0, s43, s44
	s_mul_hi_u32 s48, s43, s45
	s_add_co_u32 s2, s46, s37
	s_add_co_ci_u32 s2, s47, s0
	s_mul_i32 s44, s43, s45
	s_add_co_ci_u32 s45, s48, 0
	s_delay_alu instid0(SALU_CYCLE_1) | instskip(NEXT) | instid1(SALU_CYCLE_1)
	s_add_nc_u64 s[44:45], s[2:3], s[44:45]
	s_add_co_u32 s0, s42, s44
	s_cselect_b32 s2, -1, 0
	v_mul_hi_u32 v22, v14, s0
	s_cmp_lg_u32 s2, 0
	s_add_co_ci_u32 s2, s43, s45
	s_and_b64 s[42:43], s[0:1], s[24:25]
	v_mul_u64_e32 v[16:17], s[2:3], v[14:15]
	v_mul_u64_e32 v[12:13], s[42:43], v[18:19]
	;; [unrolled: 1-line block ×3, first 2 shown]
	s_delay_alu instid0(VALU_DEP_3) | instskip(NEXT) | instid1(VALU_DEP_1)
	v_add_nc_u64_e32 v[16:17], v[22:23], v[16:17]
	v_add_co_u32 v3, vcc_lo, v16, v12
	s_delay_alu instid0(VALU_DEP_2) | instskip(NEXT) | instid1(VALU_DEP_4)
	v_add_co_ci_u32_e32 v22, vcc_lo, v17, v13, vcc_lo
	v_add_co_ci_u32_e32 v21, vcc_lo, 0, v21, vcc_lo
	s_delay_alu instid0(VALU_DEP_1) | instskip(NEXT) | instid1(VALU_DEP_1)
	v_add_nc_u64_e32 v[12:13], v[22:23], v[20:21]
	v_mul_u64_e32 v[16:17], s[38:39], v[12:13]
	s_delay_alu instid0(VALU_DEP_1) | instskip(NEXT) | instid1(VALU_DEP_2)
	v_sub_nc_u32_e32 v3, v18, v17
	v_sub_co_u32 v9, vcc_lo, v14, v16
	s_delay_alu instid0(VALU_DEP_1) | instskip(NEXT) | instid1(VALU_DEP_3)
	v_sub_co_ci_u32_e64 v18, null, v18, v17, vcc_lo
	v_subrev_co_ci_u32_e64 v3, null, s39, v3, vcc_lo
	s_delay_alu instid0(VALU_DEP_3) | instskip(SKIP_1) | instid1(VALU_DEP_3)
	v_sub_co_u32 v11, s0, v9, s38
	v_add_nc_u64_e32 v[16:17], 1, v[12:13]
	v_subrev_co_ci_u32_e64 v3, null, 0, v3, s0
	s_delay_alu instid0(VALU_DEP_3) | instskip(SKIP_1) | instid1(VALU_DEP_3)
	v_cmp_le_u32_e32 vcc_lo, s38, v11
	v_cndmask_b32_e64 v11, 0, -1, vcc_lo
	v_cmp_le_u32_e32 vcc_lo, s39, v3
	v_cndmask_b32_e64 v14, 0, -1, vcc_lo
	;; [unrolled: 2-line block ×4, first 2 shown]
	v_cmp_eq_u32_e32 vcc_lo, s39, v3
	v_cndmask_b32_e32 v3, v14, v11, vcc_lo
	v_cmp_eq_u32_e32 vcc_lo, s39, v18
	v_add_nc_u64_e32 v[14:15], 2, v[12:13]
	v_cndmask_b32_e32 v9, v19, v9, vcc_lo
	s_delay_alu instid0(VALU_DEP_4) | instskip(NEXT) | instid1(VALU_DEP_3)
	v_cmp_ne_u32_e32 vcc_lo, 0, v3
	v_cndmask_b32_e32 v3, v17, v15, vcc_lo
	s_delay_alu instid0(VALU_DEP_3) | instskip(SKIP_1) | instid1(VALU_DEP_1)
	v_cmp_ne_u32_e64 s0, 0, v9
	v_dual_cndmask_b32 v9, v16, v14, vcc_lo :: v_dual_bitop2_b32 v8, s36, v8 bitop3:0x14
	v_dual_cndmask_b32 v3, v13, v3, s0 :: v_dual_cndmask_b32 v11, v12, v9, s0
	s_delay_alu instid0(VALU_DEP_1) | instskip(NEXT) | instid1(VALU_DEP_2)
	v_dual_mov_b32 v9, v8 :: v_dual_bitop2_b32 v13, v3, v8 bitop3:0x14
	v_xor_b32_e32 v12, v11, v8
	s_delay_alu instid0(VALU_DEP_1)
	v_sub_nc_u64_e32 v[8:9], v[12:13], v[8:9]
.LBB3_7:                                ;   in Loop: Header=BB3_5 Depth=2
	s_and_not1_saveexec_b32 s0, s41
	s_cbranch_execz .LBB3_9
; %bb.8:                                ;   in Loop: Header=BB3_5 Depth=2
	v_cvt_f32_u32_e32 v3, s34
	s_sub_co_i32 s2, 0, s34
	s_delay_alu instid0(VALU_DEP_1) | instskip(SKIP_1) | instid1(TRANS32_DEP_1)
	v_rcp_iflag_f32_e32 v3, v3
	v_nop
	v_mul_f32_e32 v3, 0x4f7ffffe, v3
	s_delay_alu instid0(VALU_DEP_1) | instskip(NEXT) | instid1(VALU_DEP_1)
	v_cvt_u32_f32_e32 v3, v3
	v_mul_lo_u32 v8, s2, v3
	s_delay_alu instid0(VALU_DEP_1) | instskip(NEXT) | instid1(VALU_DEP_1)
	v_mul_hi_u32 v8, v3, v8
	v_add_nc_u32_e32 v3, v3, v8
	s_delay_alu instid0(VALU_DEP_1) | instskip(NEXT) | instid1(VALU_DEP_1)
	v_mul_hi_u32 v3, v6, v3
	v_mul_lo_u32 v8, v3, s34
	s_delay_alu instid0(VALU_DEP_1) | instskip(NEXT) | instid1(VALU_DEP_1)
	v_dual_add_nc_u32 v9, 1, v3 :: v_dual_sub_nc_u32 v8, v6, v8
	v_subrev_nc_u32_e32 v11, s34, v8
	v_cmp_le_u32_e32 vcc_lo, s34, v8
	s_delay_alu instid0(VALU_DEP_2) | instskip(NEXT) | instid1(VALU_DEP_1)
	v_dual_cndmask_b32 v8, v8, v11 :: v_dual_cndmask_b32 v3, v3, v9
	v_cmp_le_u32_e32 vcc_lo, s34, v8
	s_delay_alu instid0(VALU_DEP_2) | instskip(NEXT) | instid1(VALU_DEP_1)
	v_add_nc_u32_e32 v9, 1, v3
	v_dual_cndmask_b32 v8, v3, v9 :: v_dual_mov_b32 v9, v2
.LBB3_9:                                ;   in Loop: Header=BB3_5 Depth=2
	s_or_b32 exec_lo, exec_lo, s0
	s_delay_alu instid0(VALU_DEP_1)
	v_mul_u64_e32 v[12:13], s[34:35], v[8:9]
	s_load_b64 s[34:35], s[30:31], 0xc8
	s_add_co_i32 s27, s27, -1
	s_wait_xcnt 0x0
	s_add_nc_u64 s[30:31], s[30:31], -8
	s_cmp_gt_u32 s27, 2
	s_delay_alu instid0(VALU_DEP_1) | instskip(SKIP_1) | instid1(VALU_DEP_1)
	v_sub_nc_u64_e32 v[6:7], v[6:7], v[12:13]
	s_wait_kmcnt 0x0
	v_mad_nc_u64_u32 v[4:5], s34, v6, v[4:5]
	s_delay_alu instid0(VALU_DEP_1) | instskip(NEXT) | instid1(VALU_DEP_1)
	v_mad_u32 v3, s35, v6, v5
	v_mad_u32 v5, s34, v7, v3
	s_cbranch_scc0 .LBB3_11
; %bb.10:                               ;   in Loop: Header=BB3_5 Depth=2
	v_mov_b64_e32 v[6:7], v[8:9]
	s_branch .LBB3_5
.LBB3_11:                               ;   in Loop: Header=BB3_4 Depth=1
	s_delay_alu instid0(VALU_DEP_1) | instskip(NEXT) | instid1(VALU_DEP_1)
	v_mad_nc_u64_u32 v[6:7], s16, v8, s[18:19]
	v_mad_u32 v3, s17, v8, v7
	s_delay_alu instid0(VALU_DEP_1) | instskip(NEXT) | instid1(VALU_DEP_1)
	v_mad_u32 v7, s16, v9, v3
	v_add_nc_u64_e32 v[4:5], v[6:7], v[4:5]
	global_load_u8 v3, v[4:5], off
	s_wait_xcnt 0x0
	v_mov_b32_e32 v5, s3
	s_wait_loadcnt 0x0
	v_and_b32_e32 v4, 0xffff, v3
	s_delay_alu instid0(VALU_DEP_1) | instskip(SKIP_2) | instid1(SALU_CYCLE_1)
	v_cmp_le_i64_e32 vcc_lo, s[6:7], v[4:5]
	v_cmp_ge_i64_e64 s0, s[8:9], v[4:5]
	s_and_b32 s0, vcc_lo, s0
	s_and_saveexec_b32 s34, s0
	s_cbranch_execz .LBB3_3
; %bb.12:                               ;   in Loop: Header=BB3_4 Depth=1
	v_sub_nc_u64_e64 v[4:5], v[4:5], s[6:7]
                                        ; implicit-def: $vgpr6_vgpr7
	s_mov_b32 s0, exec_lo
	s_delay_alu instid0(VALU_DEP_1) | instskip(NEXT) | instid1(VALU_DEP_1)
	v_mul_u64_e32 v[4:5], s[4:5], v[4:5]
	v_or_b32_e32 v3, s21, v5
	s_delay_alu instid0(VALU_DEP_1)
	v_cmpx_ne_u64_e32 0, v[2:3]
	s_xor_b32 s35, exec_lo, s0
	s_cbranch_execz .LBB3_14
; %bb.13:                               ;   in Loop: Header=BB3_4 Depth=1
	s_mov_b32 s27, s26
	v_dual_mov_b32 v9, v2 :: v_dual_ashrrev_i32 v6, 31, v5
	s_add_nc_u64 s[30:31], s[20:21], s[26:27]
	v_mov_b32_e32 v19, v2
	s_xor_b64 s[30:31], s[30:31], s[26:27]
	s_delay_alu instid0(VALU_DEP_2) | instskip(SKIP_3) | instid1(VALU_DEP_1)
	v_mov_b32_e32 v7, v6
	s_cvt_f32_u32 s0, s30
	s_cvt_f32_u32 s2, s31
	s_sub_nc_u64 s[38:39], 0, s[30:31]
	v_add_nc_u64_e32 v[4:5], v[4:5], v[6:7]
	s_delay_alu instid0(SALU_CYCLE_1) | instskip(SKIP_1) | instid1(SALU_CYCLE_2)
	s_fmamk_f32 s0, s2, 0x4f800000, s0
	v_mov_b32_e32 v15, v2
	v_s_rcp_f32 s0, s0
	s_delay_alu instid0(VALU_DEP_2) | instskip(NEXT) | instid1(VALU_DEP_3)
	v_xor_b32_e32 v8, v4, v6
	v_xor_b32_e32 v14, v5, v6
	s_delay_alu instid0(TRANS32_DEP_1) | instskip(NEXT) | instid1(SALU_CYCLE_3)
	s_mul_f32 s0, s0, 0x5f7ffffc
	s_mul_f32 s2, s0, 0x2f800000
	s_delay_alu instid0(SALU_CYCLE_3) | instskip(NEXT) | instid1(SALU_CYCLE_3)
	s_trunc_f32 s2, s2
	s_fmamk_f32 s0, s2, 0xcf800000, s0
	s_cvt_u32_f32 s37, s2
	s_delay_alu instid0(SALU_CYCLE_2) | instskip(NEXT) | instid1(SALU_CYCLE_3)
	s_cvt_u32_f32 s36, s0
	s_mul_u64 s[42:43], s[38:39], s[36:37]
	s_delay_alu instid0(SALU_CYCLE_1)
	s_mul_hi_u32 s45, s36, s43
	s_mul_i32 s44, s36, s43
	s_mul_hi_u32 s2, s36, s42
	s_mul_i32 s27, s37, s42
	s_add_nc_u64 s[44:45], s[2:3], s[44:45]
	s_mul_hi_u32 s0, s37, s42
	s_mul_hi_u32 s41, s37, s43
	s_add_co_u32 s2, s44, s27
	s_add_co_ci_u32 s2, s45, s0
	s_mul_i32 s42, s37, s43
	s_add_co_ci_u32 s43, s41, 0
	s_delay_alu instid0(SALU_CYCLE_1) | instskip(NEXT) | instid1(SALU_CYCLE_1)
	s_add_nc_u64 s[42:43], s[2:3], s[42:43]
	s_add_co_u32 s36, s36, s42
	s_cselect_b32 s0, -1, 0
	s_delay_alu instid0(SALU_CYCLE_1) | instskip(SKIP_1) | instid1(SALU_CYCLE_1)
	s_cmp_lg_u32 s0, 0
	s_add_co_ci_u32 s37, s37, s43
	s_mul_u64 s[38:39], s[38:39], s[36:37]
	s_delay_alu instid0(SALU_CYCLE_1)
	s_mul_hi_u32 s43, s36, s39
	s_mul_i32 s42, s36, s39
	s_mul_hi_u32 s2, s36, s38
	s_mul_i32 s27, s37, s38
	s_add_nc_u64 s[42:43], s[2:3], s[42:43]
	s_mul_hi_u32 s0, s37, s38
	s_mul_hi_u32 s41, s37, s39
	s_add_co_u32 s2, s42, s27
	s_add_co_ci_u32 s2, s43, s0
	s_mul_i32 s38, s37, s39
	s_add_co_ci_u32 s39, s41, 0
	s_delay_alu instid0(SALU_CYCLE_1) | instskip(NEXT) | instid1(SALU_CYCLE_1)
	s_add_nc_u64 s[38:39], s[2:3], s[38:39]
	s_add_co_u32 s0, s36, s38
	s_cselect_b32 s2, -1, 0
	v_mul_hi_u32 v18, v8, s0
	s_cmp_lg_u32 s2, 0
	s_add_co_ci_u32 s2, s37, s39
	s_and_b64 s[36:37], s[0:1], s[24:25]
	v_mul_u64_e32 v[12:13], s[2:3], v[8:9]
	v_mul_u64_e32 v[4:5], s[36:37], v[14:15]
	;; [unrolled: 1-line block ×3, first 2 shown]
	s_delay_alu instid0(VALU_DEP_3) | instskip(NEXT) | instid1(VALU_DEP_1)
	v_add_nc_u64_e32 v[12:13], v[18:19], v[12:13]
	v_add_co_u32 v3, vcc_lo, v12, v4
	s_delay_alu instid0(VALU_DEP_2) | instskip(NEXT) | instid1(VALU_DEP_4)
	v_add_co_ci_u32_e32 v18, vcc_lo, v13, v5, vcc_lo
	v_add_co_ci_u32_e32 v17, vcc_lo, 0, v17, vcc_lo
	s_delay_alu instid0(VALU_DEP_1) | instskip(NEXT) | instid1(VALU_DEP_1)
	v_add_nc_u64_e32 v[4:5], v[18:19], v[16:17]
	v_mul_u64_e32 v[12:13], s[30:31], v[4:5]
	s_delay_alu instid0(VALU_DEP_1) | instskip(NEXT) | instid1(VALU_DEP_2)
	v_sub_nc_u32_e32 v3, v14, v13
	v_sub_co_u32 v7, vcc_lo, v8, v12
	s_delay_alu instid0(VALU_DEP_1) | instskip(NEXT) | instid1(VALU_DEP_3)
	v_sub_co_ci_u32_e64 v11, null, v14, v13, vcc_lo
	v_subrev_co_ci_u32_e64 v3, null, s31, v3, vcc_lo
	s_delay_alu instid0(VALU_DEP_3) | instskip(SKIP_1) | instid1(VALU_DEP_3)
	v_sub_co_u32 v8, s0, v7, s30
	v_add_nc_u64_e32 v[12:13], 1, v[4:5]
	v_subrev_co_ci_u32_e64 v3, null, 0, v3, s0
	s_delay_alu instid0(VALU_DEP_3) | instskip(SKIP_1) | instid1(VALU_DEP_3)
	v_cmp_le_u32_e32 vcc_lo, s30, v8
	v_cndmask_b32_e64 v8, 0, -1, vcc_lo
	v_cmp_le_u32_e32 vcc_lo, s31, v3
	v_cndmask_b32_e64 v9, 0, -1, vcc_lo
	;; [unrolled: 2-line block ×4, first 2 shown]
	v_cmp_eq_u32_e32 vcc_lo, s31, v3
	v_cndmask_b32_e32 v3, v9, v8, vcc_lo
	v_cmp_eq_u32_e32 vcc_lo, s31, v11
	v_add_nc_u64_e32 v[8:9], 2, v[4:5]
	v_cndmask_b32_e32 v7, v14, v7, vcc_lo
	s_delay_alu instid0(VALU_DEP_4) | instskip(NEXT) | instid1(VALU_DEP_2)
	v_cmp_ne_u32_e32 vcc_lo, 0, v3
	v_cmp_ne_u32_e64 s0, 0, v7
	s_delay_alu instid0(VALU_DEP_4) | instskip(NEXT) | instid1(VALU_DEP_1)
	v_dual_cndmask_b32 v3, v13, v9, vcc_lo :: v_dual_cndmask_b32 v7, v12, v8, vcc_lo
	v_dual_cndmask_b32 v3, v5, v3, s0 :: v_dual_bitop2_b32 v6, s26, v6 bitop3:0x14
	s_delay_alu instid0(VALU_DEP_1) | instskip(NEXT) | instid1(VALU_DEP_2)
	v_dual_cndmask_b32 v4, v4, v7, s0 :: v_dual_mov_b32 v7, v6
	v_xor_b32_e32 v5, v3, v6
	s_delay_alu instid0(VALU_DEP_2) | instskip(NEXT) | instid1(VALU_DEP_1)
	v_xor_b32_e32 v4, v4, v6
	v_sub_nc_u64_e32 v[6:7], v[4:5], v[6:7]
                                        ; implicit-def: $vgpr4_vgpr5
.LBB3_14:                               ;   in Loop: Header=BB3_4 Depth=1
	s_and_not1_saveexec_b32 s0, s35
	s_cbranch_execz .LBB3_2
; %bb.15:                               ;   in Loop: Header=BB3_4 Depth=1
	v_cvt_f32_u32_e32 v3, s20
	s_sub_co_i32 s2, 0, s20
	s_delay_alu instid0(VALU_DEP_1) | instskip(SKIP_1) | instid1(TRANS32_DEP_1)
	v_rcp_iflag_f32_e32 v3, v3
	v_nop
	v_mul_f32_e32 v3, 0x4f7ffffe, v3
	s_delay_alu instid0(VALU_DEP_1) | instskip(NEXT) | instid1(VALU_DEP_1)
	v_cvt_u32_f32_e32 v3, v3
	v_mul_lo_u32 v5, s2, v3
	s_delay_alu instid0(VALU_DEP_1) | instskip(NEXT) | instid1(VALU_DEP_1)
	v_mul_hi_u32 v5, v3, v5
	v_add_nc_u32_e32 v3, v3, v5
	s_delay_alu instid0(VALU_DEP_1) | instskip(NEXT) | instid1(VALU_DEP_1)
	v_mul_hi_u32 v3, v4, v3
	v_mul_lo_u32 v5, v3, s20
	s_delay_alu instid0(VALU_DEP_1) | instskip(NEXT) | instid1(VALU_DEP_1)
	v_dual_sub_nc_u32 v4, v4, v5 :: v_dual_add_nc_u32 v5, 1, v3
	v_subrev_nc_u32_e32 v6, s20, v4
	v_cmp_le_u32_e32 vcc_lo, s20, v4
	s_delay_alu instid0(VALU_DEP_2) | instskip(NEXT) | instid1(VALU_DEP_1)
	v_dual_cndmask_b32 v4, v4, v6 :: v_dual_cndmask_b32 v3, v3, v5
	v_cmp_le_u32_e32 vcc_lo, s20, v4
	s_delay_alu instid0(VALU_DEP_2) | instskip(NEXT) | instid1(VALU_DEP_1)
	v_add_nc_u32_e32 v5, 1, v3
	v_cndmask_b32_e32 v6, v3, v5, vcc_lo
	s_branch .LBB3_2
.LBB3_16:
	s_endpgm
	.section	.rodata,"a",@progbits
	.p2align	6, 0x0
	.amdhsa_kernel _ZN2at4cuda17kernelHistogram1DIfhlLi1ELi2ELin1ELNS0_23CUDAHistogramMemoryTypeE1EZNS0_21CUDA_tensor_histogramIfhLb1EEEbNS_6TensorES4_S4_lNS_14AccumulateTypeIT0_Lb1EE4typeES8_NS0_13TensorArgTypeES9_S9_EUllE0_EEvNS0_6detail10TensorInfoIT_T1_EESF_NSC_IKS6_SE_EElS8_S8_SE_T6_
		.amdhsa_group_segment_fixed_size 0
		.amdhsa_private_segment_fixed_size 0
		.amdhsa_kernarg_size 1544
		.amdhsa_user_sgpr_count 2
		.amdhsa_user_sgpr_dispatch_ptr 0
		.amdhsa_user_sgpr_queue_ptr 0
		.amdhsa_user_sgpr_kernarg_segment_ptr 1
		.amdhsa_user_sgpr_dispatch_id 0
		.amdhsa_user_sgpr_kernarg_preload_length 0
		.amdhsa_user_sgpr_kernarg_preload_offset 0
		.amdhsa_user_sgpr_private_segment_size 0
		.amdhsa_wavefront_size32 1
		.amdhsa_uses_dynamic_stack 0
		.amdhsa_enable_private_segment 0
		.amdhsa_system_sgpr_workgroup_id_x 1
		.amdhsa_system_sgpr_workgroup_id_y 0
		.amdhsa_system_sgpr_workgroup_id_z 0
		.amdhsa_system_sgpr_workgroup_info 0
		.amdhsa_system_vgpr_workitem_id 0
		.amdhsa_next_free_vgpr 24
		.amdhsa_next_free_sgpr 51
		.amdhsa_named_barrier_count 0
		.amdhsa_reserve_vcc 1
		.amdhsa_float_round_mode_32 0
		.amdhsa_float_round_mode_16_64 0
		.amdhsa_float_denorm_mode_32 3
		.amdhsa_float_denorm_mode_16_64 3
		.amdhsa_fp16_overflow 0
		.amdhsa_memory_ordered 1
		.amdhsa_forward_progress 1
		.amdhsa_inst_pref_size 17
		.amdhsa_round_robin_scheduling 0
		.amdhsa_exception_fp_ieee_invalid_op 0
		.amdhsa_exception_fp_denorm_src 0
		.amdhsa_exception_fp_ieee_div_zero 0
		.amdhsa_exception_fp_ieee_overflow 0
		.amdhsa_exception_fp_ieee_underflow 0
		.amdhsa_exception_fp_ieee_inexact 0
		.amdhsa_exception_int_div_zero 0
	.end_amdhsa_kernel
	.section	.text._ZN2at4cuda17kernelHistogram1DIfhlLi1ELi2ELin1ELNS0_23CUDAHistogramMemoryTypeE1EZNS0_21CUDA_tensor_histogramIfhLb1EEEbNS_6TensorES4_S4_lNS_14AccumulateTypeIT0_Lb1EE4typeES8_NS0_13TensorArgTypeES9_S9_EUllE0_EEvNS0_6detail10TensorInfoIT_T1_EESF_NSC_IKS6_SE_EElS8_S8_SE_T6_,"axG",@progbits,_ZN2at4cuda17kernelHistogram1DIfhlLi1ELi2ELin1ELNS0_23CUDAHistogramMemoryTypeE1EZNS0_21CUDA_tensor_histogramIfhLb1EEEbNS_6TensorES4_S4_lNS_14AccumulateTypeIT0_Lb1EE4typeES8_NS0_13TensorArgTypeES9_S9_EUllE0_EEvNS0_6detail10TensorInfoIT_T1_EESF_NSC_IKS6_SE_EElS8_S8_SE_T6_,comdat
.Lfunc_end3:
	.size	_ZN2at4cuda17kernelHistogram1DIfhlLi1ELi2ELin1ELNS0_23CUDAHistogramMemoryTypeE1EZNS0_21CUDA_tensor_histogramIfhLb1EEEbNS_6TensorES4_S4_lNS_14AccumulateTypeIT0_Lb1EE4typeES8_NS0_13TensorArgTypeES9_S9_EUllE0_EEvNS0_6detail10TensorInfoIT_T1_EESF_NSC_IKS6_SE_EElS8_S8_SE_T6_, .Lfunc_end3-_ZN2at4cuda17kernelHistogram1DIfhlLi1ELi2ELin1ELNS0_23CUDAHistogramMemoryTypeE1EZNS0_21CUDA_tensor_histogramIfhLb1EEEbNS_6TensorES4_S4_lNS_14AccumulateTypeIT0_Lb1EE4typeES8_NS0_13TensorArgTypeES9_S9_EUllE0_EEvNS0_6detail10TensorInfoIT_T1_EESF_NSC_IKS6_SE_EElS8_S8_SE_T6_
                                        ; -- End function
	.set _ZN2at4cuda17kernelHistogram1DIfhlLi1ELi2ELin1ELNS0_23CUDAHistogramMemoryTypeE1EZNS0_21CUDA_tensor_histogramIfhLb1EEEbNS_6TensorES4_S4_lNS_14AccumulateTypeIT0_Lb1EE4typeES8_NS0_13TensorArgTypeES9_S9_EUllE0_EEvNS0_6detail10TensorInfoIT_T1_EESF_NSC_IKS6_SE_EElS8_S8_SE_T6_.num_vgpr, 24
	.set _ZN2at4cuda17kernelHistogram1DIfhlLi1ELi2ELin1ELNS0_23CUDAHistogramMemoryTypeE1EZNS0_21CUDA_tensor_histogramIfhLb1EEEbNS_6TensorES4_S4_lNS_14AccumulateTypeIT0_Lb1EE4typeES8_NS0_13TensorArgTypeES9_S9_EUllE0_EEvNS0_6detail10TensorInfoIT_T1_EESF_NSC_IKS6_SE_EElS8_S8_SE_T6_.num_agpr, 0
	.set _ZN2at4cuda17kernelHistogram1DIfhlLi1ELi2ELin1ELNS0_23CUDAHistogramMemoryTypeE1EZNS0_21CUDA_tensor_histogramIfhLb1EEEbNS_6TensorES4_S4_lNS_14AccumulateTypeIT0_Lb1EE4typeES8_NS0_13TensorArgTypeES9_S9_EUllE0_EEvNS0_6detail10TensorInfoIT_T1_EESF_NSC_IKS6_SE_EElS8_S8_SE_T6_.numbered_sgpr, 51
	.set _ZN2at4cuda17kernelHistogram1DIfhlLi1ELi2ELin1ELNS0_23CUDAHistogramMemoryTypeE1EZNS0_21CUDA_tensor_histogramIfhLb1EEEbNS_6TensorES4_S4_lNS_14AccumulateTypeIT0_Lb1EE4typeES8_NS0_13TensorArgTypeES9_S9_EUllE0_EEvNS0_6detail10TensorInfoIT_T1_EESF_NSC_IKS6_SE_EElS8_S8_SE_T6_.num_named_barrier, 0
	.set _ZN2at4cuda17kernelHistogram1DIfhlLi1ELi2ELin1ELNS0_23CUDAHistogramMemoryTypeE1EZNS0_21CUDA_tensor_histogramIfhLb1EEEbNS_6TensorES4_S4_lNS_14AccumulateTypeIT0_Lb1EE4typeES8_NS0_13TensorArgTypeES9_S9_EUllE0_EEvNS0_6detail10TensorInfoIT_T1_EESF_NSC_IKS6_SE_EElS8_S8_SE_T6_.private_seg_size, 0
	.set _ZN2at4cuda17kernelHistogram1DIfhlLi1ELi2ELin1ELNS0_23CUDAHistogramMemoryTypeE1EZNS0_21CUDA_tensor_histogramIfhLb1EEEbNS_6TensorES4_S4_lNS_14AccumulateTypeIT0_Lb1EE4typeES8_NS0_13TensorArgTypeES9_S9_EUllE0_EEvNS0_6detail10TensorInfoIT_T1_EESF_NSC_IKS6_SE_EElS8_S8_SE_T6_.uses_vcc, 1
	.set _ZN2at4cuda17kernelHistogram1DIfhlLi1ELi2ELin1ELNS0_23CUDAHistogramMemoryTypeE1EZNS0_21CUDA_tensor_histogramIfhLb1EEEbNS_6TensorES4_S4_lNS_14AccumulateTypeIT0_Lb1EE4typeES8_NS0_13TensorArgTypeES9_S9_EUllE0_EEvNS0_6detail10TensorInfoIT_T1_EESF_NSC_IKS6_SE_EElS8_S8_SE_T6_.uses_flat_scratch, 0
	.set _ZN2at4cuda17kernelHistogram1DIfhlLi1ELi2ELin1ELNS0_23CUDAHistogramMemoryTypeE1EZNS0_21CUDA_tensor_histogramIfhLb1EEEbNS_6TensorES4_S4_lNS_14AccumulateTypeIT0_Lb1EE4typeES8_NS0_13TensorArgTypeES9_S9_EUllE0_EEvNS0_6detail10TensorInfoIT_T1_EESF_NSC_IKS6_SE_EElS8_S8_SE_T6_.has_dyn_sized_stack, 0
	.set _ZN2at4cuda17kernelHistogram1DIfhlLi1ELi2ELin1ELNS0_23CUDAHistogramMemoryTypeE1EZNS0_21CUDA_tensor_histogramIfhLb1EEEbNS_6TensorES4_S4_lNS_14AccumulateTypeIT0_Lb1EE4typeES8_NS0_13TensorArgTypeES9_S9_EUllE0_EEvNS0_6detail10TensorInfoIT_T1_EESF_NSC_IKS6_SE_EElS8_S8_SE_T6_.has_recursion, 0
	.set _ZN2at4cuda17kernelHistogram1DIfhlLi1ELi2ELin1ELNS0_23CUDAHistogramMemoryTypeE1EZNS0_21CUDA_tensor_histogramIfhLb1EEEbNS_6TensorES4_S4_lNS_14AccumulateTypeIT0_Lb1EE4typeES8_NS0_13TensorArgTypeES9_S9_EUllE0_EEvNS0_6detail10TensorInfoIT_T1_EESF_NSC_IKS6_SE_EElS8_S8_SE_T6_.has_indirect_call, 0
	.section	.AMDGPU.csdata,"",@progbits
; Kernel info:
; codeLenInByte = 2056
; TotalNumSgprs: 53
; NumVgprs: 24
; ScratchSize: 0
; MemoryBound: 0
; FloatMode: 240
; IeeeMode: 1
; LDSByteSize: 0 bytes/workgroup (compile time only)
; SGPRBlocks: 0
; VGPRBlocks: 1
; NumSGPRsForWavesPerEU: 53
; NumVGPRsForWavesPerEU: 24
; NamedBarCnt: 0
; Occupancy: 16
; WaveLimiterHint : 1
; COMPUTE_PGM_RSRC2:SCRATCH_EN: 0
; COMPUTE_PGM_RSRC2:USER_SGPR: 2
; COMPUTE_PGM_RSRC2:TRAP_HANDLER: 0
; COMPUTE_PGM_RSRC2:TGID_X_EN: 1
; COMPUTE_PGM_RSRC2:TGID_Y_EN: 0
; COMPUTE_PGM_RSRC2:TGID_Z_EN: 0
; COMPUTE_PGM_RSRC2:TIDIG_COMP_CNT: 0
	.section	.text._ZN2at4cuda17kernelHistogram1DIlhlLi1ELi2ELin1ELNS0_23CUDAHistogramMemoryTypeE0EZNS0_21CUDA_tensor_histogramIlhLb0EEEbNS_6TensorES4_S4_lNS_14AccumulateTypeIT0_Lb1EE4typeES8_NS0_13TensorArgTypeES9_S9_EUllE_EEvNS0_6detail10TensorInfoIT_T1_EESF_NSC_IKS6_SE_EElS8_S8_SE_T6_,"axG",@progbits,_ZN2at4cuda17kernelHistogram1DIlhlLi1ELi2ELin1ELNS0_23CUDAHistogramMemoryTypeE0EZNS0_21CUDA_tensor_histogramIlhLb0EEEbNS_6TensorES4_S4_lNS_14AccumulateTypeIT0_Lb1EE4typeES8_NS0_13TensorArgTypeES9_S9_EUllE_EEvNS0_6detail10TensorInfoIT_T1_EESF_NSC_IKS6_SE_EElS8_S8_SE_T6_,comdat
	.protected	_ZN2at4cuda17kernelHistogram1DIlhlLi1ELi2ELin1ELNS0_23CUDAHistogramMemoryTypeE0EZNS0_21CUDA_tensor_histogramIlhLb0EEEbNS_6TensorES4_S4_lNS_14AccumulateTypeIT0_Lb1EE4typeES8_NS0_13TensorArgTypeES9_S9_EUllE_EEvNS0_6detail10TensorInfoIT_T1_EESF_NSC_IKS6_SE_EElS8_S8_SE_T6_ ; -- Begin function _ZN2at4cuda17kernelHistogram1DIlhlLi1ELi2ELin1ELNS0_23CUDAHistogramMemoryTypeE0EZNS0_21CUDA_tensor_histogramIlhLb0EEEbNS_6TensorES4_S4_lNS_14AccumulateTypeIT0_Lb1EE4typeES8_NS0_13TensorArgTypeES9_S9_EUllE_EEvNS0_6detail10TensorInfoIT_T1_EESF_NSC_IKS6_SE_EElS8_S8_SE_T6_
	.globl	_ZN2at4cuda17kernelHistogram1DIlhlLi1ELi2ELin1ELNS0_23CUDAHistogramMemoryTypeE0EZNS0_21CUDA_tensor_histogramIlhLb0EEEbNS_6TensorES4_S4_lNS_14AccumulateTypeIT0_Lb1EE4typeES8_NS0_13TensorArgTypeES9_S9_EUllE_EEvNS0_6detail10TensorInfoIT_T1_EESF_NSC_IKS6_SE_EElS8_S8_SE_T6_
	.p2align	8
	.type	_ZN2at4cuda17kernelHistogram1DIlhlLi1ELi2ELin1ELNS0_23CUDAHistogramMemoryTypeE0EZNS0_21CUDA_tensor_histogramIlhLb0EEEbNS_6TensorES4_S4_lNS_14AccumulateTypeIT0_Lb1EE4typeES8_NS0_13TensorArgTypeES9_S9_EUllE_EEvNS0_6detail10TensorInfoIT_T1_EESF_NSC_IKS6_SE_EElS8_S8_SE_T6_,@function
_ZN2at4cuda17kernelHistogram1DIlhlLi1ELi2ELin1ELNS0_23CUDAHistogramMemoryTypeE0EZNS0_21CUDA_tensor_histogramIlhLb0EEEbNS_6TensorES4_S4_lNS_14AccumulateTypeIT0_Lb1EE4typeES8_NS0_13TensorArgTypeES9_S9_EUllE_EEvNS0_6detail10TensorInfoIT_T1_EESF_NSC_IKS6_SE_EElS8_S8_SE_T6_: ; @_ZN2at4cuda17kernelHistogram1DIlhlLi1ELi2ELin1ELNS0_23CUDAHistogramMemoryTypeE0EZNS0_21CUDA_tensor_histogramIlhLb0EEEbNS_6TensorES4_S4_lNS_14AccumulateTypeIT0_Lb1EE4typeES8_NS0_13TensorArgTypeES9_S9_EUllE_EEvNS0_6detail10TensorInfoIT_T1_EESF_NSC_IKS6_SE_EElS8_S8_SE_T6_
; %bb.0:
	s_clause 0x2
	s_load_b128 s[12:15], s[0:1], 0x0
	s_load_b64 s[16:17], s[0:1], 0x500
	s_load_b256 s[4:11], s[0:1], 0x4e0
	v_mov_b32_e32 v1, 0
	s_add_nc_u64 s[28:29], s[0:1], 0x6a0
	s_mov_b32 s3, exec_lo
                                        ; implicit-def: $sgpr18
                                        ; implicit-def: $sgpr19
	s_wait_kmcnt 0x0
	s_delay_alu instid0(VALU_DEP_1)
	v_cmp_gt_i64_e64 s2, s[14:15], v[0:1]
	v_cmpx_le_i64_e64 s[14:15], v[0:1]
	s_xor_b32 s3, exec_lo, s3
	s_cbranch_execz .LBB4_2
; %bb.1:
	s_load_b32 s18, s[28:29], 0xc
	s_wait_kmcnt 0x0
	s_and_b32 s19, s18, 0xffff
.LBB4_2:
	s_or_saveexec_b32 s3, s3
	v_dual_mov_b32 v16, s18 :: v_dual_mov_b32 v15, s19
	v_lshl_add_u32 v14, v0, 3, 0
	s_xor_b32 exec_lo, exec_lo, s3
	s_cbranch_execz .LBB4_6
; %bb.3:
	s_load_b32 s20, s[28:29], 0xc
	v_mov_b64_e32 v[2:3], 0
	v_mov_b64_e32 v[4:5], v[0:1]
	v_lshl_add_u32 v6, v0, 3, 0
	s_mov_b32 s19, 0
	s_delay_alu instid0(SALU_CYCLE_1) | instskip(SKIP_2) | instid1(SALU_CYCLE_1)
	s_mov_b32 s21, s19
	s_wait_kmcnt 0x0
	s_and_b32 s18, s20, 0xffff
	s_lshl_b32 s22, s18, 3
.LBB4_4:                                ; =>This Inner Loop Header: Depth=1
	v_add_nc_u64_e32 v[4:5], s[18:19], v[4:5]
	ds_store_b64 v6, v[2:3]
	v_add_nc_u32_e32 v6, s22, v6
	v_cmp_le_i64_e32 vcc_lo, s[14:15], v[4:5]
	s_or_b32 s21, vcc_lo, s21
	s_delay_alu instid0(SALU_CYCLE_1)
	s_and_not1_b32 exec_lo, exec_lo, s21
	s_cbranch_execnz .LBB4_4
; %bb.5:
	s_or_b32 exec_lo, exec_lo, s21
	v_dual_mov_b32 v16, s20 :: v_dual_mov_b32 v15, s18
.LBB4_6:
	s_or_b32 exec_lo, exec_lo, s3
	s_bfe_u32 s3, ttmp6, 0x4000c
	s_clause 0x1
	s_load_b64 s[18:19], s[0:1], 0xd0
	s_load_b64 s[20:21], s[0:1], 0x5d0
	s_add_co_i32 s3, s3, 1
	s_and_b32 s22, ttmp6, 15
	s_mul_i32 s3, ttmp9, s3
	s_getreg_b32 s23, hwreg(HW_REG_IB_STS2, 6, 4)
	s_add_co_i32 s22, s22, s3
	s_cmp_eq_u32 s23, 0
	v_mov_b32_e32 v4, 0
	s_cselect_b32 s3, ttmp9, s22
	s_mov_b32 s23, 0
	v_mad_u32 v2, s3, v15, v0
	s_mov_b32 s3, exec_lo
	v_mov_b32_e32 v3, v4
	s_wait_dscnt 0x0
	s_barrier_signal -1
	s_barrier_wait -1
	s_delay_alu instid0(VALU_DEP_1)
	v_cmpx_gt_i64_e64 s[10:11], v[2:3]
	s_cbranch_execz .LBB4_22
; %bb.7:
	s_load_b32 s33, s[0:1], 0x4d8
	s_load_b32 s22, s[28:29], 0x0
	s_clause 0x1
	s_load_b64 s[24:25], s[0:1], 0x410
	s_load_b64 s[26:27], s[0:1], 0x340
	s_add_nc_u64 s[34:35], s[0:1], 0x340
	v_mov_b32_e32 v7, v4
	s_wait_xcnt 0x0
	s_sub_nc_u64 s[28:29], s[8:9], s[6:7]
	s_mov_b64 s[30:31], 0xffffffff
	s_mov_b32 s46, 0
	s_wait_kmcnt 0x0
	s_cmp_gt_i32 s33, 1
	v_mul_lo_u32 v6, s22, v15
	s_cselect_b32 s1, -1, 0
	s_add_co_i32 s22, s33, -1
	s_add_co_i32 s33, s33, 1
	s_lshl_b64 s[36:37], s[22:23], 3
	s_delay_alu instid0(SALU_CYCLE_1)
	s_add_nc_u64 s[34:35], s[34:35], s[36:37]
	s_ashr_i32 s36, s29, 31
	s_add_nc_u64 s[34:35], s[34:35], 8
	s_branch .LBB4_10
.LBB4_8:                                ;   in Loop: Header=BB4_10 Depth=1
	s_or_b32 exec_lo, exec_lo, s0
	v_mul_u64_e32 v[8:9], s[20:21], v[2:3]
	s_delay_alu instid0(VALU_DEP_2) | instskip(NEXT) | instid1(VALU_DEP_1)
	v_ashrrev_i32_e32 v11, 31, v10
	v_cmp_eq_u64_e32 vcc_lo, s[4:5], v[10:11]
	v_subrev_co_ci_u32_e64 v5, null, 0, v10, vcc_lo
	s_delay_alu instid0(VALU_DEP_1)
	v_lshl_add_u32 v5, v5, 3, 0
	v_lshl_add_u64 v[8:9], v[8:9], 3, s[16:17]
	global_load_b64 v[8:9], v[8:9], off
	s_wait_loadcnt 0x0
	ds_add_u64 v5, v[8:9]
.LBB4_9:                                ;   in Loop: Header=BB4_10 Depth=1
	s_wait_xcnt 0x0
	s_or_b32 exec_lo, exec_lo, s40
	v_add_nc_u64_e32 v[2:3], v[2:3], v[6:7]
	s_delay_alu instid0(VALU_DEP_1) | instskip(SKIP_1) | instid1(SALU_CYCLE_1)
	v_cmp_le_i64_e32 vcc_lo, s[10:11], v[2:3]
	s_or_b32 s46, vcc_lo, s46
	s_and_not1_b32 exec_lo, exec_lo, s46
	s_cbranch_execz .LBB4_22
.LBB4_10:                               ; =>This Loop Header: Depth=1
                                        ;     Child Loop BB4_11 Depth 2
	v_mov_b64_e32 v[8:9], 0
	v_mov_b64_e32 v[10:11], v[2:3]
	;; [unrolled: 1-line block ×3, first 2 shown]
	s_and_not1_b32 vcc_lo, exec_lo, s1
	s_mov_b64 s[38:39], s[34:35]
	s_mov_b32 s37, s33
	s_cbranch_vccnz .LBB4_17
.LBB4_11:                               ;   Parent Loop BB4_10 Depth=1
                                        ; =>  This Inner Loop Header: Depth=2
	s_load_b64 s[40:41], s[38:39], 0x0
                                        ; implicit-def: $vgpr12_vgpr13
	s_mov_b32 s0, exec_lo
	s_wait_kmcnt 0x0
	s_delay_alu instid0(VALU_DEP_1) | instskip(NEXT) | instid1(VALU_DEP_1)
	v_or_b32_e32 v5, s41, v11
	v_cmpx_ne_u64_e32 0, v[4:5]
	s_xor_b32 s47, exec_lo, s0
	s_cbranch_execz .LBB4_13
; %bb.12:                               ;   in Loop: Header=BB4_11 Depth=2
	s_ashr_i32 s42, s41, 31
	v_dual_mov_b32 v21, v4 :: v_dual_ashrrev_i32 v12, 31, v11
	s_mov_b32 s43, s42
	v_mov_b32_e32 v29, v4
	s_add_nc_u64 s[44:45], s[40:41], s[42:43]
	s_delay_alu instid0(VALU_DEP_2) | instskip(SKIP_1) | instid1(SALU_CYCLE_1)
	v_mov_b32_e32 v13, v12
	s_xor_b64 s[44:45], s[44:45], s[42:43]
	s_cvt_f32_u32 s0, s44
	s_cvt_f32_u32 s22, s45
	s_sub_nc_u64 s[50:51], 0, s[44:45]
	v_add_nc_u64_e32 v[18:19], v[10:11], v[12:13]
	v_mov_b32_e32 v25, v4
	s_fmamk_f32 s0, s22, 0x4f800000, s0
	s_delay_alu instid0(SALU_CYCLE_3) | instskip(NEXT) | instid1(VALU_DEP_2)
	v_s_rcp_f32 s0, s0
	v_xor_b32_e32 v20, v18, v12
	s_delay_alu instid0(VALU_DEP_3) | instskip(SKIP_1) | instid1(TRANS32_DEP_1)
	v_xor_b32_e32 v24, v19, v12
	v_xor_b32_e32 v12, s42, v12
	s_mul_f32 s0, s0, 0x5f7ffffc
	s_delay_alu instid0(SALU_CYCLE_3) | instskip(NEXT) | instid1(SALU_CYCLE_3)
	s_mul_f32 s22, s0, 0x2f800000
	s_trunc_f32 s22, s22
	s_delay_alu instid0(SALU_CYCLE_3) | instskip(SKIP_1) | instid1(SALU_CYCLE_2)
	s_fmamk_f32 s0, s22, 0xcf800000, s0
	s_cvt_u32_f32 s49, s22
	s_cvt_u32_f32 s48, s0
	s_delay_alu instid0(SALU_CYCLE_3) | instskip(NEXT) | instid1(SALU_CYCLE_1)
	s_mul_u64 s[52:53], s[50:51], s[48:49]
	s_mul_hi_u32 s55, s48, s53
	s_mul_i32 s54, s48, s53
	s_mul_hi_u32 s22, s48, s52
	s_mul_i32 s43, s49, s52
	s_add_nc_u64 s[54:55], s[22:23], s[54:55]
	s_mul_hi_u32 s0, s49, s52
	s_mul_hi_u32 s56, s49, s53
	s_add_co_u32 s22, s54, s43
	s_add_co_ci_u32 s22, s55, s0
	s_mul_i32 s52, s49, s53
	s_add_co_ci_u32 s53, s56, 0
	s_delay_alu instid0(SALU_CYCLE_1) | instskip(NEXT) | instid1(SALU_CYCLE_1)
	s_add_nc_u64 s[52:53], s[22:23], s[52:53]
	s_add_co_u32 s48, s48, s52
	s_cselect_b32 s0, -1, 0
	s_delay_alu instid0(SALU_CYCLE_1) | instskip(SKIP_1) | instid1(SALU_CYCLE_1)
	s_cmp_lg_u32 s0, 0
	s_add_co_ci_u32 s49, s49, s53
	s_mul_u64 s[50:51], s[50:51], s[48:49]
	s_delay_alu instid0(SALU_CYCLE_1)
	s_mul_hi_u32 s53, s48, s51
	s_mul_i32 s52, s48, s51
	s_mul_hi_u32 s22, s48, s50
	s_mul_i32 s43, s49, s50
	s_add_nc_u64 s[52:53], s[22:23], s[52:53]
	s_mul_hi_u32 s0, s49, s50
	s_mul_hi_u32 s54, s49, s51
	s_add_co_u32 s22, s52, s43
	s_add_co_ci_u32 s22, s53, s0
	s_mul_i32 s50, s49, s51
	s_add_co_ci_u32 s51, s54, 0
	s_delay_alu instid0(SALU_CYCLE_1) | instskip(NEXT) | instid1(SALU_CYCLE_1)
	s_add_nc_u64 s[50:51], s[22:23], s[50:51]
	s_add_co_u32 s0, s48, s50
	s_cselect_b32 s22, -1, 0
	v_mul_hi_u32 v28, v20, s0
	s_cmp_lg_u32 s22, 0
	s_add_co_ci_u32 s22, s49, s51
	s_and_b64 s[48:49], s[0:1], s[30:31]
	v_mul_u64_e32 v[22:23], s[22:23], v[20:21]
	v_mul_u64_e32 v[18:19], s[48:49], v[24:25]
	;; [unrolled: 1-line block ×3, first 2 shown]
	s_delay_alu instid0(VALU_DEP_3) | instskip(NEXT) | instid1(VALU_DEP_1)
	v_add_nc_u64_e32 v[22:23], v[28:29], v[22:23]
	v_add_co_u32 v5, vcc_lo, v22, v18
	s_delay_alu instid0(VALU_DEP_2) | instskip(NEXT) | instid1(VALU_DEP_4)
	v_add_co_ci_u32_e32 v28, vcc_lo, v23, v19, vcc_lo
	v_add_co_ci_u32_e32 v27, vcc_lo, 0, v27, vcc_lo
	s_delay_alu instid0(VALU_DEP_1) | instskip(NEXT) | instid1(VALU_DEP_1)
	v_add_nc_u64_e32 v[18:19], v[28:29], v[26:27]
	v_mul_u64_e32 v[22:23], s[44:45], v[18:19]
	s_delay_alu instid0(VALU_DEP_1) | instskip(NEXT) | instid1(VALU_DEP_2)
	v_sub_nc_u32_e32 v5, v24, v23
	v_sub_co_u32 v13, vcc_lo, v20, v22
	s_delay_alu instid0(VALU_DEP_1) | instskip(NEXT) | instid1(VALU_DEP_3)
	v_sub_co_ci_u32_e64 v24, null, v24, v23, vcc_lo
	v_subrev_co_ci_u32_e64 v5, null, s45, v5, vcc_lo
	s_delay_alu instid0(VALU_DEP_3) | instskip(SKIP_1) | instid1(VALU_DEP_3)
	v_sub_co_u32 v17, s0, v13, s44
	v_add_nc_u64_e32 v[22:23], 1, v[18:19]
	v_subrev_co_ci_u32_e64 v5, null, 0, v5, s0
	s_delay_alu instid0(VALU_DEP_3) | instskip(SKIP_1) | instid1(VALU_DEP_3)
	v_cmp_le_u32_e32 vcc_lo, s44, v17
	v_cndmask_b32_e64 v17, 0, -1, vcc_lo
	v_cmp_le_u32_e32 vcc_lo, s45, v5
	v_cndmask_b32_e64 v20, 0, -1, vcc_lo
	;; [unrolled: 2-line block ×4, first 2 shown]
	v_cmp_eq_u32_e32 vcc_lo, s45, v5
	v_cndmask_b32_e32 v5, v20, v17, vcc_lo
	v_cmp_eq_u32_e32 vcc_lo, s45, v24
	v_add_nc_u64_e32 v[20:21], 2, v[18:19]
	v_cndmask_b32_e32 v13, v25, v13, vcc_lo
	s_delay_alu instid0(VALU_DEP_4) | instskip(NEXT) | instid1(VALU_DEP_2)
	v_cmp_ne_u32_e32 vcc_lo, 0, v5
	v_cmp_ne_u32_e64 s0, 0, v13
	s_delay_alu instid0(VALU_DEP_4) | instskip(NEXT) | instid1(VALU_DEP_1)
	v_dual_cndmask_b32 v5, v23, v21, vcc_lo :: v_dual_cndmask_b32 v13, v22, v20, vcc_lo
	v_dual_cndmask_b32 v17, v18, v13, s0 :: v_dual_mov_b32 v13, v12
	s_delay_alu instid0(VALU_DEP_1) | instskip(NEXT) | instid1(VALU_DEP_1)
	v_dual_cndmask_b32 v5, v19, v5, s0 :: v_dual_bitop2_b32 v18, v17, v12 bitop3:0x14
	v_xor_b32_e32 v19, v5, v12
	s_delay_alu instid0(VALU_DEP_1)
	v_sub_nc_u64_e32 v[12:13], v[18:19], v[12:13]
.LBB4_13:                               ;   in Loop: Header=BB4_11 Depth=2
	s_and_not1_saveexec_b32 s0, s47
	s_cbranch_execz .LBB4_15
; %bb.14:                               ;   in Loop: Header=BB4_11 Depth=2
	v_cvt_f32_u32_e32 v5, s40
	s_sub_co_i32 s22, 0, s40
	s_delay_alu instid0(VALU_DEP_1) | instskip(SKIP_1) | instid1(TRANS32_DEP_1)
	v_rcp_iflag_f32_e32 v5, v5
	v_nop
	v_mul_f32_e32 v5, 0x4f7ffffe, v5
	s_delay_alu instid0(VALU_DEP_1) | instskip(NEXT) | instid1(VALU_DEP_1)
	v_cvt_u32_f32_e32 v5, v5
	v_mul_lo_u32 v12, s22, v5
	s_delay_alu instid0(VALU_DEP_1) | instskip(NEXT) | instid1(VALU_DEP_1)
	v_mul_hi_u32 v12, v5, v12
	v_add_nc_u32_e32 v5, v5, v12
	s_delay_alu instid0(VALU_DEP_1) | instskip(NEXT) | instid1(VALU_DEP_1)
	v_mul_hi_u32 v5, v10, v5
	v_mul_lo_u32 v12, v5, s40
	s_delay_alu instid0(VALU_DEP_1) | instskip(NEXT) | instid1(VALU_DEP_1)
	v_dual_add_nc_u32 v13, 1, v5 :: v_dual_sub_nc_u32 v12, v10, v12
	v_subrev_nc_u32_e32 v17, s40, v12
	v_cmp_le_u32_e32 vcc_lo, s40, v12
	s_delay_alu instid0(VALU_DEP_2) | instskip(NEXT) | instid1(VALU_DEP_4)
	v_cndmask_b32_e32 v12, v12, v17, vcc_lo
	v_cndmask_b32_e32 v5, v5, v13, vcc_lo
	s_delay_alu instid0(VALU_DEP_2) | instskip(NEXT) | instid1(VALU_DEP_2)
	v_cmp_le_u32_e32 vcc_lo, s40, v12
	v_add_nc_u32_e32 v13, 1, v5
	s_delay_alu instid0(VALU_DEP_1)
	v_dual_cndmask_b32 v12, v5, v13 :: v_dual_mov_b32 v13, v4
.LBB4_15:                               ;   in Loop: Header=BB4_11 Depth=2
	s_or_b32 exec_lo, exec_lo, s0
	s_delay_alu instid0(VALU_DEP_1)
	v_mul_u64_e32 v[18:19], s[40:41], v[12:13]
	s_load_b64 s[40:41], s[38:39], 0xc8
	s_add_co_i32 s37, s37, -1
	s_wait_xcnt 0x0
	s_add_nc_u64 s[38:39], s[38:39], -8
	s_cmp_gt_u32 s37, 2
	s_delay_alu instid0(VALU_DEP_1) | instskip(SKIP_1) | instid1(VALU_DEP_1)
	v_sub_nc_u64_e32 v[10:11], v[10:11], v[18:19]
	s_wait_kmcnt 0x0
	v_mad_nc_u64_u32 v[8:9], s40, v10, v[8:9]
	s_delay_alu instid0(VALU_DEP_1) | instskip(NEXT) | instid1(VALU_DEP_1)
	v_mad_u32 v5, s41, v10, v9
	v_mad_u32 v9, s40, v11, v5
	s_cbranch_scc0 .LBB4_17
; %bb.16:                               ;   in Loop: Header=BB4_11 Depth=2
	v_mov_b64_e32 v[10:11], v[12:13]
	s_branch .LBB4_11
.LBB4_17:                               ;   in Loop: Header=BB4_10 Depth=1
	s_delay_alu instid0(VALU_DEP_1) | instskip(NEXT) | instid1(VALU_DEP_1)
	v_mad_nc_u64_u32 v[10:11], s24, v12, s[26:27]
	v_mad_u32 v5, s25, v12, v11
	s_delay_alu instid0(VALU_DEP_1) | instskip(NEXT) | instid1(VALU_DEP_1)
	v_mad_u32 v11, s24, v13, v5
	v_add_nc_u64_e32 v[8:9], v[10:11], v[8:9]
	global_load_u8 v5, v[8:9], off
	s_wait_xcnt 0x0
	v_mov_b32_e32 v9, s23
	s_wait_loadcnt 0x0
	v_and_b32_e32 v8, 0xffff, v5
	s_delay_alu instid0(VALU_DEP_1) | instskip(SKIP_2) | instid1(SALU_CYCLE_1)
	v_cmp_le_i64_e32 vcc_lo, s[6:7], v[8:9]
	v_cmp_ge_i64_e64 s0, s[8:9], v[8:9]
	s_and_b32 s0, vcc_lo, s0
	s_and_saveexec_b32 s40, s0
	s_cbranch_execz .LBB4_9
; %bb.18:                               ;   in Loop: Header=BB4_10 Depth=1
	v_sub_nc_u64_e64 v[8:9], v[8:9], s[6:7]
                                        ; implicit-def: $vgpr10_vgpr11
	s_mov_b32 s0, exec_lo
	s_delay_alu instid0(VALU_DEP_1) | instskip(NEXT) | instid1(VALU_DEP_1)
	v_mul_u64_e32 v[8:9], s[4:5], v[8:9]
	v_or_b32_e32 v5, s29, v9
	s_delay_alu instid0(VALU_DEP_1)
	v_cmpx_ne_u64_e32 0, v[4:5]
	s_xor_b32 s41, exec_lo, s0
	s_cbranch_execz .LBB4_20
; %bb.19:                               ;   in Loop: Header=BB4_10 Depth=1
	s_mov_b32 s37, s36
	v_dual_mov_b32 v13, v4 :: v_dual_ashrrev_i32 v10, 31, v9
	s_add_nc_u64 s[38:39], s[28:29], s[36:37]
	v_mov_b32_e32 v25, v4
	s_xor_b64 s[38:39], s[38:39], s[36:37]
	s_delay_alu instid0(VALU_DEP_2) | instskip(SKIP_3) | instid1(VALU_DEP_1)
	v_mov_b32_e32 v11, v10
	s_cvt_f32_u32 s0, s38
	s_cvt_f32_u32 s22, s39
	s_sub_nc_u64 s[44:45], 0, s[38:39]
	v_add_nc_u64_e32 v[8:9], v[8:9], v[10:11]
	s_delay_alu instid0(SALU_CYCLE_1) | instskip(SKIP_1) | instid1(SALU_CYCLE_2)
	s_fmamk_f32 s0, s22, 0x4f800000, s0
	v_mov_b32_e32 v21, v4
	v_s_rcp_f32 s0, s0
	s_delay_alu instid0(VALU_DEP_2) | instskip(NEXT) | instid1(VALU_DEP_3)
	v_xor_b32_e32 v12, v8, v10
	v_xor_b32_e32 v20, v9, v10
	s_delay_alu instid0(TRANS32_DEP_1) | instskip(NEXT) | instid1(SALU_CYCLE_3)
	s_mul_f32 s0, s0, 0x5f7ffffc
	s_mul_f32 s22, s0, 0x2f800000
	s_delay_alu instid0(SALU_CYCLE_3) | instskip(NEXT) | instid1(SALU_CYCLE_3)
	s_trunc_f32 s22, s22
	s_fmamk_f32 s0, s22, 0xcf800000, s0
	s_cvt_u32_f32 s43, s22
	s_delay_alu instid0(SALU_CYCLE_2) | instskip(NEXT) | instid1(SALU_CYCLE_3)
	s_cvt_u32_f32 s42, s0
	s_mul_u64 s[48:49], s[44:45], s[42:43]
	s_delay_alu instid0(SALU_CYCLE_1)
	s_mul_hi_u32 s51, s42, s49
	s_mul_i32 s50, s42, s49
	s_mul_hi_u32 s22, s42, s48
	s_mul_i32 s37, s43, s48
	s_add_nc_u64 s[50:51], s[22:23], s[50:51]
	s_mul_hi_u32 s0, s43, s48
	s_mul_hi_u32 s47, s43, s49
	s_add_co_u32 s22, s50, s37
	s_add_co_ci_u32 s22, s51, s0
	s_mul_i32 s48, s43, s49
	s_add_co_ci_u32 s49, s47, 0
	s_delay_alu instid0(SALU_CYCLE_1) | instskip(NEXT) | instid1(SALU_CYCLE_1)
	s_add_nc_u64 s[48:49], s[22:23], s[48:49]
	s_add_co_u32 s42, s42, s48
	s_cselect_b32 s0, -1, 0
	s_delay_alu instid0(SALU_CYCLE_1) | instskip(SKIP_1) | instid1(SALU_CYCLE_1)
	s_cmp_lg_u32 s0, 0
	s_add_co_ci_u32 s43, s43, s49
	s_mul_u64 s[44:45], s[44:45], s[42:43]
	s_delay_alu instid0(SALU_CYCLE_1)
	s_mul_hi_u32 s49, s42, s45
	s_mul_i32 s48, s42, s45
	s_mul_hi_u32 s22, s42, s44
	s_mul_i32 s37, s43, s44
	s_add_nc_u64 s[48:49], s[22:23], s[48:49]
	s_mul_hi_u32 s0, s43, s44
	s_mul_hi_u32 s47, s43, s45
	s_add_co_u32 s22, s48, s37
	s_add_co_ci_u32 s22, s49, s0
	s_mul_i32 s44, s43, s45
	s_add_co_ci_u32 s45, s47, 0
	s_delay_alu instid0(SALU_CYCLE_1) | instskip(NEXT) | instid1(SALU_CYCLE_1)
	s_add_nc_u64 s[44:45], s[22:23], s[44:45]
	s_add_co_u32 s0, s42, s44
	s_cselect_b32 s22, -1, 0
	v_mul_hi_u32 v24, v12, s0
	s_cmp_lg_u32 s22, 0
	s_add_co_ci_u32 s22, s43, s45
	s_and_b64 s[42:43], s[0:1], s[30:31]
	v_mul_u64_e32 v[18:19], s[22:23], v[12:13]
	v_mul_u64_e32 v[8:9], s[42:43], v[20:21]
	;; [unrolled: 1-line block ×3, first 2 shown]
	s_delay_alu instid0(VALU_DEP_3) | instskip(NEXT) | instid1(VALU_DEP_1)
	v_add_nc_u64_e32 v[18:19], v[24:25], v[18:19]
	v_add_co_u32 v5, vcc_lo, v18, v8
	s_delay_alu instid0(VALU_DEP_2) | instskip(NEXT) | instid1(VALU_DEP_4)
	v_add_co_ci_u32_e32 v24, vcc_lo, v19, v9, vcc_lo
	v_add_co_ci_u32_e32 v23, vcc_lo, 0, v23, vcc_lo
	s_delay_alu instid0(VALU_DEP_1) | instskip(NEXT) | instid1(VALU_DEP_1)
	v_add_nc_u64_e32 v[8:9], v[24:25], v[22:23]
	v_mul_u64_e32 v[18:19], s[38:39], v[8:9]
	s_delay_alu instid0(VALU_DEP_1) | instskip(NEXT) | instid1(VALU_DEP_2)
	v_sub_nc_u32_e32 v5, v20, v19
	v_sub_co_u32 v11, vcc_lo, v12, v18
	s_delay_alu instid0(VALU_DEP_1) | instskip(NEXT) | instid1(VALU_DEP_3)
	v_sub_co_ci_u32_e64 v17, null, v20, v19, vcc_lo
	v_subrev_co_ci_u32_e64 v5, null, s39, v5, vcc_lo
	s_delay_alu instid0(VALU_DEP_3) | instskip(SKIP_1) | instid1(VALU_DEP_3)
	v_sub_co_u32 v12, s0, v11, s38
	v_add_nc_u64_e32 v[18:19], 1, v[8:9]
	v_subrev_co_ci_u32_e64 v5, null, 0, v5, s0
	s_delay_alu instid0(VALU_DEP_3) | instskip(SKIP_1) | instid1(VALU_DEP_3)
	v_cmp_le_u32_e32 vcc_lo, s38, v12
	v_cndmask_b32_e64 v12, 0, -1, vcc_lo
	v_cmp_le_u32_e32 vcc_lo, s39, v5
	v_cndmask_b32_e64 v13, 0, -1, vcc_lo
	;; [unrolled: 2-line block ×4, first 2 shown]
	v_cmp_eq_u32_e32 vcc_lo, s39, v5
	v_cndmask_b32_e32 v5, v13, v12, vcc_lo
	v_cmp_eq_u32_e32 vcc_lo, s39, v17
	v_add_nc_u64_e32 v[12:13], 2, v[8:9]
	v_cndmask_b32_e32 v11, v20, v11, vcc_lo
	s_delay_alu instid0(VALU_DEP_4) | instskip(NEXT) | instid1(VALU_DEP_3)
	v_cmp_ne_u32_e32 vcc_lo, 0, v5
	v_cndmask_b32_e32 v5, v19, v13, vcc_lo
	s_delay_alu instid0(VALU_DEP_3) | instskip(SKIP_1) | instid1(VALU_DEP_1)
	v_cmp_ne_u32_e64 s0, 0, v11
	v_dual_cndmask_b32 v11, v18, v12, vcc_lo :: v_dual_bitop2_b32 v10, s36, v10 bitop3:0x14
	v_dual_cndmask_b32 v5, v9, v5, s0 :: v_dual_cndmask_b32 v8, v8, v11, s0
	s_delay_alu instid0(VALU_DEP_1) | instskip(NEXT) | instid1(VALU_DEP_2)
	v_dual_mov_b32 v11, v10 :: v_dual_bitop2_b32 v9, v5, v10 bitop3:0x14
	v_xor_b32_e32 v8, v8, v10
	s_delay_alu instid0(VALU_DEP_1)
	v_sub_nc_u64_e32 v[10:11], v[8:9], v[10:11]
                                        ; implicit-def: $vgpr8_vgpr9
.LBB4_20:                               ;   in Loop: Header=BB4_10 Depth=1
	s_and_not1_saveexec_b32 s0, s41
	s_cbranch_execz .LBB4_8
; %bb.21:                               ;   in Loop: Header=BB4_10 Depth=1
	v_cvt_f32_u32_e32 v5, s28
	s_sub_co_i32 s22, 0, s28
	s_delay_alu instid0(VALU_DEP_1) | instskip(SKIP_1) | instid1(TRANS32_DEP_1)
	v_rcp_iflag_f32_e32 v5, v5
	v_nop
	v_mul_f32_e32 v5, 0x4f7ffffe, v5
	s_delay_alu instid0(VALU_DEP_1) | instskip(NEXT) | instid1(VALU_DEP_1)
	v_cvt_u32_f32_e32 v5, v5
	v_mul_lo_u32 v9, s22, v5
	s_delay_alu instid0(VALU_DEP_1) | instskip(NEXT) | instid1(VALU_DEP_1)
	v_mul_hi_u32 v9, v5, v9
	v_add_nc_u32_e32 v5, v5, v9
	s_delay_alu instid0(VALU_DEP_1) | instskip(NEXT) | instid1(VALU_DEP_1)
	v_mul_hi_u32 v5, v8, v5
	v_mul_lo_u32 v9, v5, s28
	s_delay_alu instid0(VALU_DEP_1) | instskip(SKIP_1) | instid1(VALU_DEP_2)
	v_sub_nc_u32_e32 v8, v8, v9
	v_add_nc_u32_e32 v9, 1, v5
	v_subrev_nc_u32_e32 v10, s28, v8
	v_cmp_le_u32_e32 vcc_lo, s28, v8
	s_delay_alu instid0(VALU_DEP_2) | instskip(NEXT) | instid1(VALU_DEP_1)
	v_dual_cndmask_b32 v8, v8, v10 :: v_dual_cndmask_b32 v5, v5, v9
	v_cmp_le_u32_e32 vcc_lo, s28, v8
	s_delay_alu instid0(VALU_DEP_2) | instskip(NEXT) | instid1(VALU_DEP_1)
	v_add_nc_u32_e32 v9, 1, v5
	v_cndmask_b32_e32 v10, v5, v9, vcc_lo
	s_branch .LBB4_8
.LBB4_22:
	s_or_b32 exec_lo, exec_lo, s3
; %bb.23:
	s_wait_dscnt 0x0
	s_barrier_signal -1
	s_barrier_wait -1
	s_wait_xcnt 0x0
	s_and_saveexec_b32 s0, s2
	s_cbranch_execz .LBB4_26
; %bb.24:
	s_mov_b32 s0, 0
	v_and_b32_e32 v2, 0xffff, v16
	v_dual_mov_b32 v3, s0 :: v_dual_lshlrev_b32 v8, 3, v15
	s_wait_kmcnt 0x0
	v_mul_u64_e32 v[6:7], s[18:19], v[0:1]
	s_delay_alu instid0(VALU_DEP_2) | instskip(NEXT) | instid1(VALU_DEP_2)
	v_mul_u64_e32 v[4:5], s[18:19], v[2:3]
	v_lshl_add_u64 v[6:7], v[6:7], 3, s[12:13]
	s_delay_alu instid0(VALU_DEP_2)
	v_lshlrev_b64_e32 v[4:5], 3, v[4:5]
.LBB4_25:                               ; =>This Inner Loop Header: Depth=1
	ds_load_b64 v[10:11], v14
	v_add_nc_u64_e32 v[0:1], v[0:1], v[2:3]
	v_add_nc_u32_e32 v14, v14, v8
	s_delay_alu instid0(VALU_DEP_2)
	v_cmp_le_i64_e32 vcc_lo, s[14:15], v[0:1]
	s_or_b32 s0, vcc_lo, s0
	s_wait_dscnt 0x0
	global_atomic_add_u64 v[6:7], v[10:11], off scope:SCOPE_SYS
	s_wait_xcnt 0x0
	v_add_nc_u64_e32 v[6:7], v[6:7], v[4:5]
	s_and_not1_b32 exec_lo, exec_lo, s0
	s_cbranch_execnz .LBB4_25
.LBB4_26:
	s_endpgm
	.section	.rodata,"a",@progbits
	.p2align	6, 0x0
	.amdhsa_kernel _ZN2at4cuda17kernelHistogram1DIlhlLi1ELi2ELin1ELNS0_23CUDAHistogramMemoryTypeE0EZNS0_21CUDA_tensor_histogramIlhLb0EEEbNS_6TensorES4_S4_lNS_14AccumulateTypeIT0_Lb1EE4typeES8_NS0_13TensorArgTypeES9_S9_EUllE_EEvNS0_6detail10TensorInfoIT_T1_EESF_NSC_IKS6_SE_EElS8_S8_SE_T6_
		.amdhsa_group_segment_fixed_size 0
		.amdhsa_private_segment_fixed_size 0
		.amdhsa_kernarg_size 1952
		.amdhsa_user_sgpr_count 2
		.amdhsa_user_sgpr_dispatch_ptr 0
		.amdhsa_user_sgpr_queue_ptr 0
		.amdhsa_user_sgpr_kernarg_segment_ptr 1
		.amdhsa_user_sgpr_dispatch_id 0
		.amdhsa_user_sgpr_kernarg_preload_length 0
		.amdhsa_user_sgpr_kernarg_preload_offset 0
		.amdhsa_user_sgpr_private_segment_size 0
		.amdhsa_wavefront_size32 1
		.amdhsa_uses_dynamic_stack 0
		.amdhsa_enable_private_segment 0
		.amdhsa_system_sgpr_workgroup_id_x 1
		.amdhsa_system_sgpr_workgroup_id_y 0
		.amdhsa_system_sgpr_workgroup_id_z 0
		.amdhsa_system_sgpr_workgroup_info 0
		.amdhsa_system_vgpr_workitem_id 0
		.amdhsa_next_free_vgpr 30
		.amdhsa_next_free_sgpr 57
		.amdhsa_named_barrier_count 0
		.amdhsa_reserve_vcc 1
		.amdhsa_float_round_mode_32 0
		.amdhsa_float_round_mode_16_64 0
		.amdhsa_float_denorm_mode_32 3
		.amdhsa_float_denorm_mode_16_64 3
		.amdhsa_fp16_overflow 0
		.amdhsa_memory_ordered 1
		.amdhsa_forward_progress 1
		.amdhsa_inst_pref_size 19
		.amdhsa_round_robin_scheduling 0
		.amdhsa_exception_fp_ieee_invalid_op 0
		.amdhsa_exception_fp_denorm_src 0
		.amdhsa_exception_fp_ieee_div_zero 0
		.amdhsa_exception_fp_ieee_overflow 0
		.amdhsa_exception_fp_ieee_underflow 0
		.amdhsa_exception_fp_ieee_inexact 0
		.amdhsa_exception_int_div_zero 0
	.end_amdhsa_kernel
	.section	.text._ZN2at4cuda17kernelHistogram1DIlhlLi1ELi2ELin1ELNS0_23CUDAHistogramMemoryTypeE0EZNS0_21CUDA_tensor_histogramIlhLb0EEEbNS_6TensorES4_S4_lNS_14AccumulateTypeIT0_Lb1EE4typeES8_NS0_13TensorArgTypeES9_S9_EUllE_EEvNS0_6detail10TensorInfoIT_T1_EESF_NSC_IKS6_SE_EElS8_S8_SE_T6_,"axG",@progbits,_ZN2at4cuda17kernelHistogram1DIlhlLi1ELi2ELin1ELNS0_23CUDAHistogramMemoryTypeE0EZNS0_21CUDA_tensor_histogramIlhLb0EEEbNS_6TensorES4_S4_lNS_14AccumulateTypeIT0_Lb1EE4typeES8_NS0_13TensorArgTypeES9_S9_EUllE_EEvNS0_6detail10TensorInfoIT_T1_EESF_NSC_IKS6_SE_EElS8_S8_SE_T6_,comdat
.Lfunc_end4:
	.size	_ZN2at4cuda17kernelHistogram1DIlhlLi1ELi2ELin1ELNS0_23CUDAHistogramMemoryTypeE0EZNS0_21CUDA_tensor_histogramIlhLb0EEEbNS_6TensorES4_S4_lNS_14AccumulateTypeIT0_Lb1EE4typeES8_NS0_13TensorArgTypeES9_S9_EUllE_EEvNS0_6detail10TensorInfoIT_T1_EESF_NSC_IKS6_SE_EElS8_S8_SE_T6_, .Lfunc_end4-_ZN2at4cuda17kernelHistogram1DIlhlLi1ELi2ELin1ELNS0_23CUDAHistogramMemoryTypeE0EZNS0_21CUDA_tensor_histogramIlhLb0EEEbNS_6TensorES4_S4_lNS_14AccumulateTypeIT0_Lb1EE4typeES8_NS0_13TensorArgTypeES9_S9_EUllE_EEvNS0_6detail10TensorInfoIT_T1_EESF_NSC_IKS6_SE_EElS8_S8_SE_T6_
                                        ; -- End function
	.set _ZN2at4cuda17kernelHistogram1DIlhlLi1ELi2ELin1ELNS0_23CUDAHistogramMemoryTypeE0EZNS0_21CUDA_tensor_histogramIlhLb0EEEbNS_6TensorES4_S4_lNS_14AccumulateTypeIT0_Lb1EE4typeES8_NS0_13TensorArgTypeES9_S9_EUllE_EEvNS0_6detail10TensorInfoIT_T1_EESF_NSC_IKS6_SE_EElS8_S8_SE_T6_.num_vgpr, 30
	.set _ZN2at4cuda17kernelHistogram1DIlhlLi1ELi2ELin1ELNS0_23CUDAHistogramMemoryTypeE0EZNS0_21CUDA_tensor_histogramIlhLb0EEEbNS_6TensorES4_S4_lNS_14AccumulateTypeIT0_Lb1EE4typeES8_NS0_13TensorArgTypeES9_S9_EUllE_EEvNS0_6detail10TensorInfoIT_T1_EESF_NSC_IKS6_SE_EElS8_S8_SE_T6_.num_agpr, 0
	.set _ZN2at4cuda17kernelHistogram1DIlhlLi1ELi2ELin1ELNS0_23CUDAHistogramMemoryTypeE0EZNS0_21CUDA_tensor_histogramIlhLb0EEEbNS_6TensorES4_S4_lNS_14AccumulateTypeIT0_Lb1EE4typeES8_NS0_13TensorArgTypeES9_S9_EUllE_EEvNS0_6detail10TensorInfoIT_T1_EESF_NSC_IKS6_SE_EElS8_S8_SE_T6_.numbered_sgpr, 57
	.set _ZN2at4cuda17kernelHistogram1DIlhlLi1ELi2ELin1ELNS0_23CUDAHistogramMemoryTypeE0EZNS0_21CUDA_tensor_histogramIlhLb0EEEbNS_6TensorES4_S4_lNS_14AccumulateTypeIT0_Lb1EE4typeES8_NS0_13TensorArgTypeES9_S9_EUllE_EEvNS0_6detail10TensorInfoIT_T1_EESF_NSC_IKS6_SE_EElS8_S8_SE_T6_.num_named_barrier, 0
	.set _ZN2at4cuda17kernelHistogram1DIlhlLi1ELi2ELin1ELNS0_23CUDAHistogramMemoryTypeE0EZNS0_21CUDA_tensor_histogramIlhLb0EEEbNS_6TensorES4_S4_lNS_14AccumulateTypeIT0_Lb1EE4typeES8_NS0_13TensorArgTypeES9_S9_EUllE_EEvNS0_6detail10TensorInfoIT_T1_EESF_NSC_IKS6_SE_EElS8_S8_SE_T6_.private_seg_size, 0
	.set _ZN2at4cuda17kernelHistogram1DIlhlLi1ELi2ELin1ELNS0_23CUDAHistogramMemoryTypeE0EZNS0_21CUDA_tensor_histogramIlhLb0EEEbNS_6TensorES4_S4_lNS_14AccumulateTypeIT0_Lb1EE4typeES8_NS0_13TensorArgTypeES9_S9_EUllE_EEvNS0_6detail10TensorInfoIT_T1_EESF_NSC_IKS6_SE_EElS8_S8_SE_T6_.uses_vcc, 1
	.set _ZN2at4cuda17kernelHistogram1DIlhlLi1ELi2ELin1ELNS0_23CUDAHistogramMemoryTypeE0EZNS0_21CUDA_tensor_histogramIlhLb0EEEbNS_6TensorES4_S4_lNS_14AccumulateTypeIT0_Lb1EE4typeES8_NS0_13TensorArgTypeES9_S9_EUllE_EEvNS0_6detail10TensorInfoIT_T1_EESF_NSC_IKS6_SE_EElS8_S8_SE_T6_.uses_flat_scratch, 0
	.set _ZN2at4cuda17kernelHistogram1DIlhlLi1ELi2ELin1ELNS0_23CUDAHistogramMemoryTypeE0EZNS0_21CUDA_tensor_histogramIlhLb0EEEbNS_6TensorES4_S4_lNS_14AccumulateTypeIT0_Lb1EE4typeES8_NS0_13TensorArgTypeES9_S9_EUllE_EEvNS0_6detail10TensorInfoIT_T1_EESF_NSC_IKS6_SE_EElS8_S8_SE_T6_.has_dyn_sized_stack, 0
	.set _ZN2at4cuda17kernelHistogram1DIlhlLi1ELi2ELin1ELNS0_23CUDAHistogramMemoryTypeE0EZNS0_21CUDA_tensor_histogramIlhLb0EEEbNS_6TensorES4_S4_lNS_14AccumulateTypeIT0_Lb1EE4typeES8_NS0_13TensorArgTypeES9_S9_EUllE_EEvNS0_6detail10TensorInfoIT_T1_EESF_NSC_IKS6_SE_EElS8_S8_SE_T6_.has_recursion, 0
	.set _ZN2at4cuda17kernelHistogram1DIlhlLi1ELi2ELin1ELNS0_23CUDAHistogramMemoryTypeE0EZNS0_21CUDA_tensor_histogramIlhLb0EEEbNS_6TensorES4_S4_lNS_14AccumulateTypeIT0_Lb1EE4typeES8_NS0_13TensorArgTypeES9_S9_EUllE_EEvNS0_6detail10TensorInfoIT_T1_EESF_NSC_IKS6_SE_EElS8_S8_SE_T6_.has_indirect_call, 0
	.section	.AMDGPU.csdata,"",@progbits
; Kernel info:
; codeLenInByte = 2400
; TotalNumSgprs: 59
; NumVgprs: 30
; ScratchSize: 0
; MemoryBound: 0
; FloatMode: 240
; IeeeMode: 1
; LDSByteSize: 0 bytes/workgroup (compile time only)
; SGPRBlocks: 0
; VGPRBlocks: 1
; NumSGPRsForWavesPerEU: 59
; NumVGPRsForWavesPerEU: 30
; NamedBarCnt: 0
; Occupancy: 16
; WaveLimiterHint : 1
; COMPUTE_PGM_RSRC2:SCRATCH_EN: 0
; COMPUTE_PGM_RSRC2:USER_SGPR: 2
; COMPUTE_PGM_RSRC2:TRAP_HANDLER: 0
; COMPUTE_PGM_RSRC2:TGID_X_EN: 1
; COMPUTE_PGM_RSRC2:TGID_Y_EN: 0
; COMPUTE_PGM_RSRC2:TGID_Z_EN: 0
; COMPUTE_PGM_RSRC2:TIDIG_COMP_CNT: 0
	.section	.text._ZN2at4cuda17kernelHistogram1DIlhlLi1ELi2ELin1ELNS0_23CUDAHistogramMemoryTypeE1EZNS0_21CUDA_tensor_histogramIlhLb0EEEbNS_6TensorES4_S4_lNS_14AccumulateTypeIT0_Lb1EE4typeES8_NS0_13TensorArgTypeES9_S9_EUllE_EEvNS0_6detail10TensorInfoIT_T1_EESF_NSC_IKS6_SE_EElS8_S8_SE_T6_,"axG",@progbits,_ZN2at4cuda17kernelHistogram1DIlhlLi1ELi2ELin1ELNS0_23CUDAHistogramMemoryTypeE1EZNS0_21CUDA_tensor_histogramIlhLb0EEEbNS_6TensorES4_S4_lNS_14AccumulateTypeIT0_Lb1EE4typeES8_NS0_13TensorArgTypeES9_S9_EUllE_EEvNS0_6detail10TensorInfoIT_T1_EESF_NSC_IKS6_SE_EElS8_S8_SE_T6_,comdat
	.protected	_ZN2at4cuda17kernelHistogram1DIlhlLi1ELi2ELin1ELNS0_23CUDAHistogramMemoryTypeE1EZNS0_21CUDA_tensor_histogramIlhLb0EEEbNS_6TensorES4_S4_lNS_14AccumulateTypeIT0_Lb1EE4typeES8_NS0_13TensorArgTypeES9_S9_EUllE_EEvNS0_6detail10TensorInfoIT_T1_EESF_NSC_IKS6_SE_EElS8_S8_SE_T6_ ; -- Begin function _ZN2at4cuda17kernelHistogram1DIlhlLi1ELi2ELin1ELNS0_23CUDAHistogramMemoryTypeE1EZNS0_21CUDA_tensor_histogramIlhLb0EEEbNS_6TensorES4_S4_lNS_14AccumulateTypeIT0_Lb1EE4typeES8_NS0_13TensorArgTypeES9_S9_EUllE_EEvNS0_6detail10TensorInfoIT_T1_EESF_NSC_IKS6_SE_EElS8_S8_SE_T6_
	.globl	_ZN2at4cuda17kernelHistogram1DIlhlLi1ELi2ELin1ELNS0_23CUDAHistogramMemoryTypeE1EZNS0_21CUDA_tensor_histogramIlhLb0EEEbNS_6TensorES4_S4_lNS_14AccumulateTypeIT0_Lb1EE4typeES8_NS0_13TensorArgTypeES9_S9_EUllE_EEvNS0_6detail10TensorInfoIT_T1_EESF_NSC_IKS6_SE_EElS8_S8_SE_T6_
	.p2align	8
	.type	_ZN2at4cuda17kernelHistogram1DIlhlLi1ELi2ELin1ELNS0_23CUDAHistogramMemoryTypeE1EZNS0_21CUDA_tensor_histogramIlhLb0EEEbNS_6TensorES4_S4_lNS_14AccumulateTypeIT0_Lb1EE4typeES8_NS0_13TensorArgTypeES9_S9_EUllE_EEvNS0_6detail10TensorInfoIT_T1_EESF_NSC_IKS6_SE_EElS8_S8_SE_T6_,@function
_ZN2at4cuda17kernelHistogram1DIlhlLi1ELi2ELin1ELNS0_23CUDAHistogramMemoryTypeE1EZNS0_21CUDA_tensor_histogramIlhLb0EEEbNS_6TensorES4_S4_lNS_14AccumulateTypeIT0_Lb1EE4typeES8_NS0_13TensorArgTypeES9_S9_EUllE_EEvNS0_6detail10TensorInfoIT_T1_EESF_NSC_IKS6_SE_EElS8_S8_SE_T6_: ; @_ZN2at4cuda17kernelHistogram1DIlhlLi1ELi2ELin1ELNS0_23CUDAHistogramMemoryTypeE1EZNS0_21CUDA_tensor_histogramIlhLb0EEEbNS_6TensorES4_S4_lNS_14AccumulateTypeIT0_Lb1EE4typeES8_NS0_13TensorArgTypeES9_S9_EUllE_EEvNS0_6detail10TensorInfoIT_T1_EESF_NSC_IKS6_SE_EElS8_S8_SE_T6_
; %bb.0:
	s_load_b32 s2, s[0:1], 0x6ac
	s_bfe_u32 s12, ttmp6, 0x4000c
	s_load_b256 s[4:11], s[0:1], 0x4e0
	s_add_co_i32 s12, s12, 1
	s_and_b32 s3, ttmp6, 15
	s_mul_i32 s12, ttmp9, s12
	s_getreg_b32 s13, hwreg(HW_REG_IB_STS2, 6, 4)
	s_add_co_i32 s3, s3, s12
	v_mov_b32_e32 v2, 0
	s_mov_b32 s12, exec_lo
	s_delay_alu instid0(VALU_DEP_1) | instskip(SKIP_4) | instid1(SALU_CYCLE_1)
	v_mov_b32_e32 v1, v2
	s_wait_kmcnt 0x0
	s_and_b32 s2, s2, 0xffff
	s_cmp_eq_u32 s13, 0
	s_cselect_b32 s3, ttmp9, s3
	v_mad_u32 v0, s3, s2, v0
	s_mov_b32 s3, 0
	s_delay_alu instid0(VALU_DEP_1)
	v_cmpx_gt_i64_e64 s[10:11], v[0:1]
	s_cbranch_execz .LBB5_16
; %bb.1:
	s_clause 0x1
	s_load_b64 s[12:13], s[0:1], 0x5d0
	s_load_b32 s33, s[0:1], 0x4d8
	s_add_nc_u64 s[24:25], s[0:1], 0x6a0
	s_load_b32 s26, s[24:25], 0x0
	s_clause 0x4
	s_load_b64 s[14:15], s[0:1], 0x500
	s_load_b64 s[16:17], s[0:1], 0x0
	;; [unrolled: 1-line block ×5, first 2 shown]
	s_add_nc_u64 s[30:31], s[0:1], 0x340
	s_wait_xcnt 0x0
	s_sub_nc_u64 s[24:25], s[8:9], s[6:7]
	s_mov_b32 s27, s3
	s_mov_b64 s[28:29], 0xffffffff
	s_mov_b32 s44, 0
	s_wait_kmcnt 0x0
	s_mul_i32 s26, s26, s2
	s_cmp_gt_i32 s33, 1
	s_cselect_b32 s1, -1, 0
	s_add_co_i32 s2, s33, -1
	s_add_co_i32 s33, s33, 1
	s_lshl_b64 s[34:35], s[2:3], 3
	s_delay_alu instid0(SALU_CYCLE_1)
	s_add_nc_u64 s[34:35], s[30:31], s[34:35]
	s_ashr_i32 s30, s25, 31
	s_add_nc_u64 s[34:35], s[34:35], 8
	s_branch .LBB5_4
.LBB5_2:                                ;   in Loop: Header=BB5_4 Depth=1
	s_or_b32 exec_lo, exec_lo, s0
	v_mul_u64_e32 v[4:5], s[12:13], v[0:1]
	s_delay_alu instid0(VALU_DEP_2) | instskip(NEXT) | instid1(VALU_DEP_1)
	v_dual_ashrrev_i32 v7, 31, v6 :: v_dual_mov_b32 v9, s3
	v_cmp_eq_u64_e32 vcc_lo, s[4:5], v[6:7]
	v_cndmask_b32_e64 v8, 0, 1, vcc_lo
	s_delay_alu instid0(VALU_DEP_1) | instskip(NEXT) | instid1(VALU_DEP_1)
	v_sub_nc_u64_e32 v[6:7], v[6:7], v[8:9]
	v_mul_u64_e32 v[6:7], s[18:19], v[6:7]
	v_lshl_add_u64 v[4:5], v[4:5], 3, s[14:15]
	global_load_b64 v[4:5], v[4:5], off
	v_lshl_add_u64 v[6:7], v[6:7], 3, s[16:17]
	s_wait_xcnt 0x0
	s_wait_loadcnt 0x0
	global_atomic_add_u64 v[6:7], v[4:5], off scope:SCOPE_SYS
.LBB5_3:                                ;   in Loop: Header=BB5_4 Depth=1
	s_wait_xcnt 0x0
	s_or_b32 exec_lo, exec_lo, s38
	v_add_nc_u64_e32 v[0:1], s[26:27], v[0:1]
	s_delay_alu instid0(VALU_DEP_1) | instskip(SKIP_1) | instid1(SALU_CYCLE_1)
	v_cmp_le_i64_e32 vcc_lo, s[10:11], v[0:1]
	s_or_b32 s44, vcc_lo, s44
	s_and_not1_b32 exec_lo, exec_lo, s44
	s_cbranch_execz .LBB5_16
.LBB5_4:                                ; =>This Loop Header: Depth=1
                                        ;     Child Loop BB5_5 Depth 2
	v_mov_b64_e32 v[4:5], 0
	v_mov_b64_e32 v[6:7], v[0:1]
	;; [unrolled: 1-line block ×3, first 2 shown]
	s_and_not1_b32 vcc_lo, exec_lo, s1
	s_mov_b64 s[36:37], s[34:35]
	s_mov_b32 s31, s33
	s_cbranch_vccnz .LBB5_11
.LBB5_5:                                ;   Parent Loop BB5_4 Depth=1
                                        ; =>  This Inner Loop Header: Depth=2
	s_load_b64 s[38:39], s[36:37], 0x0
                                        ; implicit-def: $vgpr8_vgpr9
	s_mov_b32 s0, exec_lo
	s_wait_kmcnt 0x0
	s_delay_alu instid0(VALU_DEP_1) | instskip(NEXT) | instid1(VALU_DEP_1)
	v_or_b32_e32 v3, s39, v7
	v_cmpx_ne_u64_e32 0, v[2:3]
	s_xor_b32 s45, exec_lo, s0
	s_cbranch_execz .LBB5_7
; %bb.6:                                ;   in Loop: Header=BB5_5 Depth=2
	s_ashr_i32 s40, s39, 31
	v_dual_mov_b32 v13, v2 :: v_dual_ashrrev_i32 v8, 31, v7
	s_mov_b32 s41, s40
	s_delay_alu instid0(SALU_CYCLE_1) | instskip(NEXT) | instid1(VALU_DEP_1)
	s_add_nc_u64 s[42:43], s[38:39], s[40:41]
	v_mov_b32_e32 v9, v8
	s_xor_b64 s[42:43], s[42:43], s[40:41]
	s_delay_alu instid0(SALU_CYCLE_1)
	s_cvt_f32_u32 s0, s42
	s_cvt_f32_u32 s2, s43
	s_sub_nc_u64 s[48:49], 0, s[42:43]
	v_add_nc_u64_e32 v[10:11], v[6:7], v[8:9]
	v_mov_b32_e32 v17, v2
	s_fmamk_f32 s0, s2, 0x4f800000, s0
	s_delay_alu instid0(SALU_CYCLE_3) | instskip(NEXT) | instid1(VALU_DEP_2)
	v_s_rcp_f32 s0, s0
	v_xor_b32_e32 v12, v10, v8
	s_delay_alu instid0(VALU_DEP_3) | instskip(SKIP_1) | instid1(TRANS32_DEP_1)
	v_dual_mov_b32 v21, v2 :: v_dual_bitop2_b32 v16, v11, v8 bitop3:0x14
	v_xor_b32_e32 v8, s40, v8
	s_mul_f32 s0, s0, 0x5f7ffffc
	s_delay_alu instid0(SALU_CYCLE_3) | instskip(NEXT) | instid1(SALU_CYCLE_3)
	s_mul_f32 s2, s0, 0x2f800000
	s_trunc_f32 s2, s2
	s_delay_alu instid0(SALU_CYCLE_3) | instskip(SKIP_1) | instid1(SALU_CYCLE_2)
	s_fmamk_f32 s0, s2, 0xcf800000, s0
	s_cvt_u32_f32 s47, s2
	s_cvt_u32_f32 s46, s0
	s_delay_alu instid0(SALU_CYCLE_3) | instskip(NEXT) | instid1(SALU_CYCLE_1)
	s_mul_u64 s[50:51], s[48:49], s[46:47]
	s_mul_hi_u32 s53, s46, s51
	s_mul_i32 s52, s46, s51
	s_mul_hi_u32 s2, s46, s50
	s_mul_i32 s41, s47, s50
	s_add_nc_u64 s[52:53], s[2:3], s[52:53]
	s_mul_hi_u32 s0, s47, s50
	s_mul_hi_u32 s54, s47, s51
	s_add_co_u32 s2, s52, s41
	s_add_co_ci_u32 s2, s53, s0
	s_mul_i32 s50, s47, s51
	s_add_co_ci_u32 s51, s54, 0
	s_delay_alu instid0(SALU_CYCLE_1) | instskip(NEXT) | instid1(SALU_CYCLE_1)
	s_add_nc_u64 s[50:51], s[2:3], s[50:51]
	s_add_co_u32 s46, s46, s50
	s_cselect_b32 s0, -1, 0
	s_delay_alu instid0(SALU_CYCLE_1) | instskip(SKIP_1) | instid1(SALU_CYCLE_1)
	s_cmp_lg_u32 s0, 0
	s_add_co_ci_u32 s47, s47, s51
	s_mul_u64 s[48:49], s[48:49], s[46:47]
	s_delay_alu instid0(SALU_CYCLE_1)
	s_mul_hi_u32 s51, s46, s49
	s_mul_i32 s50, s46, s49
	s_mul_hi_u32 s2, s46, s48
	s_mul_i32 s41, s47, s48
	s_add_nc_u64 s[50:51], s[2:3], s[50:51]
	s_mul_hi_u32 s0, s47, s48
	s_mul_hi_u32 s52, s47, s49
	s_add_co_u32 s2, s50, s41
	s_add_co_ci_u32 s2, s51, s0
	s_mul_i32 s48, s47, s49
	s_add_co_ci_u32 s49, s52, 0
	s_delay_alu instid0(SALU_CYCLE_1) | instskip(NEXT) | instid1(SALU_CYCLE_1)
	s_add_nc_u64 s[48:49], s[2:3], s[48:49]
	s_add_co_u32 s0, s46, s48
	s_cselect_b32 s2, -1, 0
	v_mul_hi_u32 v20, v12, s0
	s_cmp_lg_u32 s2, 0
	s_add_co_ci_u32 s2, s47, s49
	s_and_b64 s[46:47], s[0:1], s[28:29]
	v_mul_u64_e32 v[14:15], s[2:3], v[12:13]
	v_mul_u64_e32 v[10:11], s[46:47], v[16:17]
	;; [unrolled: 1-line block ×3, first 2 shown]
	s_delay_alu instid0(VALU_DEP_3) | instskip(NEXT) | instid1(VALU_DEP_1)
	v_add_nc_u64_e32 v[14:15], v[20:21], v[14:15]
	v_add_co_u32 v3, vcc_lo, v14, v10
	s_delay_alu instid0(VALU_DEP_2) | instskip(NEXT) | instid1(VALU_DEP_4)
	v_add_co_ci_u32_e32 v20, vcc_lo, v15, v11, vcc_lo
	v_add_co_ci_u32_e32 v19, vcc_lo, 0, v19, vcc_lo
	s_delay_alu instid0(VALU_DEP_1) | instskip(NEXT) | instid1(VALU_DEP_1)
	v_add_nc_u64_e32 v[10:11], v[20:21], v[18:19]
	v_mul_u64_e32 v[14:15], s[42:43], v[10:11]
	s_delay_alu instid0(VALU_DEP_1) | instskip(NEXT) | instid1(VALU_DEP_2)
	v_sub_nc_u32_e32 v3, v16, v15
	v_sub_co_u32 v9, vcc_lo, v12, v14
	s_delay_alu instid0(VALU_DEP_1) | instskip(NEXT) | instid1(VALU_DEP_3)
	v_sub_co_ci_u32_e64 v16, null, v16, v15, vcc_lo
	v_subrev_co_ci_u32_e64 v3, null, s43, v3, vcc_lo
	s_delay_alu instid0(VALU_DEP_3) | instskip(SKIP_1) | instid1(VALU_DEP_3)
	v_sub_co_u32 v12, s0, v9, s42
	v_add_nc_u64_e32 v[14:15], 1, v[10:11]
	v_subrev_co_ci_u32_e64 v3, null, 0, v3, s0
	s_delay_alu instid0(VALU_DEP_3) | instskip(SKIP_1) | instid1(VALU_DEP_3)
	v_cmp_le_u32_e32 vcc_lo, s42, v12
	v_cndmask_b32_e64 v12, 0, -1, vcc_lo
	v_cmp_le_u32_e32 vcc_lo, s43, v3
	v_cndmask_b32_e64 v13, 0, -1, vcc_lo
	;; [unrolled: 2-line block ×4, first 2 shown]
	v_cmp_eq_u32_e32 vcc_lo, s43, v3
	v_cndmask_b32_e32 v3, v13, v12, vcc_lo
	v_cmp_eq_u32_e32 vcc_lo, s43, v16
	v_add_nc_u64_e32 v[12:13], 2, v[10:11]
	v_cndmask_b32_e32 v9, v17, v9, vcc_lo
	s_delay_alu instid0(VALU_DEP_4) | instskip(NEXT) | instid1(VALU_DEP_2)
	v_cmp_ne_u32_e32 vcc_lo, 0, v3
	v_cmp_ne_u32_e64 s0, 0, v9
	s_delay_alu instid0(VALU_DEP_4) | instskip(NEXT) | instid1(VALU_DEP_1)
	v_dual_cndmask_b32 v3, v15, v13, vcc_lo :: v_dual_cndmask_b32 v9, v14, v12, vcc_lo
	v_dual_cndmask_b32 v10, v10, v9, s0 :: v_dual_mov_b32 v9, v8
	s_delay_alu instid0(VALU_DEP_1) | instskip(NEXT) | instid1(VALU_DEP_1)
	v_dual_cndmask_b32 v3, v11, v3, s0 :: v_dual_bitop2_b32 v10, v10, v8 bitop3:0x14
	v_xor_b32_e32 v11, v3, v8
	s_delay_alu instid0(VALU_DEP_1)
	v_sub_nc_u64_e32 v[8:9], v[10:11], v[8:9]
.LBB5_7:                                ;   in Loop: Header=BB5_5 Depth=2
	s_and_not1_saveexec_b32 s0, s45
	s_cbranch_execz .LBB5_9
; %bb.8:                                ;   in Loop: Header=BB5_5 Depth=2
	v_cvt_f32_u32_e32 v3, s38
	s_sub_co_i32 s2, 0, s38
	s_delay_alu instid0(VALU_DEP_1) | instskip(SKIP_1) | instid1(TRANS32_DEP_1)
	v_rcp_iflag_f32_e32 v3, v3
	v_nop
	v_mul_f32_e32 v3, 0x4f7ffffe, v3
	s_delay_alu instid0(VALU_DEP_1) | instskip(NEXT) | instid1(VALU_DEP_1)
	v_cvt_u32_f32_e32 v3, v3
	v_mul_lo_u32 v8, s2, v3
	s_delay_alu instid0(VALU_DEP_1) | instskip(NEXT) | instid1(VALU_DEP_1)
	v_mul_hi_u32 v8, v3, v8
	v_add_nc_u32_e32 v3, v3, v8
	s_delay_alu instid0(VALU_DEP_1) | instskip(NEXT) | instid1(VALU_DEP_1)
	v_mul_hi_u32 v3, v6, v3
	v_mul_lo_u32 v8, v3, s38
	s_delay_alu instid0(VALU_DEP_1) | instskip(NEXT) | instid1(VALU_DEP_1)
	v_dual_add_nc_u32 v9, 1, v3 :: v_dual_sub_nc_u32 v8, v6, v8
	v_subrev_nc_u32_e32 v10, s38, v8
	v_cmp_le_u32_e32 vcc_lo, s38, v8
	s_delay_alu instid0(VALU_DEP_2) | instskip(NEXT) | instid1(VALU_DEP_1)
	v_dual_cndmask_b32 v8, v8, v10 :: v_dual_cndmask_b32 v3, v3, v9
	v_cmp_le_u32_e32 vcc_lo, s38, v8
	s_delay_alu instid0(VALU_DEP_2) | instskip(NEXT) | instid1(VALU_DEP_1)
	v_add_nc_u32_e32 v9, 1, v3
	v_dual_cndmask_b32 v8, v3, v9 :: v_dual_mov_b32 v9, v2
.LBB5_9:                                ;   in Loop: Header=BB5_5 Depth=2
	s_or_b32 exec_lo, exec_lo, s0
	s_delay_alu instid0(VALU_DEP_1)
	v_mul_u64_e32 v[10:11], s[38:39], v[8:9]
	s_load_b64 s[38:39], s[36:37], 0xc8
	s_add_co_i32 s31, s31, -1
	s_wait_xcnt 0x0
	s_add_nc_u64 s[36:37], s[36:37], -8
	s_cmp_gt_u32 s31, 2
	s_delay_alu instid0(VALU_DEP_1) | instskip(SKIP_1) | instid1(VALU_DEP_1)
	v_sub_nc_u64_e32 v[6:7], v[6:7], v[10:11]
	s_wait_kmcnt 0x0
	v_mad_nc_u64_u32 v[4:5], s38, v6, v[4:5]
	s_delay_alu instid0(VALU_DEP_1) | instskip(NEXT) | instid1(VALU_DEP_1)
	v_mad_u32 v3, s39, v6, v5
	v_mad_u32 v5, s38, v7, v3
	s_cbranch_scc0 .LBB5_11
; %bb.10:                               ;   in Loop: Header=BB5_5 Depth=2
	v_mov_b64_e32 v[6:7], v[8:9]
	s_branch .LBB5_5
.LBB5_11:                               ;   in Loop: Header=BB5_4 Depth=1
	s_delay_alu instid0(VALU_DEP_1) | instskip(NEXT) | instid1(VALU_DEP_1)
	v_mad_nc_u64_u32 v[6:7], s20, v8, s[22:23]
	v_mad_u32 v3, s21, v8, v7
	s_delay_alu instid0(VALU_DEP_1) | instskip(NEXT) | instid1(VALU_DEP_1)
	v_mad_u32 v7, s20, v9, v3
	v_add_nc_u64_e32 v[4:5], v[6:7], v[4:5]
	global_load_u8 v3, v[4:5], off
	s_wait_xcnt 0x0
	v_mov_b32_e32 v5, s3
	s_wait_loadcnt 0x0
	v_and_b32_e32 v4, 0xffff, v3
	s_delay_alu instid0(VALU_DEP_1) | instskip(SKIP_2) | instid1(SALU_CYCLE_1)
	v_cmp_le_i64_e32 vcc_lo, s[6:7], v[4:5]
	v_cmp_ge_i64_e64 s0, s[8:9], v[4:5]
	s_and_b32 s0, vcc_lo, s0
	s_and_saveexec_b32 s38, s0
	s_cbranch_execz .LBB5_3
; %bb.12:                               ;   in Loop: Header=BB5_4 Depth=1
	v_sub_nc_u64_e64 v[4:5], v[4:5], s[6:7]
                                        ; implicit-def: $vgpr6_vgpr7
	s_mov_b32 s0, exec_lo
	s_delay_alu instid0(VALU_DEP_1) | instskip(NEXT) | instid1(VALU_DEP_1)
	v_mul_u64_e32 v[4:5], s[4:5], v[4:5]
	v_or_b32_e32 v3, s25, v5
	s_delay_alu instid0(VALU_DEP_1)
	v_cmpx_ne_u64_e32 0, v[2:3]
	s_xor_b32 s39, exec_lo, s0
	s_cbranch_execz .LBB5_14
; %bb.13:                               ;   in Loop: Header=BB5_4 Depth=1
	s_mov_b32 s31, s30
	v_dual_mov_b32 v9, v2 :: v_dual_ashrrev_i32 v6, 31, v5
	s_add_nc_u64 s[36:37], s[24:25], s[30:31]
	s_delay_alu instid0(SALU_CYCLE_1) | instskip(NEXT) | instid1(VALU_DEP_1)
	s_xor_b64 s[36:37], s[36:37], s[30:31]
	v_mov_b32_e32 v7, v6
	s_cvt_f32_u32 s0, s36
	s_cvt_f32_u32 s2, s37
	s_sub_nc_u64 s[42:43], 0, s[36:37]
	s_delay_alu instid0(VALU_DEP_1) | instskip(NEXT) | instid1(SALU_CYCLE_1)
	v_add_nc_u64_e32 v[4:5], v[4:5], v[6:7]
	s_fmamk_f32 s0, s2, 0x4f800000, s0
	v_mov_b32_e32 v13, v2
	s_delay_alu instid0(SALU_CYCLE_2) | instskip(NEXT) | instid1(VALU_DEP_2)
	v_s_rcp_f32 s0, s0
	v_xor_b32_e32 v8, v4, v6
	s_delay_alu instid0(VALU_DEP_3) | instskip(NEXT) | instid1(TRANS32_DEP_1)
	v_dual_mov_b32 v17, v2 :: v_dual_bitop2_b32 v12, v5, v6 bitop3:0x14
	s_mul_f32 s0, s0, 0x5f7ffffc
	s_delay_alu instid0(SALU_CYCLE_3) | instskip(NEXT) | instid1(SALU_CYCLE_3)
	s_mul_f32 s2, s0, 0x2f800000
	s_trunc_f32 s2, s2
	s_delay_alu instid0(SALU_CYCLE_3) | instskip(SKIP_1) | instid1(SALU_CYCLE_2)
	s_fmamk_f32 s0, s2, 0xcf800000, s0
	s_cvt_u32_f32 s41, s2
	s_cvt_u32_f32 s40, s0
	s_delay_alu instid0(SALU_CYCLE_3) | instskip(NEXT) | instid1(SALU_CYCLE_1)
	s_mul_u64 s[46:47], s[42:43], s[40:41]
	s_mul_hi_u32 s49, s40, s47
	s_mul_i32 s48, s40, s47
	s_mul_hi_u32 s2, s40, s46
	s_mul_i32 s31, s41, s46
	s_add_nc_u64 s[48:49], s[2:3], s[48:49]
	s_mul_hi_u32 s0, s41, s46
	s_mul_hi_u32 s45, s41, s47
	s_add_co_u32 s2, s48, s31
	s_add_co_ci_u32 s2, s49, s0
	s_mul_i32 s46, s41, s47
	s_add_co_ci_u32 s47, s45, 0
	s_delay_alu instid0(SALU_CYCLE_1) | instskip(NEXT) | instid1(SALU_CYCLE_1)
	s_add_nc_u64 s[46:47], s[2:3], s[46:47]
	s_add_co_u32 s40, s40, s46
	s_cselect_b32 s0, -1, 0
	s_delay_alu instid0(SALU_CYCLE_1) | instskip(SKIP_1) | instid1(SALU_CYCLE_1)
	s_cmp_lg_u32 s0, 0
	s_add_co_ci_u32 s41, s41, s47
	s_mul_u64 s[42:43], s[42:43], s[40:41]
	s_delay_alu instid0(SALU_CYCLE_1)
	s_mul_hi_u32 s47, s40, s43
	s_mul_i32 s46, s40, s43
	s_mul_hi_u32 s2, s40, s42
	s_mul_i32 s31, s41, s42
	s_add_nc_u64 s[46:47], s[2:3], s[46:47]
	s_mul_hi_u32 s0, s41, s42
	s_mul_hi_u32 s45, s41, s43
	s_add_co_u32 s2, s46, s31
	s_add_co_ci_u32 s2, s47, s0
	s_mul_i32 s42, s41, s43
	s_add_co_ci_u32 s43, s45, 0
	s_delay_alu instid0(SALU_CYCLE_1) | instskip(NEXT) | instid1(SALU_CYCLE_1)
	s_add_nc_u64 s[42:43], s[2:3], s[42:43]
	s_add_co_u32 s0, s40, s42
	s_cselect_b32 s2, -1, 0
	v_mul_hi_u32 v16, v8, s0
	s_cmp_lg_u32 s2, 0
	s_add_co_ci_u32 s2, s41, s43
	s_and_b64 s[40:41], s[0:1], s[28:29]
	v_mul_u64_e32 v[10:11], s[2:3], v[8:9]
	v_mul_u64_e32 v[4:5], s[40:41], v[12:13]
	;; [unrolled: 1-line block ×3, first 2 shown]
	s_delay_alu instid0(VALU_DEP_3) | instskip(NEXT) | instid1(VALU_DEP_1)
	v_add_nc_u64_e32 v[10:11], v[16:17], v[10:11]
	v_add_co_u32 v3, vcc_lo, v10, v4
	s_delay_alu instid0(VALU_DEP_2) | instskip(NEXT) | instid1(VALU_DEP_4)
	v_add_co_ci_u32_e32 v16, vcc_lo, v11, v5, vcc_lo
	v_add_co_ci_u32_e32 v15, vcc_lo, 0, v15, vcc_lo
	s_delay_alu instid0(VALU_DEP_1) | instskip(NEXT) | instid1(VALU_DEP_1)
	v_add_nc_u64_e32 v[4:5], v[16:17], v[14:15]
	v_mul_u64_e32 v[10:11], s[36:37], v[4:5]
	s_delay_alu instid0(VALU_DEP_1) | instskip(NEXT) | instid1(VALU_DEP_2)
	v_sub_nc_u32_e32 v3, v12, v11
	v_sub_co_u32 v7, vcc_lo, v8, v10
	s_delay_alu instid0(VALU_DEP_1) | instskip(NEXT) | instid1(VALU_DEP_3)
	v_sub_co_ci_u32_e64 v12, null, v12, v11, vcc_lo
	v_subrev_co_ci_u32_e64 v3, null, s37, v3, vcc_lo
	s_delay_alu instid0(VALU_DEP_3) | instskip(SKIP_1) | instid1(VALU_DEP_3)
	v_sub_co_u32 v8, s0, v7, s36
	v_add_nc_u64_e32 v[10:11], 1, v[4:5]
	v_subrev_co_ci_u32_e64 v3, null, 0, v3, s0
	s_delay_alu instid0(VALU_DEP_3) | instskip(SKIP_1) | instid1(VALU_DEP_3)
	v_cmp_le_u32_e32 vcc_lo, s36, v8
	v_cndmask_b32_e64 v8, 0, -1, vcc_lo
	v_cmp_le_u32_e32 vcc_lo, s37, v3
	v_cndmask_b32_e64 v9, 0, -1, vcc_lo
	v_cmp_le_u32_e32 vcc_lo, s36, v7
	v_cndmask_b32_e64 v7, 0, -1, vcc_lo
	v_cmp_le_u32_e32 vcc_lo, s37, v12
	v_cndmask_b32_e64 v13, 0, -1, vcc_lo
	v_cmp_eq_u32_e32 vcc_lo, s37, v3
	v_cndmask_b32_e32 v3, v9, v8, vcc_lo
	v_cmp_eq_u32_e32 vcc_lo, s37, v12
	v_add_nc_u64_e32 v[8:9], 2, v[4:5]
	v_cndmask_b32_e32 v7, v13, v7, vcc_lo
	s_delay_alu instid0(VALU_DEP_4) | instskip(NEXT) | instid1(VALU_DEP_3)
	v_cmp_ne_u32_e32 vcc_lo, 0, v3
	v_cndmask_b32_e32 v3, v11, v9, vcc_lo
	s_delay_alu instid0(VALU_DEP_3) | instskip(SKIP_1) | instid1(VALU_DEP_2)
	v_cmp_ne_u32_e64 s0, 0, v7
	v_dual_cndmask_b32 v7, v10, v8, vcc_lo :: v_dual_bitop2_b32 v6, s30, v6 bitop3:0x14
	v_cndmask_b32_e64 v3, v5, v3, s0
	s_delay_alu instid0(VALU_DEP_2) | instskip(NEXT) | instid1(VALU_DEP_2)
	v_dual_cndmask_b32 v4, v4, v7, s0 :: v_dual_mov_b32 v7, v6
	v_xor_b32_e32 v5, v3, v6
	s_delay_alu instid0(VALU_DEP_2) | instskip(NEXT) | instid1(VALU_DEP_1)
	v_xor_b32_e32 v4, v4, v6
	v_sub_nc_u64_e32 v[6:7], v[4:5], v[6:7]
                                        ; implicit-def: $vgpr4_vgpr5
.LBB5_14:                               ;   in Loop: Header=BB5_4 Depth=1
	s_and_not1_saveexec_b32 s0, s39
	s_cbranch_execz .LBB5_2
; %bb.15:                               ;   in Loop: Header=BB5_4 Depth=1
	v_cvt_f32_u32_e32 v3, s24
	s_sub_co_i32 s2, 0, s24
	s_delay_alu instid0(VALU_DEP_1) | instskip(SKIP_1) | instid1(TRANS32_DEP_1)
	v_rcp_iflag_f32_e32 v3, v3
	v_nop
	v_mul_f32_e32 v3, 0x4f7ffffe, v3
	s_delay_alu instid0(VALU_DEP_1) | instskip(NEXT) | instid1(VALU_DEP_1)
	v_cvt_u32_f32_e32 v3, v3
	v_mul_lo_u32 v5, s2, v3
	s_delay_alu instid0(VALU_DEP_1) | instskip(NEXT) | instid1(VALU_DEP_1)
	v_mul_hi_u32 v5, v3, v5
	v_add_nc_u32_e32 v3, v3, v5
	s_delay_alu instid0(VALU_DEP_1) | instskip(NEXT) | instid1(VALU_DEP_1)
	v_mul_hi_u32 v3, v4, v3
	v_mul_lo_u32 v5, v3, s24
	s_delay_alu instid0(VALU_DEP_1) | instskip(NEXT) | instid1(VALU_DEP_1)
	v_dual_sub_nc_u32 v4, v4, v5 :: v_dual_add_nc_u32 v5, 1, v3
	v_subrev_nc_u32_e32 v6, s24, v4
	v_cmp_le_u32_e32 vcc_lo, s24, v4
	s_delay_alu instid0(VALU_DEP_2) | instskip(NEXT) | instid1(VALU_DEP_1)
	v_dual_cndmask_b32 v4, v4, v6 :: v_dual_cndmask_b32 v3, v3, v5
	v_cmp_le_u32_e32 vcc_lo, s24, v4
	s_delay_alu instid0(VALU_DEP_2) | instskip(NEXT) | instid1(VALU_DEP_1)
	v_add_nc_u32_e32 v5, 1, v3
	v_cndmask_b32_e32 v6, v3, v5, vcc_lo
	s_branch .LBB5_2
.LBB5_16:
	s_endpgm
	.section	.rodata,"a",@progbits
	.p2align	6, 0x0
	.amdhsa_kernel _ZN2at4cuda17kernelHistogram1DIlhlLi1ELi2ELin1ELNS0_23CUDAHistogramMemoryTypeE1EZNS0_21CUDA_tensor_histogramIlhLb0EEEbNS_6TensorES4_S4_lNS_14AccumulateTypeIT0_Lb1EE4typeES8_NS0_13TensorArgTypeES9_S9_EUllE_EEvNS0_6detail10TensorInfoIT_T1_EESF_NSC_IKS6_SE_EElS8_S8_SE_T6_
		.amdhsa_group_segment_fixed_size 0
		.amdhsa_private_segment_fixed_size 0
		.amdhsa_kernarg_size 1952
		.amdhsa_user_sgpr_count 2
		.amdhsa_user_sgpr_dispatch_ptr 0
		.amdhsa_user_sgpr_queue_ptr 0
		.amdhsa_user_sgpr_kernarg_segment_ptr 1
		.amdhsa_user_sgpr_dispatch_id 0
		.amdhsa_user_sgpr_kernarg_preload_length 0
		.amdhsa_user_sgpr_kernarg_preload_offset 0
		.amdhsa_user_sgpr_private_segment_size 0
		.amdhsa_wavefront_size32 1
		.amdhsa_uses_dynamic_stack 0
		.amdhsa_enable_private_segment 0
		.amdhsa_system_sgpr_workgroup_id_x 1
		.amdhsa_system_sgpr_workgroup_id_y 0
		.amdhsa_system_sgpr_workgroup_id_z 0
		.amdhsa_system_sgpr_workgroup_info 0
		.amdhsa_system_vgpr_workitem_id 0
		.amdhsa_next_free_vgpr 22
		.amdhsa_next_free_sgpr 55
		.amdhsa_named_barrier_count 0
		.amdhsa_reserve_vcc 1
		.amdhsa_float_round_mode_32 0
		.amdhsa_float_round_mode_16_64 0
		.amdhsa_float_denorm_mode_32 3
		.amdhsa_float_denorm_mode_16_64 3
		.amdhsa_fp16_overflow 0
		.amdhsa_memory_ordered 1
		.amdhsa_forward_progress 1
		.amdhsa_inst_pref_size 17
		.amdhsa_round_robin_scheduling 0
		.amdhsa_exception_fp_ieee_invalid_op 0
		.amdhsa_exception_fp_denorm_src 0
		.amdhsa_exception_fp_ieee_div_zero 0
		.amdhsa_exception_fp_ieee_overflow 0
		.amdhsa_exception_fp_ieee_underflow 0
		.amdhsa_exception_fp_ieee_inexact 0
		.amdhsa_exception_int_div_zero 0
	.end_amdhsa_kernel
	.section	.text._ZN2at4cuda17kernelHistogram1DIlhlLi1ELi2ELin1ELNS0_23CUDAHistogramMemoryTypeE1EZNS0_21CUDA_tensor_histogramIlhLb0EEEbNS_6TensorES4_S4_lNS_14AccumulateTypeIT0_Lb1EE4typeES8_NS0_13TensorArgTypeES9_S9_EUllE_EEvNS0_6detail10TensorInfoIT_T1_EESF_NSC_IKS6_SE_EElS8_S8_SE_T6_,"axG",@progbits,_ZN2at4cuda17kernelHistogram1DIlhlLi1ELi2ELin1ELNS0_23CUDAHistogramMemoryTypeE1EZNS0_21CUDA_tensor_histogramIlhLb0EEEbNS_6TensorES4_S4_lNS_14AccumulateTypeIT0_Lb1EE4typeES8_NS0_13TensorArgTypeES9_S9_EUllE_EEvNS0_6detail10TensorInfoIT_T1_EESF_NSC_IKS6_SE_EElS8_S8_SE_T6_,comdat
.Lfunc_end5:
	.size	_ZN2at4cuda17kernelHistogram1DIlhlLi1ELi2ELin1ELNS0_23CUDAHistogramMemoryTypeE1EZNS0_21CUDA_tensor_histogramIlhLb0EEEbNS_6TensorES4_S4_lNS_14AccumulateTypeIT0_Lb1EE4typeES8_NS0_13TensorArgTypeES9_S9_EUllE_EEvNS0_6detail10TensorInfoIT_T1_EESF_NSC_IKS6_SE_EElS8_S8_SE_T6_, .Lfunc_end5-_ZN2at4cuda17kernelHistogram1DIlhlLi1ELi2ELin1ELNS0_23CUDAHistogramMemoryTypeE1EZNS0_21CUDA_tensor_histogramIlhLb0EEEbNS_6TensorES4_S4_lNS_14AccumulateTypeIT0_Lb1EE4typeES8_NS0_13TensorArgTypeES9_S9_EUllE_EEvNS0_6detail10TensorInfoIT_T1_EESF_NSC_IKS6_SE_EElS8_S8_SE_T6_
                                        ; -- End function
	.set _ZN2at4cuda17kernelHistogram1DIlhlLi1ELi2ELin1ELNS0_23CUDAHistogramMemoryTypeE1EZNS0_21CUDA_tensor_histogramIlhLb0EEEbNS_6TensorES4_S4_lNS_14AccumulateTypeIT0_Lb1EE4typeES8_NS0_13TensorArgTypeES9_S9_EUllE_EEvNS0_6detail10TensorInfoIT_T1_EESF_NSC_IKS6_SE_EElS8_S8_SE_T6_.num_vgpr, 22
	.set _ZN2at4cuda17kernelHistogram1DIlhlLi1ELi2ELin1ELNS0_23CUDAHistogramMemoryTypeE1EZNS0_21CUDA_tensor_histogramIlhLb0EEEbNS_6TensorES4_S4_lNS_14AccumulateTypeIT0_Lb1EE4typeES8_NS0_13TensorArgTypeES9_S9_EUllE_EEvNS0_6detail10TensorInfoIT_T1_EESF_NSC_IKS6_SE_EElS8_S8_SE_T6_.num_agpr, 0
	.set _ZN2at4cuda17kernelHistogram1DIlhlLi1ELi2ELin1ELNS0_23CUDAHistogramMemoryTypeE1EZNS0_21CUDA_tensor_histogramIlhLb0EEEbNS_6TensorES4_S4_lNS_14AccumulateTypeIT0_Lb1EE4typeES8_NS0_13TensorArgTypeES9_S9_EUllE_EEvNS0_6detail10TensorInfoIT_T1_EESF_NSC_IKS6_SE_EElS8_S8_SE_T6_.numbered_sgpr, 55
	.set _ZN2at4cuda17kernelHistogram1DIlhlLi1ELi2ELin1ELNS0_23CUDAHistogramMemoryTypeE1EZNS0_21CUDA_tensor_histogramIlhLb0EEEbNS_6TensorES4_S4_lNS_14AccumulateTypeIT0_Lb1EE4typeES8_NS0_13TensorArgTypeES9_S9_EUllE_EEvNS0_6detail10TensorInfoIT_T1_EESF_NSC_IKS6_SE_EElS8_S8_SE_T6_.num_named_barrier, 0
	.set _ZN2at4cuda17kernelHistogram1DIlhlLi1ELi2ELin1ELNS0_23CUDAHistogramMemoryTypeE1EZNS0_21CUDA_tensor_histogramIlhLb0EEEbNS_6TensorES4_S4_lNS_14AccumulateTypeIT0_Lb1EE4typeES8_NS0_13TensorArgTypeES9_S9_EUllE_EEvNS0_6detail10TensorInfoIT_T1_EESF_NSC_IKS6_SE_EElS8_S8_SE_T6_.private_seg_size, 0
	.set _ZN2at4cuda17kernelHistogram1DIlhlLi1ELi2ELin1ELNS0_23CUDAHistogramMemoryTypeE1EZNS0_21CUDA_tensor_histogramIlhLb0EEEbNS_6TensorES4_S4_lNS_14AccumulateTypeIT0_Lb1EE4typeES8_NS0_13TensorArgTypeES9_S9_EUllE_EEvNS0_6detail10TensorInfoIT_T1_EESF_NSC_IKS6_SE_EElS8_S8_SE_T6_.uses_vcc, 1
	.set _ZN2at4cuda17kernelHistogram1DIlhlLi1ELi2ELin1ELNS0_23CUDAHistogramMemoryTypeE1EZNS0_21CUDA_tensor_histogramIlhLb0EEEbNS_6TensorES4_S4_lNS_14AccumulateTypeIT0_Lb1EE4typeES8_NS0_13TensorArgTypeES9_S9_EUllE_EEvNS0_6detail10TensorInfoIT_T1_EESF_NSC_IKS6_SE_EElS8_S8_SE_T6_.uses_flat_scratch, 0
	.set _ZN2at4cuda17kernelHistogram1DIlhlLi1ELi2ELin1ELNS0_23CUDAHistogramMemoryTypeE1EZNS0_21CUDA_tensor_histogramIlhLb0EEEbNS_6TensorES4_S4_lNS_14AccumulateTypeIT0_Lb1EE4typeES8_NS0_13TensorArgTypeES9_S9_EUllE_EEvNS0_6detail10TensorInfoIT_T1_EESF_NSC_IKS6_SE_EElS8_S8_SE_T6_.has_dyn_sized_stack, 0
	.set _ZN2at4cuda17kernelHistogram1DIlhlLi1ELi2ELin1ELNS0_23CUDAHistogramMemoryTypeE1EZNS0_21CUDA_tensor_histogramIlhLb0EEEbNS_6TensorES4_S4_lNS_14AccumulateTypeIT0_Lb1EE4typeES8_NS0_13TensorArgTypeES9_S9_EUllE_EEvNS0_6detail10TensorInfoIT_T1_EESF_NSC_IKS6_SE_EElS8_S8_SE_T6_.has_recursion, 0
	.set _ZN2at4cuda17kernelHistogram1DIlhlLi1ELi2ELin1ELNS0_23CUDAHistogramMemoryTypeE1EZNS0_21CUDA_tensor_histogramIlhLb0EEEbNS_6TensorES4_S4_lNS_14AccumulateTypeIT0_Lb1EE4typeES8_NS0_13TensorArgTypeES9_S9_EUllE_EEvNS0_6detail10TensorInfoIT_T1_EESF_NSC_IKS6_SE_EElS8_S8_SE_T6_.has_indirect_call, 0
	.section	.AMDGPU.csdata,"",@progbits
; Kernel info:
; codeLenInByte = 2108
; TotalNumSgprs: 57
; NumVgprs: 22
; ScratchSize: 0
; MemoryBound: 0
; FloatMode: 240
; IeeeMode: 1
; LDSByteSize: 0 bytes/workgroup (compile time only)
; SGPRBlocks: 0
; VGPRBlocks: 1
; NumSGPRsForWavesPerEU: 57
; NumVGPRsForWavesPerEU: 22
; NamedBarCnt: 0
; Occupancy: 16
; WaveLimiterHint : 1
; COMPUTE_PGM_RSRC2:SCRATCH_EN: 0
; COMPUTE_PGM_RSRC2:USER_SGPR: 2
; COMPUTE_PGM_RSRC2:TRAP_HANDLER: 0
; COMPUTE_PGM_RSRC2:TGID_X_EN: 1
; COMPUTE_PGM_RSRC2:TGID_Y_EN: 0
; COMPUTE_PGM_RSRC2:TGID_Z_EN: 0
; COMPUTE_PGM_RSRC2:TIDIG_COMP_CNT: 0
	.section	.text._ZN2at4cuda17kernelHistogram1DIlhlLi1ELi2ELin1ELNS0_23CUDAHistogramMemoryTypeE0EZNS0_21CUDA_tensor_histogramIlhLb0EEEbNS_6TensorES4_S4_lNS_14AccumulateTypeIT0_Lb1EE4typeES8_NS0_13TensorArgTypeES9_S9_EUllE0_EEvNS0_6detail10TensorInfoIT_T1_EESF_NSC_IKS6_SE_EElS8_S8_SE_T6_,"axG",@progbits,_ZN2at4cuda17kernelHistogram1DIlhlLi1ELi2ELin1ELNS0_23CUDAHistogramMemoryTypeE0EZNS0_21CUDA_tensor_histogramIlhLb0EEEbNS_6TensorES4_S4_lNS_14AccumulateTypeIT0_Lb1EE4typeES8_NS0_13TensorArgTypeES9_S9_EUllE0_EEvNS0_6detail10TensorInfoIT_T1_EESF_NSC_IKS6_SE_EElS8_S8_SE_T6_,comdat
	.protected	_ZN2at4cuda17kernelHistogram1DIlhlLi1ELi2ELin1ELNS0_23CUDAHistogramMemoryTypeE0EZNS0_21CUDA_tensor_histogramIlhLb0EEEbNS_6TensorES4_S4_lNS_14AccumulateTypeIT0_Lb1EE4typeES8_NS0_13TensorArgTypeES9_S9_EUllE0_EEvNS0_6detail10TensorInfoIT_T1_EESF_NSC_IKS6_SE_EElS8_S8_SE_T6_ ; -- Begin function _ZN2at4cuda17kernelHistogram1DIlhlLi1ELi2ELin1ELNS0_23CUDAHistogramMemoryTypeE0EZNS0_21CUDA_tensor_histogramIlhLb0EEEbNS_6TensorES4_S4_lNS_14AccumulateTypeIT0_Lb1EE4typeES8_NS0_13TensorArgTypeES9_S9_EUllE0_EEvNS0_6detail10TensorInfoIT_T1_EESF_NSC_IKS6_SE_EElS8_S8_SE_T6_
	.globl	_ZN2at4cuda17kernelHistogram1DIlhlLi1ELi2ELin1ELNS0_23CUDAHistogramMemoryTypeE0EZNS0_21CUDA_tensor_histogramIlhLb0EEEbNS_6TensorES4_S4_lNS_14AccumulateTypeIT0_Lb1EE4typeES8_NS0_13TensorArgTypeES9_S9_EUllE0_EEvNS0_6detail10TensorInfoIT_T1_EESF_NSC_IKS6_SE_EElS8_S8_SE_T6_
	.p2align	8
	.type	_ZN2at4cuda17kernelHistogram1DIlhlLi1ELi2ELin1ELNS0_23CUDAHistogramMemoryTypeE0EZNS0_21CUDA_tensor_histogramIlhLb0EEEbNS_6TensorES4_S4_lNS_14AccumulateTypeIT0_Lb1EE4typeES8_NS0_13TensorArgTypeES9_S9_EUllE0_EEvNS0_6detail10TensorInfoIT_T1_EESF_NSC_IKS6_SE_EElS8_S8_SE_T6_,@function
_ZN2at4cuda17kernelHistogram1DIlhlLi1ELi2ELin1ELNS0_23CUDAHistogramMemoryTypeE0EZNS0_21CUDA_tensor_histogramIlhLb0EEEbNS_6TensorES4_S4_lNS_14AccumulateTypeIT0_Lb1EE4typeES8_NS0_13TensorArgTypeES9_S9_EUllE0_EEvNS0_6detail10TensorInfoIT_T1_EESF_NSC_IKS6_SE_EElS8_S8_SE_T6_: ; @_ZN2at4cuda17kernelHistogram1DIlhlLi1ELi2ELin1ELNS0_23CUDAHistogramMemoryTypeE0EZNS0_21CUDA_tensor_histogramIlhLb0EEEbNS_6TensorES4_S4_lNS_14AccumulateTypeIT0_Lb1EE4typeES8_NS0_13TensorArgTypeES9_S9_EUllE0_EEvNS0_6detail10TensorInfoIT_T1_EESF_NSC_IKS6_SE_EElS8_S8_SE_T6_
; %bb.0:
	s_load_b128 s[12:15], s[0:1], 0x0
	v_mov_b32_e32 v1, 0
	s_add_nc_u64 s[24:25], s[0:1], 0x508
	s_mov_b32 s3, exec_lo
                                        ; implicit-def: $sgpr4
                                        ; implicit-def: $sgpr5
	s_wait_kmcnt 0x0
	s_delay_alu instid0(VALU_DEP_1)
	v_cmp_gt_i64_e64 s2, s[14:15], v[0:1]
	v_cmpx_le_i64_e64 s[14:15], v[0:1]
	s_xor_b32 s3, exec_lo, s3
	s_cbranch_execz .LBB6_2
; %bb.1:
	s_load_b32 s4, s[24:25], 0xc
	s_wait_kmcnt 0x0
	s_and_b32 s5, s4, 0xffff
.LBB6_2:
	s_or_saveexec_b32 s3, s3
	v_dual_mov_b32 v18, s4 :: v_dual_mov_b32 v17, s5
	v_lshl_add_u32 v16, v0, 3, 0
	s_xor_b32 exec_lo, exec_lo, s3
	s_cbranch_execz .LBB6_6
; %bb.3:
	s_load_b32 s6, s[24:25], 0xc
	v_mov_b64_e32 v[2:3], 0
	v_mov_b64_e32 v[4:5], v[0:1]
	v_lshl_add_u32 v6, v0, 3, 0
	s_mov_b32 s5, 0
	s_delay_alu instid0(SALU_CYCLE_1) | instskip(SKIP_2) | instid1(SALU_CYCLE_1)
	s_mov_b32 s7, s5
	s_wait_kmcnt 0x0
	s_and_b32 s4, s6, 0xffff
	s_lshl_b32 s8, s4, 3
.LBB6_4:                                ; =>This Inner Loop Header: Depth=1
	v_add_nc_u64_e32 v[4:5], s[4:5], v[4:5]
	ds_store_b64 v6, v[2:3]
	v_add_nc_u32_e32 v6, s8, v6
	v_cmp_le_i64_e32 vcc_lo, s[14:15], v[4:5]
	s_or_b32 s7, vcc_lo, s7
	s_delay_alu instid0(SALU_CYCLE_1)
	s_and_not1_b32 exec_lo, exec_lo, s7
	s_cbranch_execnz .LBB6_4
; %bb.5:
	s_or_b32 exec_lo, exec_lo, s7
	v_dual_mov_b32 v18, s6 :: v_dual_mov_b32 v17, s4
.LBB6_6:
	s_or_b32 exec_lo, exec_lo, s3
	s_bfe_u32 s3, ttmp6, 0x4000c
	s_clause 0x1
	s_load_b64 s[16:17], s[0:1], 0xd0
	s_load_b256 s[4:11], s[0:1], 0x4e0
	s_add_co_i32 s3, s3, 1
	s_and_b32 s18, ttmp6, 15
	s_mul_i32 s3, ttmp9, s3
	s_getreg_b32 s19, hwreg(HW_REG_IB_STS2, 6, 4)
	s_add_co_i32 s18, s18, s3
	s_cmp_eq_u32 s19, 0
	v_mov_b32_e32 v4, 0
	s_cselect_b32 s3, ttmp9, s18
	s_mov_b32 s19, 0
	v_mad_u32 v2, s3, v17, v0
	s_mov_b32 s3, exec_lo
	v_mov_b32_e32 v3, v4
	s_wait_dscnt 0x0
	s_barrier_signal -1
	s_barrier_wait -1
	s_wait_kmcnt 0x0
	s_delay_alu instid0(VALU_DEP_2)
	v_cmpx_gt_i64_e64 s[10:11], v[2:3]
	s_cbranch_execz .LBB6_22
; %bb.7:
	s_load_b32 s33, s[0:1], 0x4d8
	s_load_b32 s18, s[24:25], 0x0
	s_clause 0x1
	s_load_b64 s[20:21], s[0:1], 0x410
	s_load_b64 s[22:23], s[0:1], 0x340
	s_add_nc_u64 s[28:29], s[0:1], 0x340
	v_mov_b64_e32 v[8:9], 1
	v_mov_b32_e32 v7, v4
	s_wait_xcnt 0x0
	s_sub_nc_u64 s[24:25], s[8:9], s[6:7]
	s_mov_b64 s[26:27], 0xffffffff
	s_mov_b32 s42, 0
	s_wait_kmcnt 0x0
	s_cmp_gt_i32 s33, 1
	v_mul_lo_u32 v6, s18, v17
	s_cselect_b32 s1, -1, 0
	s_add_co_i32 s18, s33, -1
	s_add_co_i32 s33, s33, 1
	s_lshl_b64 s[30:31], s[18:19], 3
	s_delay_alu instid0(SALU_CYCLE_1)
	s_add_nc_u64 s[28:29], s[28:29], s[30:31]
	s_ashr_i32 s30, s25, 31
	s_add_nc_u64 s[28:29], s[28:29], 8
	s_branch .LBB6_10
.LBB6_8:                                ;   in Loop: Header=BB6_10 Depth=1
	s_or_b32 exec_lo, exec_lo, s0
	s_delay_alu instid0(VALU_DEP_1) | instskip(NEXT) | instid1(VALU_DEP_1)
	v_ashrrev_i32_e32 v13, 31, v12
	v_cmp_eq_u64_e32 vcc_lo, s[4:5], v[12:13]
	v_subrev_co_ci_u32_e64 v5, null, 0, v12, vcc_lo
	s_delay_alu instid0(VALU_DEP_1)
	v_lshl_add_u32 v5, v5, 3, 0
	ds_add_u64 v5, v[8:9]
.LBB6_9:                                ;   in Loop: Header=BB6_10 Depth=1
	s_or_b32 exec_lo, exec_lo, s36
	v_add_nc_u64_e32 v[2:3], v[2:3], v[6:7]
	s_delay_alu instid0(VALU_DEP_1) | instskip(SKIP_1) | instid1(SALU_CYCLE_1)
	v_cmp_le_i64_e32 vcc_lo, s[10:11], v[2:3]
	s_or_b32 s42, vcc_lo, s42
	s_and_not1_b32 exec_lo, exec_lo, s42
	s_cbranch_execz .LBB6_22
.LBB6_10:                               ; =>This Loop Header: Depth=1
                                        ;     Child Loop BB6_11 Depth 2
	v_mov_b64_e32 v[10:11], 0
	v_mov_b64_e32 v[12:13], v[2:3]
	;; [unrolled: 1-line block ×3, first 2 shown]
	s_and_not1_b32 vcc_lo, exec_lo, s1
	s_mov_b64 s[34:35], s[28:29]
	s_mov_b32 s31, s33
	s_cbranch_vccnz .LBB6_17
.LBB6_11:                               ;   Parent Loop BB6_10 Depth=1
                                        ; =>  This Inner Loop Header: Depth=2
	s_load_b64 s[36:37], s[34:35], 0x0
                                        ; implicit-def: $vgpr14_vgpr15
	s_mov_b32 s0, exec_lo
	s_wait_kmcnt 0x0
	s_delay_alu instid0(VALU_DEP_1) | instskip(NEXT) | instid1(VALU_DEP_1)
	v_or_b32_e32 v5, s37, v13
	v_cmpx_ne_u64_e32 0, v[4:5]
	s_xor_b32 s43, exec_lo, s0
	s_cbranch_execz .LBB6_13
; %bb.12:                               ;   in Loop: Header=BB6_11 Depth=2
	s_ashr_i32 s38, s37, 31
	v_dual_mov_b32 v23, v4 :: v_dual_ashrrev_i32 v14, 31, v13
	s_mov_b32 s39, s38
	s_delay_alu instid0(SALU_CYCLE_1) | instskip(NEXT) | instid1(VALU_DEP_1)
	s_add_nc_u64 s[40:41], s[36:37], s[38:39]
	v_mov_b32_e32 v15, v14
	s_xor_b64 s[40:41], s[40:41], s[38:39]
	s_delay_alu instid0(SALU_CYCLE_1)
	s_cvt_f32_u32 s0, s40
	s_cvt_f32_u32 s18, s41
	s_sub_nc_u64 s[46:47], 0, s[40:41]
	v_add_nc_u64_e32 v[20:21], v[12:13], v[14:15]
	v_mov_b32_e32 v27, v4
	s_fmamk_f32 s0, s18, 0x4f800000, s0
	s_delay_alu instid0(SALU_CYCLE_3) | instskip(NEXT) | instid1(VALU_DEP_2)
	v_s_rcp_f32 s0, s0
	v_xor_b32_e32 v22, v20, v14
	s_delay_alu instid0(VALU_DEP_3) | instskip(SKIP_1) | instid1(TRANS32_DEP_1)
	v_dual_mov_b32 v31, v4 :: v_dual_bitop2_b32 v26, v21, v14 bitop3:0x14
	v_xor_b32_e32 v14, s38, v14
	s_mul_f32 s0, s0, 0x5f7ffffc
	s_delay_alu instid0(SALU_CYCLE_3) | instskip(NEXT) | instid1(SALU_CYCLE_3)
	s_mul_f32 s18, s0, 0x2f800000
	s_trunc_f32 s18, s18
	s_delay_alu instid0(SALU_CYCLE_3) | instskip(SKIP_1) | instid1(SALU_CYCLE_2)
	s_fmamk_f32 s0, s18, 0xcf800000, s0
	s_cvt_u32_f32 s45, s18
	s_cvt_u32_f32 s44, s0
	s_delay_alu instid0(SALU_CYCLE_3) | instskip(NEXT) | instid1(SALU_CYCLE_1)
	s_mul_u64 s[48:49], s[46:47], s[44:45]
	s_mul_hi_u32 s51, s44, s49
	s_mul_i32 s50, s44, s49
	s_mul_hi_u32 s18, s44, s48
	s_mul_i32 s39, s45, s48
	s_add_nc_u64 s[50:51], s[18:19], s[50:51]
	s_mul_hi_u32 s0, s45, s48
	s_mul_hi_u32 s52, s45, s49
	s_add_co_u32 s18, s50, s39
	s_add_co_ci_u32 s18, s51, s0
	s_mul_i32 s48, s45, s49
	s_add_co_ci_u32 s49, s52, 0
	s_delay_alu instid0(SALU_CYCLE_1) | instskip(NEXT) | instid1(SALU_CYCLE_1)
	s_add_nc_u64 s[48:49], s[18:19], s[48:49]
	s_add_co_u32 s44, s44, s48
	s_cselect_b32 s0, -1, 0
	s_delay_alu instid0(SALU_CYCLE_1) | instskip(SKIP_1) | instid1(SALU_CYCLE_1)
	s_cmp_lg_u32 s0, 0
	s_add_co_ci_u32 s45, s45, s49
	s_mul_u64 s[46:47], s[46:47], s[44:45]
	s_delay_alu instid0(SALU_CYCLE_1)
	s_mul_hi_u32 s49, s44, s47
	s_mul_i32 s48, s44, s47
	s_mul_hi_u32 s18, s44, s46
	s_mul_i32 s39, s45, s46
	s_add_nc_u64 s[48:49], s[18:19], s[48:49]
	s_mul_hi_u32 s0, s45, s46
	s_mul_hi_u32 s50, s45, s47
	s_add_co_u32 s18, s48, s39
	s_add_co_ci_u32 s18, s49, s0
	s_mul_i32 s46, s45, s47
	s_add_co_ci_u32 s47, s50, 0
	s_delay_alu instid0(SALU_CYCLE_1) | instskip(NEXT) | instid1(SALU_CYCLE_1)
	s_add_nc_u64 s[46:47], s[18:19], s[46:47]
	s_add_co_u32 s0, s44, s46
	s_cselect_b32 s18, -1, 0
	v_mul_hi_u32 v30, v22, s0
	s_cmp_lg_u32 s18, 0
	s_add_co_ci_u32 s18, s45, s47
	s_and_b64 s[44:45], s[0:1], s[26:27]
	v_mul_u64_e32 v[24:25], s[18:19], v[22:23]
	v_mul_u64_e32 v[20:21], s[44:45], v[26:27]
	;; [unrolled: 1-line block ×3, first 2 shown]
	s_delay_alu instid0(VALU_DEP_3) | instskip(NEXT) | instid1(VALU_DEP_1)
	v_add_nc_u64_e32 v[24:25], v[30:31], v[24:25]
	v_add_co_u32 v5, vcc_lo, v24, v20
	s_delay_alu instid0(VALU_DEP_2) | instskip(NEXT) | instid1(VALU_DEP_4)
	v_add_co_ci_u32_e32 v30, vcc_lo, v25, v21, vcc_lo
	v_add_co_ci_u32_e32 v29, vcc_lo, 0, v29, vcc_lo
	s_delay_alu instid0(VALU_DEP_1) | instskip(NEXT) | instid1(VALU_DEP_1)
	v_add_nc_u64_e32 v[20:21], v[30:31], v[28:29]
	v_mul_u64_e32 v[24:25], s[40:41], v[20:21]
	s_delay_alu instid0(VALU_DEP_1) | instskip(NEXT) | instid1(VALU_DEP_2)
	v_sub_nc_u32_e32 v5, v26, v25
	v_sub_co_u32 v15, vcc_lo, v22, v24
	s_delay_alu instid0(VALU_DEP_1) | instskip(NEXT) | instid1(VALU_DEP_3)
	v_sub_co_ci_u32_e64 v26, null, v26, v25, vcc_lo
	v_subrev_co_ci_u32_e64 v5, null, s41, v5, vcc_lo
	s_delay_alu instid0(VALU_DEP_3) | instskip(SKIP_1) | instid1(VALU_DEP_3)
	v_sub_co_u32 v19, s0, v15, s40
	v_add_nc_u64_e32 v[24:25], 1, v[20:21]
	v_subrev_co_ci_u32_e64 v5, null, 0, v5, s0
	s_delay_alu instid0(VALU_DEP_3) | instskip(SKIP_1) | instid1(VALU_DEP_3)
	v_cmp_le_u32_e32 vcc_lo, s40, v19
	v_cndmask_b32_e64 v19, 0, -1, vcc_lo
	v_cmp_le_u32_e32 vcc_lo, s41, v5
	v_cndmask_b32_e64 v22, 0, -1, vcc_lo
	;; [unrolled: 2-line block ×4, first 2 shown]
	v_cmp_eq_u32_e32 vcc_lo, s41, v5
	v_cndmask_b32_e32 v5, v22, v19, vcc_lo
	v_cmp_eq_u32_e32 vcc_lo, s41, v26
	v_add_nc_u64_e32 v[22:23], 2, v[20:21]
	v_cndmask_b32_e32 v15, v27, v15, vcc_lo
	s_delay_alu instid0(VALU_DEP_4) | instskip(NEXT) | instid1(VALU_DEP_2)
	v_cmp_ne_u32_e32 vcc_lo, 0, v5
	v_cmp_ne_u32_e64 s0, 0, v15
	s_delay_alu instid0(VALU_DEP_4) | instskip(NEXT) | instid1(VALU_DEP_1)
	v_dual_cndmask_b32 v5, v25, v23, vcc_lo :: v_dual_cndmask_b32 v15, v24, v22, vcc_lo
	v_dual_cndmask_b32 v19, v20, v15, s0 :: v_dual_mov_b32 v15, v14
	s_delay_alu instid0(VALU_DEP_1) | instskip(NEXT) | instid1(VALU_DEP_1)
	v_dual_cndmask_b32 v5, v21, v5, s0 :: v_dual_bitop2_b32 v20, v19, v14 bitop3:0x14
	v_xor_b32_e32 v21, v5, v14
	s_delay_alu instid0(VALU_DEP_1)
	v_sub_nc_u64_e32 v[14:15], v[20:21], v[14:15]
.LBB6_13:                               ;   in Loop: Header=BB6_11 Depth=2
	s_and_not1_saveexec_b32 s0, s43
	s_cbranch_execz .LBB6_15
; %bb.14:                               ;   in Loop: Header=BB6_11 Depth=2
	v_cvt_f32_u32_e32 v5, s36
	s_sub_co_i32 s18, 0, s36
	s_delay_alu instid0(VALU_DEP_1) | instskip(SKIP_1) | instid1(TRANS32_DEP_1)
	v_rcp_iflag_f32_e32 v5, v5
	v_nop
	v_mul_f32_e32 v5, 0x4f7ffffe, v5
	s_delay_alu instid0(VALU_DEP_1) | instskip(NEXT) | instid1(VALU_DEP_1)
	v_cvt_u32_f32_e32 v5, v5
	v_mul_lo_u32 v14, s18, v5
	s_delay_alu instid0(VALU_DEP_1) | instskip(NEXT) | instid1(VALU_DEP_1)
	v_mul_hi_u32 v14, v5, v14
	v_add_nc_u32_e32 v5, v5, v14
	s_delay_alu instid0(VALU_DEP_1) | instskip(NEXT) | instid1(VALU_DEP_1)
	v_mul_hi_u32 v5, v12, v5
	v_mul_lo_u32 v14, v5, s36
	s_delay_alu instid0(VALU_DEP_1) | instskip(NEXT) | instid1(VALU_DEP_1)
	v_dual_add_nc_u32 v15, 1, v5 :: v_dual_sub_nc_u32 v14, v12, v14
	v_subrev_nc_u32_e32 v19, s36, v14
	v_cmp_le_u32_e32 vcc_lo, s36, v14
	s_delay_alu instid0(VALU_DEP_2) | instskip(NEXT) | instid1(VALU_DEP_4)
	v_cndmask_b32_e32 v14, v14, v19, vcc_lo
	v_cndmask_b32_e32 v5, v5, v15, vcc_lo
	s_delay_alu instid0(VALU_DEP_2) | instskip(NEXT) | instid1(VALU_DEP_2)
	v_cmp_le_u32_e32 vcc_lo, s36, v14
	v_add_nc_u32_e32 v15, 1, v5
	s_delay_alu instid0(VALU_DEP_1)
	v_dual_cndmask_b32 v14, v5, v15 :: v_dual_mov_b32 v15, v4
.LBB6_15:                               ;   in Loop: Header=BB6_11 Depth=2
	s_or_b32 exec_lo, exec_lo, s0
	s_delay_alu instid0(VALU_DEP_1)
	v_mul_u64_e32 v[20:21], s[36:37], v[14:15]
	s_load_b64 s[36:37], s[34:35], 0xc8
	s_add_co_i32 s31, s31, -1
	s_wait_xcnt 0x0
	s_add_nc_u64 s[34:35], s[34:35], -8
	s_cmp_gt_u32 s31, 2
	s_delay_alu instid0(VALU_DEP_1) | instskip(SKIP_1) | instid1(VALU_DEP_1)
	v_sub_nc_u64_e32 v[12:13], v[12:13], v[20:21]
	s_wait_kmcnt 0x0
	v_mad_nc_u64_u32 v[10:11], s36, v12, v[10:11]
	s_delay_alu instid0(VALU_DEP_1) | instskip(NEXT) | instid1(VALU_DEP_1)
	v_mad_u32 v5, s37, v12, v11
	v_mad_u32 v11, s36, v13, v5
	s_cbranch_scc0 .LBB6_17
; %bb.16:                               ;   in Loop: Header=BB6_11 Depth=2
	v_mov_b64_e32 v[12:13], v[14:15]
	s_branch .LBB6_11
.LBB6_17:                               ;   in Loop: Header=BB6_10 Depth=1
	s_delay_alu instid0(VALU_DEP_1) | instskip(NEXT) | instid1(VALU_DEP_1)
	v_mad_nc_u64_u32 v[12:13], s20, v14, s[22:23]
	v_mad_u32 v5, s21, v14, v13
	s_delay_alu instid0(VALU_DEP_1) | instskip(NEXT) | instid1(VALU_DEP_1)
	v_mad_u32 v13, s20, v15, v5
	v_add_nc_u64_e32 v[10:11], v[12:13], v[10:11]
	global_load_u8 v5, v[10:11], off
	s_wait_xcnt 0x0
	v_mov_b32_e32 v11, s19
	s_wait_loadcnt 0x0
	v_and_b32_e32 v10, 0xffff, v5
	s_delay_alu instid0(VALU_DEP_1) | instskip(SKIP_2) | instid1(SALU_CYCLE_1)
	v_cmp_le_i64_e32 vcc_lo, s[6:7], v[10:11]
	v_cmp_ge_i64_e64 s0, s[8:9], v[10:11]
	s_and_b32 s0, vcc_lo, s0
	s_and_saveexec_b32 s36, s0
	s_cbranch_execz .LBB6_9
; %bb.18:                               ;   in Loop: Header=BB6_10 Depth=1
	v_sub_nc_u64_e64 v[10:11], v[10:11], s[6:7]
                                        ; implicit-def: $vgpr12_vgpr13
	s_mov_b32 s0, exec_lo
	s_delay_alu instid0(VALU_DEP_1) | instskip(NEXT) | instid1(VALU_DEP_1)
	v_mul_u64_e32 v[10:11], s[4:5], v[10:11]
	v_or_b32_e32 v5, s25, v11
	s_delay_alu instid0(VALU_DEP_1)
	v_cmpx_ne_u64_e32 0, v[4:5]
	s_xor_b32 s37, exec_lo, s0
	s_cbranch_execz .LBB6_20
; %bb.19:                               ;   in Loop: Header=BB6_10 Depth=1
	s_mov_b32 s31, s30
	v_dual_mov_b32 v15, v4 :: v_dual_ashrrev_i32 v12, 31, v11
	s_add_nc_u64 s[34:35], s[24:25], s[30:31]
	s_delay_alu instid0(SALU_CYCLE_1) | instskip(NEXT) | instid1(VALU_DEP_1)
	s_xor_b64 s[34:35], s[34:35], s[30:31]
	v_mov_b32_e32 v13, v12
	s_cvt_f32_u32 s0, s34
	s_cvt_f32_u32 s18, s35
	s_sub_nc_u64 s[40:41], 0, s[34:35]
	s_delay_alu instid0(VALU_DEP_1) | instskip(NEXT) | instid1(SALU_CYCLE_1)
	v_add_nc_u64_e32 v[10:11], v[10:11], v[12:13]
	s_fmamk_f32 s0, s18, 0x4f800000, s0
	v_mov_b32_e32 v23, v4
	s_delay_alu instid0(SALU_CYCLE_2) | instskip(NEXT) | instid1(VALU_DEP_2)
	v_s_rcp_f32 s0, s0
	v_xor_b32_e32 v14, v10, v12
	s_delay_alu instid0(VALU_DEP_3) | instskip(NEXT) | instid1(TRANS32_DEP_1)
	v_dual_mov_b32 v27, v4 :: v_dual_bitop2_b32 v22, v11, v12 bitop3:0x14
	s_mul_f32 s0, s0, 0x5f7ffffc
	s_delay_alu instid0(SALU_CYCLE_3) | instskip(NEXT) | instid1(SALU_CYCLE_3)
	s_mul_f32 s18, s0, 0x2f800000
	s_trunc_f32 s18, s18
	s_delay_alu instid0(SALU_CYCLE_3) | instskip(SKIP_1) | instid1(SALU_CYCLE_2)
	s_fmamk_f32 s0, s18, 0xcf800000, s0
	s_cvt_u32_f32 s39, s18
	s_cvt_u32_f32 s38, s0
	s_delay_alu instid0(SALU_CYCLE_3) | instskip(NEXT) | instid1(SALU_CYCLE_1)
	s_mul_u64 s[44:45], s[40:41], s[38:39]
	s_mul_hi_u32 s47, s38, s45
	s_mul_i32 s46, s38, s45
	s_mul_hi_u32 s18, s38, s44
	s_mul_i32 s31, s39, s44
	s_add_nc_u64 s[46:47], s[18:19], s[46:47]
	s_mul_hi_u32 s0, s39, s44
	s_mul_hi_u32 s43, s39, s45
	s_add_co_u32 s18, s46, s31
	s_add_co_ci_u32 s18, s47, s0
	s_mul_i32 s44, s39, s45
	s_add_co_ci_u32 s45, s43, 0
	s_delay_alu instid0(SALU_CYCLE_1) | instskip(NEXT) | instid1(SALU_CYCLE_1)
	s_add_nc_u64 s[44:45], s[18:19], s[44:45]
	s_add_co_u32 s38, s38, s44
	s_cselect_b32 s0, -1, 0
	s_delay_alu instid0(SALU_CYCLE_1) | instskip(SKIP_1) | instid1(SALU_CYCLE_1)
	s_cmp_lg_u32 s0, 0
	s_add_co_ci_u32 s39, s39, s45
	s_mul_u64 s[40:41], s[40:41], s[38:39]
	s_delay_alu instid0(SALU_CYCLE_1)
	s_mul_hi_u32 s45, s38, s41
	s_mul_i32 s44, s38, s41
	s_mul_hi_u32 s18, s38, s40
	s_mul_i32 s31, s39, s40
	s_add_nc_u64 s[44:45], s[18:19], s[44:45]
	s_mul_hi_u32 s0, s39, s40
	s_mul_hi_u32 s43, s39, s41
	s_add_co_u32 s18, s44, s31
	s_add_co_ci_u32 s18, s45, s0
	s_mul_i32 s40, s39, s41
	s_add_co_ci_u32 s41, s43, 0
	s_delay_alu instid0(SALU_CYCLE_1) | instskip(NEXT) | instid1(SALU_CYCLE_1)
	s_add_nc_u64 s[40:41], s[18:19], s[40:41]
	s_add_co_u32 s0, s38, s40
	s_cselect_b32 s18, -1, 0
	v_mul_hi_u32 v26, v14, s0
	s_cmp_lg_u32 s18, 0
	s_add_co_ci_u32 s18, s39, s41
	s_and_b64 s[38:39], s[0:1], s[26:27]
	v_mul_u64_e32 v[20:21], s[18:19], v[14:15]
	v_mul_u64_e32 v[10:11], s[38:39], v[22:23]
	v_mul_u64_e32 v[24:25], s[18:19], v[22:23]
	s_delay_alu instid0(VALU_DEP_3) | instskip(NEXT) | instid1(VALU_DEP_1)
	v_add_nc_u64_e32 v[20:21], v[26:27], v[20:21]
	v_add_co_u32 v5, vcc_lo, v20, v10
	s_delay_alu instid0(VALU_DEP_2) | instskip(NEXT) | instid1(VALU_DEP_4)
	v_add_co_ci_u32_e32 v26, vcc_lo, v21, v11, vcc_lo
	v_add_co_ci_u32_e32 v25, vcc_lo, 0, v25, vcc_lo
	s_delay_alu instid0(VALU_DEP_1) | instskip(NEXT) | instid1(VALU_DEP_1)
	v_add_nc_u64_e32 v[10:11], v[26:27], v[24:25]
	v_mul_u64_e32 v[20:21], s[34:35], v[10:11]
	s_delay_alu instid0(VALU_DEP_1) | instskip(NEXT) | instid1(VALU_DEP_2)
	v_sub_nc_u32_e32 v5, v22, v21
	v_sub_co_u32 v13, vcc_lo, v14, v20
	s_delay_alu instid0(VALU_DEP_1) | instskip(NEXT) | instid1(VALU_DEP_3)
	v_sub_co_ci_u32_e64 v19, null, v22, v21, vcc_lo
	v_subrev_co_ci_u32_e64 v5, null, s35, v5, vcc_lo
	s_delay_alu instid0(VALU_DEP_3) | instskip(SKIP_1) | instid1(VALU_DEP_3)
	v_sub_co_u32 v14, s0, v13, s34
	v_add_nc_u64_e32 v[20:21], 1, v[10:11]
	v_subrev_co_ci_u32_e64 v5, null, 0, v5, s0
	s_delay_alu instid0(VALU_DEP_3) | instskip(SKIP_1) | instid1(VALU_DEP_3)
	v_cmp_le_u32_e32 vcc_lo, s34, v14
	v_cndmask_b32_e64 v14, 0, -1, vcc_lo
	v_cmp_le_u32_e32 vcc_lo, s35, v5
	v_cndmask_b32_e64 v15, 0, -1, vcc_lo
	;; [unrolled: 2-line block ×4, first 2 shown]
	v_cmp_eq_u32_e32 vcc_lo, s35, v5
	v_cndmask_b32_e32 v5, v15, v14, vcc_lo
	v_cmp_eq_u32_e32 vcc_lo, s35, v19
	v_add_nc_u64_e32 v[14:15], 2, v[10:11]
	v_cndmask_b32_e32 v13, v22, v13, vcc_lo
	s_delay_alu instid0(VALU_DEP_4) | instskip(NEXT) | instid1(VALU_DEP_2)
	v_cmp_ne_u32_e32 vcc_lo, 0, v5
	v_cmp_ne_u32_e64 s0, 0, v13
	s_delay_alu instid0(VALU_DEP_4) | instskip(NEXT) | instid1(VALU_DEP_1)
	v_dual_cndmask_b32 v5, v21, v15, vcc_lo :: v_dual_cndmask_b32 v13, v20, v14, vcc_lo
	v_dual_cndmask_b32 v5, v11, v5, s0 :: v_dual_bitop2_b32 v12, s30, v12 bitop3:0x14
	s_delay_alu instid0(VALU_DEP_1) | instskip(NEXT) | instid1(VALU_DEP_2)
	v_dual_cndmask_b32 v10, v10, v13, s0 :: v_dual_mov_b32 v13, v12
	v_xor_b32_e32 v11, v5, v12
	s_delay_alu instid0(VALU_DEP_2) | instskip(NEXT) | instid1(VALU_DEP_1)
	v_xor_b32_e32 v10, v10, v12
	v_sub_nc_u64_e32 v[12:13], v[10:11], v[12:13]
                                        ; implicit-def: $vgpr10_vgpr11
.LBB6_20:                               ;   in Loop: Header=BB6_10 Depth=1
	s_and_not1_saveexec_b32 s0, s37
	s_cbranch_execz .LBB6_8
; %bb.21:                               ;   in Loop: Header=BB6_10 Depth=1
	v_cvt_f32_u32_e32 v5, s24
	s_sub_co_i32 s18, 0, s24
	s_delay_alu instid0(VALU_DEP_1) | instskip(SKIP_1) | instid1(TRANS32_DEP_1)
	v_rcp_iflag_f32_e32 v5, v5
	v_nop
	v_mul_f32_e32 v5, 0x4f7ffffe, v5
	s_delay_alu instid0(VALU_DEP_1) | instskip(NEXT) | instid1(VALU_DEP_1)
	v_cvt_u32_f32_e32 v5, v5
	v_mul_lo_u32 v11, s18, v5
	s_delay_alu instid0(VALU_DEP_1) | instskip(NEXT) | instid1(VALU_DEP_1)
	v_mul_hi_u32 v11, v5, v11
	v_add_nc_u32_e32 v5, v5, v11
	s_delay_alu instid0(VALU_DEP_1) | instskip(NEXT) | instid1(VALU_DEP_1)
	v_mul_hi_u32 v5, v10, v5
	v_mul_lo_u32 v11, v5, s24
	s_delay_alu instid0(VALU_DEP_1) | instskip(NEXT) | instid1(VALU_DEP_1)
	v_dual_sub_nc_u32 v10, v10, v11 :: v_dual_add_nc_u32 v11, 1, v5
	v_subrev_nc_u32_e32 v12, s24, v10
	v_cmp_le_u32_e32 vcc_lo, s24, v10
	s_delay_alu instid0(VALU_DEP_2) | instskip(NEXT) | instid1(VALU_DEP_1)
	v_dual_cndmask_b32 v10, v10, v12 :: v_dual_cndmask_b32 v5, v5, v11
	v_cmp_le_u32_e32 vcc_lo, s24, v10
	s_delay_alu instid0(VALU_DEP_2) | instskip(NEXT) | instid1(VALU_DEP_1)
	v_add_nc_u32_e32 v11, 1, v5
	v_cndmask_b32_e32 v12, v5, v11, vcc_lo
	s_branch .LBB6_8
.LBB6_22:
	s_or_b32 exec_lo, exec_lo, s3
; %bb.23:
	s_wait_dscnt 0x0
	s_barrier_signal -1
	s_barrier_wait -1
	s_and_saveexec_b32 s0, s2
	s_cbranch_execz .LBB6_26
; %bb.24:
	s_mov_b32 s0, 0
	v_and_b32_e32 v2, 0xffff, v18
	v_dual_mov_b32 v3, s0 :: v_dual_lshlrev_b32 v8, 3, v17
	v_mul_u64_e32 v[6:7], s[16:17], v[0:1]
	s_delay_alu instid0(VALU_DEP_2) | instskip(NEXT) | instid1(VALU_DEP_2)
	v_mul_u64_e32 v[4:5], s[16:17], v[2:3]
	v_lshl_add_u64 v[6:7], v[6:7], 3, s[12:13]
	s_delay_alu instid0(VALU_DEP_2)
	v_lshlrev_b64_e32 v[4:5], 3, v[4:5]
.LBB6_25:                               ; =>This Inner Loop Header: Depth=1
	ds_load_b64 v[10:11], v16
	v_add_nc_u64_e32 v[0:1], v[0:1], v[2:3]
	v_add_nc_u32_e32 v16, v16, v8
	s_delay_alu instid0(VALU_DEP_2)
	v_cmp_le_i64_e32 vcc_lo, s[14:15], v[0:1]
	s_or_b32 s0, vcc_lo, s0
	s_wait_dscnt 0x0
	global_atomic_add_u64 v[6:7], v[10:11], off scope:SCOPE_SYS
	s_wait_xcnt 0x0
	v_add_nc_u64_e32 v[6:7], v[6:7], v[4:5]
	s_and_not1_b32 exec_lo, exec_lo, s0
	s_cbranch_execnz .LBB6_25
.LBB6_26:
	s_endpgm
	.section	.rodata,"a",@progbits
	.p2align	6, 0x0
	.amdhsa_kernel _ZN2at4cuda17kernelHistogram1DIlhlLi1ELi2ELin1ELNS0_23CUDAHistogramMemoryTypeE0EZNS0_21CUDA_tensor_histogramIlhLb0EEEbNS_6TensorES4_S4_lNS_14AccumulateTypeIT0_Lb1EE4typeES8_NS0_13TensorArgTypeES9_S9_EUllE0_EEvNS0_6detail10TensorInfoIT_T1_EESF_NSC_IKS6_SE_EElS8_S8_SE_T6_
		.amdhsa_group_segment_fixed_size 0
		.amdhsa_private_segment_fixed_size 0
		.amdhsa_kernarg_size 1544
		.amdhsa_user_sgpr_count 2
		.amdhsa_user_sgpr_dispatch_ptr 0
		.amdhsa_user_sgpr_queue_ptr 0
		.amdhsa_user_sgpr_kernarg_segment_ptr 1
		.amdhsa_user_sgpr_dispatch_id 0
		.amdhsa_user_sgpr_kernarg_preload_length 0
		.amdhsa_user_sgpr_kernarg_preload_offset 0
		.amdhsa_user_sgpr_private_segment_size 0
		.amdhsa_wavefront_size32 1
		.amdhsa_uses_dynamic_stack 0
		.amdhsa_enable_private_segment 0
		.amdhsa_system_sgpr_workgroup_id_x 1
		.amdhsa_system_sgpr_workgroup_id_y 0
		.amdhsa_system_sgpr_workgroup_id_z 0
		.amdhsa_system_sgpr_workgroup_info 0
		.amdhsa_system_vgpr_workitem_id 0
		.amdhsa_next_free_vgpr 32
		.amdhsa_next_free_sgpr 53
		.amdhsa_named_barrier_count 0
		.amdhsa_reserve_vcc 1
		.amdhsa_float_round_mode_32 0
		.amdhsa_float_round_mode_16_64 0
		.amdhsa_float_denorm_mode_32 3
		.amdhsa_float_denorm_mode_16_64 3
		.amdhsa_fp16_overflow 0
		.amdhsa_memory_ordered 1
		.amdhsa_forward_progress 1
		.amdhsa_inst_pref_size 19
		.amdhsa_round_robin_scheduling 0
		.amdhsa_exception_fp_ieee_invalid_op 0
		.amdhsa_exception_fp_denorm_src 0
		.amdhsa_exception_fp_ieee_div_zero 0
		.amdhsa_exception_fp_ieee_overflow 0
		.amdhsa_exception_fp_ieee_underflow 0
		.amdhsa_exception_fp_ieee_inexact 0
		.amdhsa_exception_int_div_zero 0
	.end_amdhsa_kernel
	.section	.text._ZN2at4cuda17kernelHistogram1DIlhlLi1ELi2ELin1ELNS0_23CUDAHistogramMemoryTypeE0EZNS0_21CUDA_tensor_histogramIlhLb0EEEbNS_6TensorES4_S4_lNS_14AccumulateTypeIT0_Lb1EE4typeES8_NS0_13TensorArgTypeES9_S9_EUllE0_EEvNS0_6detail10TensorInfoIT_T1_EESF_NSC_IKS6_SE_EElS8_S8_SE_T6_,"axG",@progbits,_ZN2at4cuda17kernelHistogram1DIlhlLi1ELi2ELin1ELNS0_23CUDAHistogramMemoryTypeE0EZNS0_21CUDA_tensor_histogramIlhLb0EEEbNS_6TensorES4_S4_lNS_14AccumulateTypeIT0_Lb1EE4typeES8_NS0_13TensorArgTypeES9_S9_EUllE0_EEvNS0_6detail10TensorInfoIT_T1_EESF_NSC_IKS6_SE_EElS8_S8_SE_T6_,comdat
.Lfunc_end6:
	.size	_ZN2at4cuda17kernelHistogram1DIlhlLi1ELi2ELin1ELNS0_23CUDAHistogramMemoryTypeE0EZNS0_21CUDA_tensor_histogramIlhLb0EEEbNS_6TensorES4_S4_lNS_14AccumulateTypeIT0_Lb1EE4typeES8_NS0_13TensorArgTypeES9_S9_EUllE0_EEvNS0_6detail10TensorInfoIT_T1_EESF_NSC_IKS6_SE_EElS8_S8_SE_T6_, .Lfunc_end6-_ZN2at4cuda17kernelHistogram1DIlhlLi1ELi2ELin1ELNS0_23CUDAHistogramMemoryTypeE0EZNS0_21CUDA_tensor_histogramIlhLb0EEEbNS_6TensorES4_S4_lNS_14AccumulateTypeIT0_Lb1EE4typeES8_NS0_13TensorArgTypeES9_S9_EUllE0_EEvNS0_6detail10TensorInfoIT_T1_EESF_NSC_IKS6_SE_EElS8_S8_SE_T6_
                                        ; -- End function
	.set _ZN2at4cuda17kernelHistogram1DIlhlLi1ELi2ELin1ELNS0_23CUDAHistogramMemoryTypeE0EZNS0_21CUDA_tensor_histogramIlhLb0EEEbNS_6TensorES4_S4_lNS_14AccumulateTypeIT0_Lb1EE4typeES8_NS0_13TensorArgTypeES9_S9_EUllE0_EEvNS0_6detail10TensorInfoIT_T1_EESF_NSC_IKS6_SE_EElS8_S8_SE_T6_.num_vgpr, 32
	.set _ZN2at4cuda17kernelHistogram1DIlhlLi1ELi2ELin1ELNS0_23CUDAHistogramMemoryTypeE0EZNS0_21CUDA_tensor_histogramIlhLb0EEEbNS_6TensorES4_S4_lNS_14AccumulateTypeIT0_Lb1EE4typeES8_NS0_13TensorArgTypeES9_S9_EUllE0_EEvNS0_6detail10TensorInfoIT_T1_EESF_NSC_IKS6_SE_EElS8_S8_SE_T6_.num_agpr, 0
	.set _ZN2at4cuda17kernelHistogram1DIlhlLi1ELi2ELin1ELNS0_23CUDAHistogramMemoryTypeE0EZNS0_21CUDA_tensor_histogramIlhLb0EEEbNS_6TensorES4_S4_lNS_14AccumulateTypeIT0_Lb1EE4typeES8_NS0_13TensorArgTypeES9_S9_EUllE0_EEvNS0_6detail10TensorInfoIT_T1_EESF_NSC_IKS6_SE_EElS8_S8_SE_T6_.numbered_sgpr, 53
	.set _ZN2at4cuda17kernelHistogram1DIlhlLi1ELi2ELin1ELNS0_23CUDAHistogramMemoryTypeE0EZNS0_21CUDA_tensor_histogramIlhLb0EEEbNS_6TensorES4_S4_lNS_14AccumulateTypeIT0_Lb1EE4typeES8_NS0_13TensorArgTypeES9_S9_EUllE0_EEvNS0_6detail10TensorInfoIT_T1_EESF_NSC_IKS6_SE_EElS8_S8_SE_T6_.num_named_barrier, 0
	.set _ZN2at4cuda17kernelHistogram1DIlhlLi1ELi2ELin1ELNS0_23CUDAHistogramMemoryTypeE0EZNS0_21CUDA_tensor_histogramIlhLb0EEEbNS_6TensorES4_S4_lNS_14AccumulateTypeIT0_Lb1EE4typeES8_NS0_13TensorArgTypeES9_S9_EUllE0_EEvNS0_6detail10TensorInfoIT_T1_EESF_NSC_IKS6_SE_EElS8_S8_SE_T6_.private_seg_size, 0
	.set _ZN2at4cuda17kernelHistogram1DIlhlLi1ELi2ELin1ELNS0_23CUDAHistogramMemoryTypeE0EZNS0_21CUDA_tensor_histogramIlhLb0EEEbNS_6TensorES4_S4_lNS_14AccumulateTypeIT0_Lb1EE4typeES8_NS0_13TensorArgTypeES9_S9_EUllE0_EEvNS0_6detail10TensorInfoIT_T1_EESF_NSC_IKS6_SE_EElS8_S8_SE_T6_.uses_vcc, 1
	.set _ZN2at4cuda17kernelHistogram1DIlhlLi1ELi2ELin1ELNS0_23CUDAHistogramMemoryTypeE0EZNS0_21CUDA_tensor_histogramIlhLb0EEEbNS_6TensorES4_S4_lNS_14AccumulateTypeIT0_Lb1EE4typeES8_NS0_13TensorArgTypeES9_S9_EUllE0_EEvNS0_6detail10TensorInfoIT_T1_EESF_NSC_IKS6_SE_EElS8_S8_SE_T6_.uses_flat_scratch, 0
	.set _ZN2at4cuda17kernelHistogram1DIlhlLi1ELi2ELin1ELNS0_23CUDAHistogramMemoryTypeE0EZNS0_21CUDA_tensor_histogramIlhLb0EEEbNS_6TensorES4_S4_lNS_14AccumulateTypeIT0_Lb1EE4typeES8_NS0_13TensorArgTypeES9_S9_EUllE0_EEvNS0_6detail10TensorInfoIT_T1_EESF_NSC_IKS6_SE_EElS8_S8_SE_T6_.has_dyn_sized_stack, 0
	.set _ZN2at4cuda17kernelHistogram1DIlhlLi1ELi2ELin1ELNS0_23CUDAHistogramMemoryTypeE0EZNS0_21CUDA_tensor_histogramIlhLb0EEEbNS_6TensorES4_S4_lNS_14AccumulateTypeIT0_Lb1EE4typeES8_NS0_13TensorArgTypeES9_S9_EUllE0_EEvNS0_6detail10TensorInfoIT_T1_EESF_NSC_IKS6_SE_EElS8_S8_SE_T6_.has_recursion, 0
	.set _ZN2at4cuda17kernelHistogram1DIlhlLi1ELi2ELin1ELNS0_23CUDAHistogramMemoryTypeE0EZNS0_21CUDA_tensor_histogramIlhLb0EEEbNS_6TensorES4_S4_lNS_14AccumulateTypeIT0_Lb1EE4typeES8_NS0_13TensorArgTypeES9_S9_EUllE0_EEvNS0_6detail10TensorInfoIT_T1_EESF_NSC_IKS6_SE_EElS8_S8_SE_T6_.has_indirect_call, 0
	.section	.AMDGPU.csdata,"",@progbits
; Kernel info:
; codeLenInByte = 2364
; TotalNumSgprs: 55
; NumVgprs: 32
; ScratchSize: 0
; MemoryBound: 0
; FloatMode: 240
; IeeeMode: 1
; LDSByteSize: 0 bytes/workgroup (compile time only)
; SGPRBlocks: 0
; VGPRBlocks: 1
; NumSGPRsForWavesPerEU: 55
; NumVGPRsForWavesPerEU: 32
; NamedBarCnt: 0
; Occupancy: 16
; WaveLimiterHint : 1
; COMPUTE_PGM_RSRC2:SCRATCH_EN: 0
; COMPUTE_PGM_RSRC2:USER_SGPR: 2
; COMPUTE_PGM_RSRC2:TRAP_HANDLER: 0
; COMPUTE_PGM_RSRC2:TGID_X_EN: 1
; COMPUTE_PGM_RSRC2:TGID_Y_EN: 0
; COMPUTE_PGM_RSRC2:TGID_Z_EN: 0
; COMPUTE_PGM_RSRC2:TIDIG_COMP_CNT: 0
	.section	.text._ZN2at4cuda17kernelHistogram1DIlhlLi1ELi2ELin1ELNS0_23CUDAHistogramMemoryTypeE1EZNS0_21CUDA_tensor_histogramIlhLb0EEEbNS_6TensorES4_S4_lNS_14AccumulateTypeIT0_Lb1EE4typeES8_NS0_13TensorArgTypeES9_S9_EUllE0_EEvNS0_6detail10TensorInfoIT_T1_EESF_NSC_IKS6_SE_EElS8_S8_SE_T6_,"axG",@progbits,_ZN2at4cuda17kernelHistogram1DIlhlLi1ELi2ELin1ELNS0_23CUDAHistogramMemoryTypeE1EZNS0_21CUDA_tensor_histogramIlhLb0EEEbNS_6TensorES4_S4_lNS_14AccumulateTypeIT0_Lb1EE4typeES8_NS0_13TensorArgTypeES9_S9_EUllE0_EEvNS0_6detail10TensorInfoIT_T1_EESF_NSC_IKS6_SE_EElS8_S8_SE_T6_,comdat
	.protected	_ZN2at4cuda17kernelHistogram1DIlhlLi1ELi2ELin1ELNS0_23CUDAHistogramMemoryTypeE1EZNS0_21CUDA_tensor_histogramIlhLb0EEEbNS_6TensorES4_S4_lNS_14AccumulateTypeIT0_Lb1EE4typeES8_NS0_13TensorArgTypeES9_S9_EUllE0_EEvNS0_6detail10TensorInfoIT_T1_EESF_NSC_IKS6_SE_EElS8_S8_SE_T6_ ; -- Begin function _ZN2at4cuda17kernelHistogram1DIlhlLi1ELi2ELin1ELNS0_23CUDAHistogramMemoryTypeE1EZNS0_21CUDA_tensor_histogramIlhLb0EEEbNS_6TensorES4_S4_lNS_14AccumulateTypeIT0_Lb1EE4typeES8_NS0_13TensorArgTypeES9_S9_EUllE0_EEvNS0_6detail10TensorInfoIT_T1_EESF_NSC_IKS6_SE_EElS8_S8_SE_T6_
	.globl	_ZN2at4cuda17kernelHistogram1DIlhlLi1ELi2ELin1ELNS0_23CUDAHistogramMemoryTypeE1EZNS0_21CUDA_tensor_histogramIlhLb0EEEbNS_6TensorES4_S4_lNS_14AccumulateTypeIT0_Lb1EE4typeES8_NS0_13TensorArgTypeES9_S9_EUllE0_EEvNS0_6detail10TensorInfoIT_T1_EESF_NSC_IKS6_SE_EElS8_S8_SE_T6_
	.p2align	8
	.type	_ZN2at4cuda17kernelHistogram1DIlhlLi1ELi2ELin1ELNS0_23CUDAHistogramMemoryTypeE1EZNS0_21CUDA_tensor_histogramIlhLb0EEEbNS_6TensorES4_S4_lNS_14AccumulateTypeIT0_Lb1EE4typeES8_NS0_13TensorArgTypeES9_S9_EUllE0_EEvNS0_6detail10TensorInfoIT_T1_EESF_NSC_IKS6_SE_EElS8_S8_SE_T6_,@function
_ZN2at4cuda17kernelHistogram1DIlhlLi1ELi2ELin1ELNS0_23CUDAHistogramMemoryTypeE1EZNS0_21CUDA_tensor_histogramIlhLb0EEEbNS_6TensorES4_S4_lNS_14AccumulateTypeIT0_Lb1EE4typeES8_NS0_13TensorArgTypeES9_S9_EUllE0_EEvNS0_6detail10TensorInfoIT_T1_EESF_NSC_IKS6_SE_EElS8_S8_SE_T6_: ; @_ZN2at4cuda17kernelHistogram1DIlhlLi1ELi2ELin1ELNS0_23CUDAHistogramMemoryTypeE1EZNS0_21CUDA_tensor_histogramIlhLb0EEEbNS_6TensorES4_S4_lNS_14AccumulateTypeIT0_Lb1EE4typeES8_NS0_13TensorArgTypeES9_S9_EUllE0_EEvNS0_6detail10TensorInfoIT_T1_EESF_NSC_IKS6_SE_EElS8_S8_SE_T6_
; %bb.0:
	s_load_b32 s2, s[0:1], 0x514
	s_bfe_u32 s12, ttmp6, 0x4000c
	s_load_b256 s[4:11], s[0:1], 0x4e0
	s_add_co_i32 s12, s12, 1
	s_and_b32 s3, ttmp6, 15
	s_mul_i32 s12, ttmp9, s12
	s_getreg_b32 s13, hwreg(HW_REG_IB_STS2, 6, 4)
	s_add_co_i32 s3, s3, s12
	v_mov_b32_e32 v2, 0
	s_mov_b32 s12, exec_lo
	s_delay_alu instid0(VALU_DEP_1) | instskip(SKIP_4) | instid1(SALU_CYCLE_1)
	v_mov_b32_e32 v1, v2
	s_wait_kmcnt 0x0
	s_and_b32 s2, s2, 0xffff
	s_cmp_eq_u32 s13, 0
	s_cselect_b32 s3, ttmp9, s3
	v_mad_u32 v0, s3, s2, v0
	s_mov_b32 s3, 0
	s_delay_alu instid0(VALU_DEP_1)
	v_cmpx_gt_i64_e64 s[10:11], v[0:1]
	s_cbranch_execz .LBB7_16
; %bb.1:
	s_load_b32 s28, s[0:1], 0x4d8
	s_add_nc_u64 s[20:21], s[0:1], 0x508
	s_load_b32 s22, s[20:21], 0x0
	s_clause 0x3
	s_load_b64 s[12:13], s[0:1], 0x0
	s_load_b64 s[14:15], s[0:1], 0xd0
	;; [unrolled: 1-line block ×4, first 2 shown]
	s_add_nc_u64 s[26:27], s[0:1], 0x340
	v_mov_b64_e32 v[4:5], 1
	s_wait_xcnt 0x0
	s_sub_nc_u64 s[20:21], s[8:9], s[6:7]
	s_mov_b32 s23, s3
	s_mov_b64 s[24:25], 0xffffffff
	s_mov_b32 s40, 0
	s_wait_kmcnt 0x0
	s_mul_i32 s22, s22, s2
	s_cmp_gt_i32 s28, 1
	s_cselect_b32 s1, -1, 0
	s_add_co_i32 s2, s28, -1
	s_add_co_i32 s33, s28, 1
	s_lshl_b64 s[28:29], s[2:3], 3
	s_delay_alu instid0(SALU_CYCLE_1)
	s_add_nc_u64 s[28:29], s[26:27], s[28:29]
	s_ashr_i32 s26, s21, 31
	s_add_nc_u64 s[28:29], s[28:29], 8
	s_branch .LBB7_4
.LBB7_2:                                ;   in Loop: Header=BB7_4 Depth=1
	s_or_b32 exec_lo, exec_lo, s0
	s_delay_alu instid0(VALU_DEP_1) | instskip(NEXT) | instid1(VALU_DEP_1)
	v_dual_ashrrev_i32 v9, 31, v8 :: v_dual_mov_b32 v7, s3
	v_cmp_eq_u64_e32 vcc_lo, s[4:5], v[8:9]
	v_cndmask_b32_e64 v6, 0, 1, vcc_lo
	s_delay_alu instid0(VALU_DEP_1) | instskip(NEXT) | instid1(VALU_DEP_1)
	v_sub_nc_u64_e32 v[6:7], v[8:9], v[6:7]
	v_mul_u64_e32 v[6:7], s[14:15], v[6:7]
	s_delay_alu instid0(VALU_DEP_1)
	v_lshl_add_u64 v[6:7], v[6:7], 3, s[12:13]
	global_atomic_add_u64 v[6:7], v[4:5], off scope:SCOPE_SYS
.LBB7_3:                                ;   in Loop: Header=BB7_4 Depth=1
	s_wait_xcnt 0x0
	s_or_b32 exec_lo, exec_lo, s34
	v_add_nc_u64_e32 v[0:1], s[22:23], v[0:1]
	s_delay_alu instid0(VALU_DEP_1) | instskip(SKIP_1) | instid1(SALU_CYCLE_1)
	v_cmp_le_i64_e32 vcc_lo, s[10:11], v[0:1]
	s_or_b32 s40, vcc_lo, s40
	s_and_not1_b32 exec_lo, exec_lo, s40
	s_cbranch_execz .LBB7_16
.LBB7_4:                                ; =>This Loop Header: Depth=1
                                        ;     Child Loop BB7_5 Depth 2
	v_mov_b64_e32 v[6:7], 0
	v_mov_b64_e32 v[8:9], v[0:1]
	;; [unrolled: 1-line block ×3, first 2 shown]
	s_and_not1_b32 vcc_lo, exec_lo, s1
	s_mov_b64 s[30:31], s[28:29]
	s_mov_b32 s27, s33
	s_cbranch_vccnz .LBB7_11
.LBB7_5:                                ;   Parent Loop BB7_4 Depth=1
                                        ; =>  This Inner Loop Header: Depth=2
	s_load_b64 s[34:35], s[30:31], 0x0
                                        ; implicit-def: $vgpr10_vgpr11
	s_mov_b32 s0, exec_lo
	s_wait_kmcnt 0x0
	s_delay_alu instid0(VALU_DEP_1) | instskip(NEXT) | instid1(VALU_DEP_1)
	v_or_b32_e32 v3, s35, v9
	v_cmpx_ne_u64_e32 0, v[2:3]
	s_xor_b32 s41, exec_lo, s0
	s_cbranch_execz .LBB7_7
; %bb.6:                                ;   in Loop: Header=BB7_5 Depth=2
	s_ashr_i32 s36, s35, 31
	v_dual_mov_b32 v15, v2 :: v_dual_ashrrev_i32 v10, 31, v9
	s_mov_b32 s37, s36
	v_mov_b32_e32 v23, v2
	s_add_nc_u64 s[38:39], s[34:35], s[36:37]
	s_delay_alu instid0(VALU_DEP_2) | instskip(SKIP_1) | instid1(SALU_CYCLE_1)
	v_mov_b32_e32 v11, v10
	s_xor_b64 s[38:39], s[38:39], s[36:37]
	s_cvt_f32_u32 s0, s38
	s_cvt_f32_u32 s2, s39
	s_sub_nc_u64 s[44:45], 0, s[38:39]
	v_add_nc_u64_e32 v[12:13], v[8:9], v[10:11]
	v_mov_b32_e32 v19, v2
	s_fmamk_f32 s0, s2, 0x4f800000, s0
	s_delay_alu instid0(SALU_CYCLE_3) | instskip(NEXT) | instid1(VALU_DEP_2)
	v_s_rcp_f32 s0, s0
	v_xor_b32_e32 v14, v12, v10
	s_delay_alu instid0(VALU_DEP_3) | instskip(NEXT) | instid1(TRANS32_DEP_1)
	v_xor_b32_e32 v18, v13, v10
	s_mul_f32 s0, s0, 0x5f7ffffc
	s_delay_alu instid0(SALU_CYCLE_3) | instskip(NEXT) | instid1(SALU_CYCLE_3)
	s_mul_f32 s2, s0, 0x2f800000
	s_trunc_f32 s2, s2
	s_delay_alu instid0(SALU_CYCLE_3) | instskip(SKIP_1) | instid1(SALU_CYCLE_2)
	s_fmamk_f32 s0, s2, 0xcf800000, s0
	s_cvt_u32_f32 s43, s2
	s_cvt_u32_f32 s42, s0
	s_delay_alu instid0(SALU_CYCLE_3) | instskip(NEXT) | instid1(SALU_CYCLE_1)
	s_mul_u64 s[46:47], s[44:45], s[42:43]
	s_mul_hi_u32 s49, s42, s47
	s_mul_i32 s48, s42, s47
	s_mul_hi_u32 s2, s42, s46
	s_mul_i32 s37, s43, s46
	s_add_nc_u64 s[48:49], s[2:3], s[48:49]
	s_mul_hi_u32 s0, s43, s46
	s_mul_hi_u32 s50, s43, s47
	s_add_co_u32 s2, s48, s37
	s_add_co_ci_u32 s2, s49, s0
	s_mul_i32 s46, s43, s47
	s_add_co_ci_u32 s47, s50, 0
	s_delay_alu instid0(SALU_CYCLE_1) | instskip(NEXT) | instid1(SALU_CYCLE_1)
	s_add_nc_u64 s[46:47], s[2:3], s[46:47]
	s_add_co_u32 s42, s42, s46
	s_cselect_b32 s0, -1, 0
	s_delay_alu instid0(SALU_CYCLE_1) | instskip(SKIP_1) | instid1(SALU_CYCLE_1)
	s_cmp_lg_u32 s0, 0
	s_add_co_ci_u32 s43, s43, s47
	s_mul_u64 s[44:45], s[44:45], s[42:43]
	s_delay_alu instid0(SALU_CYCLE_1)
	s_mul_hi_u32 s47, s42, s45
	s_mul_i32 s46, s42, s45
	s_mul_hi_u32 s2, s42, s44
	s_mul_i32 s37, s43, s44
	s_add_nc_u64 s[46:47], s[2:3], s[46:47]
	s_mul_hi_u32 s0, s43, s44
	s_mul_hi_u32 s48, s43, s45
	s_add_co_u32 s2, s46, s37
	s_add_co_ci_u32 s2, s47, s0
	s_mul_i32 s44, s43, s45
	s_add_co_ci_u32 s45, s48, 0
	s_delay_alu instid0(SALU_CYCLE_1) | instskip(NEXT) | instid1(SALU_CYCLE_1)
	s_add_nc_u64 s[44:45], s[2:3], s[44:45]
	s_add_co_u32 s0, s42, s44
	s_cselect_b32 s2, -1, 0
	v_mul_hi_u32 v22, v14, s0
	s_cmp_lg_u32 s2, 0
	s_add_co_ci_u32 s2, s43, s45
	s_and_b64 s[42:43], s[0:1], s[24:25]
	v_mul_u64_e32 v[16:17], s[2:3], v[14:15]
	v_mul_u64_e32 v[12:13], s[42:43], v[18:19]
	;; [unrolled: 1-line block ×3, first 2 shown]
	s_delay_alu instid0(VALU_DEP_3) | instskip(NEXT) | instid1(VALU_DEP_1)
	v_add_nc_u64_e32 v[16:17], v[22:23], v[16:17]
	v_add_co_u32 v3, vcc_lo, v16, v12
	s_delay_alu instid0(VALU_DEP_2) | instskip(NEXT) | instid1(VALU_DEP_4)
	v_add_co_ci_u32_e32 v22, vcc_lo, v17, v13, vcc_lo
	v_add_co_ci_u32_e32 v21, vcc_lo, 0, v21, vcc_lo
	s_delay_alu instid0(VALU_DEP_1) | instskip(NEXT) | instid1(VALU_DEP_1)
	v_add_nc_u64_e32 v[12:13], v[22:23], v[20:21]
	v_mul_u64_e32 v[16:17], s[38:39], v[12:13]
	s_delay_alu instid0(VALU_DEP_1) | instskip(NEXT) | instid1(VALU_DEP_2)
	v_sub_nc_u32_e32 v3, v18, v17
	v_sub_co_u32 v11, vcc_lo, v14, v16
	s_delay_alu instid0(VALU_DEP_1) | instskip(NEXT) | instid1(VALU_DEP_3)
	v_sub_co_ci_u32_e64 v18, null, v18, v17, vcc_lo
	v_subrev_co_ci_u32_e64 v3, null, s39, v3, vcc_lo
	s_delay_alu instid0(VALU_DEP_3) | instskip(SKIP_1) | instid1(VALU_DEP_3)
	v_sub_co_u32 v14, s0, v11, s38
	v_add_nc_u64_e32 v[16:17], 1, v[12:13]
	v_subrev_co_ci_u32_e64 v3, null, 0, v3, s0
	s_delay_alu instid0(VALU_DEP_3) | instskip(SKIP_1) | instid1(VALU_DEP_3)
	v_cmp_le_u32_e32 vcc_lo, s38, v14
	v_cndmask_b32_e64 v14, 0, -1, vcc_lo
	v_cmp_le_u32_e32 vcc_lo, s39, v3
	v_cndmask_b32_e64 v15, 0, -1, vcc_lo
	;; [unrolled: 2-line block ×4, first 2 shown]
	v_cmp_eq_u32_e32 vcc_lo, s39, v3
	v_cndmask_b32_e32 v3, v15, v14, vcc_lo
	v_cmp_eq_u32_e32 vcc_lo, s39, v18
	v_add_nc_u64_e32 v[14:15], 2, v[12:13]
	v_cndmask_b32_e32 v11, v19, v11, vcc_lo
	s_delay_alu instid0(VALU_DEP_4) | instskip(NEXT) | instid1(VALU_DEP_2)
	v_cmp_ne_u32_e32 vcc_lo, 0, v3
	v_cmp_ne_u32_e64 s0, 0, v11
	s_delay_alu instid0(VALU_DEP_4) | instskip(NEXT) | instid1(VALU_DEP_1)
	v_dual_cndmask_b32 v3, v17, v15, vcc_lo :: v_dual_cndmask_b32 v11, v16, v14, vcc_lo
	v_dual_cndmask_b32 v3, v13, v3, s0 :: v_dual_bitop2_b32 v10, s36, v10 bitop3:0x14
	s_delay_alu instid0(VALU_DEP_1) | instskip(NEXT) | instid1(VALU_DEP_2)
	v_dual_cndmask_b32 v12, v12, v11, s0 :: v_dual_mov_b32 v11, v10
	v_xor_b32_e32 v13, v3, v10
	s_delay_alu instid0(VALU_DEP_2) | instskip(NEXT) | instid1(VALU_DEP_1)
	v_xor_b32_e32 v12, v12, v10
	v_sub_nc_u64_e32 v[10:11], v[12:13], v[10:11]
.LBB7_7:                                ;   in Loop: Header=BB7_5 Depth=2
	s_and_not1_saveexec_b32 s0, s41
	s_cbranch_execz .LBB7_9
; %bb.8:                                ;   in Loop: Header=BB7_5 Depth=2
	v_cvt_f32_u32_e32 v3, s34
	s_sub_co_i32 s2, 0, s34
	s_delay_alu instid0(VALU_DEP_1) | instskip(SKIP_1) | instid1(TRANS32_DEP_1)
	v_rcp_iflag_f32_e32 v3, v3
	v_nop
	v_mul_f32_e32 v3, 0x4f7ffffe, v3
	s_delay_alu instid0(VALU_DEP_1) | instskip(NEXT) | instid1(VALU_DEP_1)
	v_cvt_u32_f32_e32 v3, v3
	v_mul_lo_u32 v10, s2, v3
	s_delay_alu instid0(VALU_DEP_1) | instskip(NEXT) | instid1(VALU_DEP_1)
	v_mul_hi_u32 v10, v3, v10
	v_add_nc_u32_e32 v3, v3, v10
	s_delay_alu instid0(VALU_DEP_1) | instskip(NEXT) | instid1(VALU_DEP_1)
	v_mul_hi_u32 v3, v8, v3
	v_mul_lo_u32 v10, v3, s34
	s_delay_alu instid0(VALU_DEP_1) | instskip(NEXT) | instid1(VALU_DEP_1)
	v_dual_add_nc_u32 v11, 1, v3 :: v_dual_sub_nc_u32 v10, v8, v10
	v_subrev_nc_u32_e32 v12, s34, v10
	v_cmp_le_u32_e32 vcc_lo, s34, v10
	s_delay_alu instid0(VALU_DEP_2) | instskip(NEXT) | instid1(VALU_DEP_1)
	v_dual_cndmask_b32 v10, v10, v12 :: v_dual_cndmask_b32 v3, v3, v11
	v_cmp_le_u32_e32 vcc_lo, s34, v10
	s_delay_alu instid0(VALU_DEP_2) | instskip(NEXT) | instid1(VALU_DEP_1)
	v_add_nc_u32_e32 v11, 1, v3
	v_dual_cndmask_b32 v10, v3, v11 :: v_dual_mov_b32 v11, v2
.LBB7_9:                                ;   in Loop: Header=BB7_5 Depth=2
	s_or_b32 exec_lo, exec_lo, s0
	s_delay_alu instid0(VALU_DEP_1)
	v_mul_u64_e32 v[12:13], s[34:35], v[10:11]
	s_load_b64 s[34:35], s[30:31], 0xc8
	s_add_co_i32 s27, s27, -1
	s_wait_xcnt 0x0
	s_add_nc_u64 s[30:31], s[30:31], -8
	s_cmp_gt_u32 s27, 2
	s_delay_alu instid0(VALU_DEP_1) | instskip(SKIP_1) | instid1(VALU_DEP_1)
	v_sub_nc_u64_e32 v[8:9], v[8:9], v[12:13]
	s_wait_kmcnt 0x0
	v_mad_nc_u64_u32 v[6:7], s34, v8, v[6:7]
	s_delay_alu instid0(VALU_DEP_1) | instskip(NEXT) | instid1(VALU_DEP_1)
	v_mad_u32 v3, s35, v8, v7
	v_mad_u32 v7, s34, v9, v3
	s_cbranch_scc0 .LBB7_11
; %bb.10:                               ;   in Loop: Header=BB7_5 Depth=2
	v_mov_b64_e32 v[8:9], v[10:11]
	s_branch .LBB7_5
.LBB7_11:                               ;   in Loop: Header=BB7_4 Depth=1
	s_delay_alu instid0(VALU_DEP_1) | instskip(NEXT) | instid1(VALU_DEP_1)
	v_mad_nc_u64_u32 v[8:9], s16, v10, s[18:19]
	v_mad_u32 v3, s17, v10, v9
	s_delay_alu instid0(VALU_DEP_1) | instskip(NEXT) | instid1(VALU_DEP_1)
	v_mad_u32 v9, s16, v11, v3
	v_add_nc_u64_e32 v[6:7], v[8:9], v[6:7]
	global_load_u8 v3, v[6:7], off
	s_wait_xcnt 0x0
	v_mov_b32_e32 v7, s3
	s_wait_loadcnt 0x0
	v_and_b32_e32 v6, 0xffff, v3
	s_delay_alu instid0(VALU_DEP_1) | instskip(SKIP_2) | instid1(SALU_CYCLE_1)
	v_cmp_le_i64_e32 vcc_lo, s[6:7], v[6:7]
	v_cmp_ge_i64_e64 s0, s[8:9], v[6:7]
	s_and_b32 s0, vcc_lo, s0
	s_and_saveexec_b32 s34, s0
	s_cbranch_execz .LBB7_3
; %bb.12:                               ;   in Loop: Header=BB7_4 Depth=1
	v_sub_nc_u64_e64 v[6:7], v[6:7], s[6:7]
                                        ; implicit-def: $vgpr8_vgpr9
	s_mov_b32 s0, exec_lo
	s_delay_alu instid0(VALU_DEP_1) | instskip(NEXT) | instid1(VALU_DEP_1)
	v_mul_u64_e32 v[6:7], s[4:5], v[6:7]
	v_or_b32_e32 v3, s21, v7
	s_delay_alu instid0(VALU_DEP_1)
	v_cmpx_ne_u64_e32 0, v[2:3]
	s_xor_b32 s35, exec_lo, s0
	s_cbranch_execz .LBB7_14
; %bb.13:                               ;   in Loop: Header=BB7_4 Depth=1
	s_mov_b32 s27, s26
	v_dual_mov_b32 v11, v2 :: v_dual_ashrrev_i32 v8, 31, v7
	s_add_nc_u64 s[30:31], s[20:21], s[26:27]
	v_mov_b32_e32 v19, v2
	s_xor_b64 s[30:31], s[30:31], s[26:27]
	s_delay_alu instid0(VALU_DEP_2) | instskip(SKIP_3) | instid1(VALU_DEP_1)
	v_mov_b32_e32 v9, v8
	s_cvt_f32_u32 s0, s30
	s_cvt_f32_u32 s2, s31
	s_sub_nc_u64 s[38:39], 0, s[30:31]
	v_add_nc_u64_e32 v[6:7], v[6:7], v[8:9]
	s_delay_alu instid0(SALU_CYCLE_1) | instskip(SKIP_1) | instid1(SALU_CYCLE_2)
	s_fmamk_f32 s0, s2, 0x4f800000, s0
	v_mov_b32_e32 v15, v2
	v_s_rcp_f32 s0, s0
	s_delay_alu instid0(VALU_DEP_2) | instskip(NEXT) | instid1(VALU_DEP_3)
	v_xor_b32_e32 v10, v6, v8
	v_xor_b32_e32 v14, v7, v8
	s_delay_alu instid0(TRANS32_DEP_1) | instskip(NEXT) | instid1(SALU_CYCLE_3)
	s_mul_f32 s0, s0, 0x5f7ffffc
	s_mul_f32 s2, s0, 0x2f800000
	s_delay_alu instid0(SALU_CYCLE_3) | instskip(NEXT) | instid1(SALU_CYCLE_3)
	s_trunc_f32 s2, s2
	s_fmamk_f32 s0, s2, 0xcf800000, s0
	s_cvt_u32_f32 s37, s2
	s_delay_alu instid0(SALU_CYCLE_2) | instskip(NEXT) | instid1(SALU_CYCLE_3)
	s_cvt_u32_f32 s36, s0
	s_mul_u64 s[42:43], s[38:39], s[36:37]
	s_delay_alu instid0(SALU_CYCLE_1)
	s_mul_hi_u32 s45, s36, s43
	s_mul_i32 s44, s36, s43
	s_mul_hi_u32 s2, s36, s42
	s_mul_i32 s27, s37, s42
	s_add_nc_u64 s[44:45], s[2:3], s[44:45]
	s_mul_hi_u32 s0, s37, s42
	s_mul_hi_u32 s41, s37, s43
	s_add_co_u32 s2, s44, s27
	s_add_co_ci_u32 s2, s45, s0
	s_mul_i32 s42, s37, s43
	s_add_co_ci_u32 s43, s41, 0
	s_delay_alu instid0(SALU_CYCLE_1) | instskip(NEXT) | instid1(SALU_CYCLE_1)
	s_add_nc_u64 s[42:43], s[2:3], s[42:43]
	s_add_co_u32 s36, s36, s42
	s_cselect_b32 s0, -1, 0
	s_delay_alu instid0(SALU_CYCLE_1) | instskip(SKIP_1) | instid1(SALU_CYCLE_1)
	s_cmp_lg_u32 s0, 0
	s_add_co_ci_u32 s37, s37, s43
	s_mul_u64 s[38:39], s[38:39], s[36:37]
	s_delay_alu instid0(SALU_CYCLE_1)
	s_mul_hi_u32 s43, s36, s39
	s_mul_i32 s42, s36, s39
	s_mul_hi_u32 s2, s36, s38
	s_mul_i32 s27, s37, s38
	s_add_nc_u64 s[42:43], s[2:3], s[42:43]
	s_mul_hi_u32 s0, s37, s38
	s_mul_hi_u32 s41, s37, s39
	s_add_co_u32 s2, s42, s27
	s_add_co_ci_u32 s2, s43, s0
	s_mul_i32 s38, s37, s39
	s_add_co_ci_u32 s39, s41, 0
	s_delay_alu instid0(SALU_CYCLE_1) | instskip(NEXT) | instid1(SALU_CYCLE_1)
	s_add_nc_u64 s[38:39], s[2:3], s[38:39]
	s_add_co_u32 s0, s36, s38
	s_cselect_b32 s2, -1, 0
	v_mul_hi_u32 v18, v10, s0
	s_cmp_lg_u32 s2, 0
	s_add_co_ci_u32 s2, s37, s39
	s_and_b64 s[36:37], s[0:1], s[24:25]
	v_mul_u64_e32 v[12:13], s[2:3], v[10:11]
	v_mul_u64_e32 v[6:7], s[36:37], v[14:15]
	v_mul_u64_e32 v[16:17], s[2:3], v[14:15]
	s_delay_alu instid0(VALU_DEP_3) | instskip(NEXT) | instid1(VALU_DEP_1)
	v_add_nc_u64_e32 v[12:13], v[18:19], v[12:13]
	v_add_co_u32 v3, vcc_lo, v12, v6
	s_delay_alu instid0(VALU_DEP_2) | instskip(NEXT) | instid1(VALU_DEP_4)
	v_add_co_ci_u32_e32 v18, vcc_lo, v13, v7, vcc_lo
	v_add_co_ci_u32_e32 v17, vcc_lo, 0, v17, vcc_lo
	s_delay_alu instid0(VALU_DEP_1) | instskip(NEXT) | instid1(VALU_DEP_1)
	v_add_nc_u64_e32 v[6:7], v[18:19], v[16:17]
	v_mul_u64_e32 v[12:13], s[30:31], v[6:7]
	s_delay_alu instid0(VALU_DEP_1) | instskip(NEXT) | instid1(VALU_DEP_2)
	v_sub_nc_u32_e32 v3, v14, v13
	v_sub_co_u32 v9, vcc_lo, v10, v12
	s_delay_alu instid0(VALU_DEP_1) | instskip(NEXT) | instid1(VALU_DEP_3)
	v_sub_co_ci_u32_e64 v14, null, v14, v13, vcc_lo
	v_subrev_co_ci_u32_e64 v3, null, s31, v3, vcc_lo
	s_delay_alu instid0(VALU_DEP_3) | instskip(SKIP_1) | instid1(VALU_DEP_3)
	v_sub_co_u32 v10, s0, v9, s30
	v_add_nc_u64_e32 v[12:13], 1, v[6:7]
	v_subrev_co_ci_u32_e64 v3, null, 0, v3, s0
	s_delay_alu instid0(VALU_DEP_3) | instskip(SKIP_1) | instid1(VALU_DEP_3)
	v_cmp_le_u32_e32 vcc_lo, s30, v10
	v_cndmask_b32_e64 v10, 0, -1, vcc_lo
	v_cmp_le_u32_e32 vcc_lo, s31, v3
	v_cndmask_b32_e64 v11, 0, -1, vcc_lo
	;; [unrolled: 2-line block ×4, first 2 shown]
	v_cmp_eq_u32_e32 vcc_lo, s31, v3
	v_cndmask_b32_e32 v3, v11, v10, vcc_lo
	v_cmp_eq_u32_e32 vcc_lo, s31, v14
	v_add_nc_u64_e32 v[10:11], 2, v[6:7]
	v_cndmask_b32_e32 v9, v15, v9, vcc_lo
	s_delay_alu instid0(VALU_DEP_4) | instskip(NEXT) | instid1(VALU_DEP_3)
	v_cmp_ne_u32_e32 vcc_lo, 0, v3
	v_cndmask_b32_e32 v3, v13, v11, vcc_lo
	s_delay_alu instid0(VALU_DEP_3) | instskip(SKIP_1) | instid1(VALU_DEP_1)
	v_cmp_ne_u32_e64 s0, 0, v9
	v_dual_cndmask_b32 v9, v12, v10, vcc_lo :: v_dual_bitop2_b32 v8, s26, v8 bitop3:0x14
	v_dual_cndmask_b32 v3, v7, v3, s0 :: v_dual_cndmask_b32 v6, v6, v9, s0
	s_delay_alu instid0(VALU_DEP_1) | instskip(NEXT) | instid1(VALU_DEP_2)
	v_dual_mov_b32 v9, v8 :: v_dual_bitop2_b32 v7, v3, v8 bitop3:0x14
	v_xor_b32_e32 v6, v6, v8
	s_delay_alu instid0(VALU_DEP_1)
	v_sub_nc_u64_e32 v[8:9], v[6:7], v[8:9]
                                        ; implicit-def: $vgpr6_vgpr7
.LBB7_14:                               ;   in Loop: Header=BB7_4 Depth=1
	s_and_not1_saveexec_b32 s0, s35
	s_cbranch_execz .LBB7_2
; %bb.15:                               ;   in Loop: Header=BB7_4 Depth=1
	v_cvt_f32_u32_e32 v3, s20
	s_sub_co_i32 s2, 0, s20
	s_delay_alu instid0(VALU_DEP_1) | instskip(SKIP_1) | instid1(TRANS32_DEP_1)
	v_rcp_iflag_f32_e32 v3, v3
	v_nop
	v_mul_f32_e32 v3, 0x4f7ffffe, v3
	s_delay_alu instid0(VALU_DEP_1) | instskip(NEXT) | instid1(VALU_DEP_1)
	v_cvt_u32_f32_e32 v3, v3
	v_mul_lo_u32 v7, s2, v3
	s_delay_alu instid0(VALU_DEP_1) | instskip(NEXT) | instid1(VALU_DEP_1)
	v_mul_hi_u32 v7, v3, v7
	v_add_nc_u32_e32 v3, v3, v7
	s_delay_alu instid0(VALU_DEP_1) | instskip(NEXT) | instid1(VALU_DEP_1)
	v_mul_hi_u32 v3, v6, v3
	v_mul_lo_u32 v7, v3, s20
	s_delay_alu instid0(VALU_DEP_1) | instskip(SKIP_1) | instid1(VALU_DEP_2)
	v_sub_nc_u32_e32 v6, v6, v7
	v_add_nc_u32_e32 v7, 1, v3
	v_subrev_nc_u32_e32 v8, s20, v6
	v_cmp_le_u32_e32 vcc_lo, s20, v6
	s_delay_alu instid0(VALU_DEP_2) | instskip(NEXT) | instid1(VALU_DEP_1)
	v_dual_cndmask_b32 v6, v6, v8 :: v_dual_cndmask_b32 v3, v3, v7
	v_cmp_le_u32_e32 vcc_lo, s20, v6
	s_delay_alu instid0(VALU_DEP_2) | instskip(NEXT) | instid1(VALU_DEP_1)
	v_add_nc_u32_e32 v7, 1, v3
	v_cndmask_b32_e32 v8, v3, v7, vcc_lo
	s_branch .LBB7_2
.LBB7_16:
	s_endpgm
	.section	.rodata,"a",@progbits
	.p2align	6, 0x0
	.amdhsa_kernel _ZN2at4cuda17kernelHistogram1DIlhlLi1ELi2ELin1ELNS0_23CUDAHistogramMemoryTypeE1EZNS0_21CUDA_tensor_histogramIlhLb0EEEbNS_6TensorES4_S4_lNS_14AccumulateTypeIT0_Lb1EE4typeES8_NS0_13TensorArgTypeES9_S9_EUllE0_EEvNS0_6detail10TensorInfoIT_T1_EESF_NSC_IKS6_SE_EElS8_S8_SE_T6_
		.amdhsa_group_segment_fixed_size 0
		.amdhsa_private_segment_fixed_size 0
		.amdhsa_kernarg_size 1544
		.amdhsa_user_sgpr_count 2
		.amdhsa_user_sgpr_dispatch_ptr 0
		.amdhsa_user_sgpr_queue_ptr 0
		.amdhsa_user_sgpr_kernarg_segment_ptr 1
		.amdhsa_user_sgpr_dispatch_id 0
		.amdhsa_user_sgpr_kernarg_preload_length 0
		.amdhsa_user_sgpr_kernarg_preload_offset 0
		.amdhsa_user_sgpr_private_segment_size 0
		.amdhsa_wavefront_size32 1
		.amdhsa_uses_dynamic_stack 0
		.amdhsa_enable_private_segment 0
		.amdhsa_system_sgpr_workgroup_id_x 1
		.amdhsa_system_sgpr_workgroup_id_y 0
		.amdhsa_system_sgpr_workgroup_id_z 0
		.amdhsa_system_sgpr_workgroup_info 0
		.amdhsa_system_vgpr_workitem_id 0
		.amdhsa_next_free_vgpr 24
		.amdhsa_next_free_sgpr 51
		.amdhsa_named_barrier_count 0
		.amdhsa_reserve_vcc 1
		.amdhsa_float_round_mode_32 0
		.amdhsa_float_round_mode_16_64 0
		.amdhsa_float_denorm_mode_32 3
		.amdhsa_float_denorm_mode_16_64 3
		.amdhsa_fp16_overflow 0
		.amdhsa_memory_ordered 1
		.amdhsa_forward_progress 1
		.amdhsa_inst_pref_size 16
		.amdhsa_round_robin_scheduling 0
		.amdhsa_exception_fp_ieee_invalid_op 0
		.amdhsa_exception_fp_denorm_src 0
		.amdhsa_exception_fp_ieee_div_zero 0
		.amdhsa_exception_fp_ieee_overflow 0
		.amdhsa_exception_fp_ieee_underflow 0
		.amdhsa_exception_fp_ieee_inexact 0
		.amdhsa_exception_int_div_zero 0
	.end_amdhsa_kernel
	.section	.text._ZN2at4cuda17kernelHistogram1DIlhlLi1ELi2ELin1ELNS0_23CUDAHistogramMemoryTypeE1EZNS0_21CUDA_tensor_histogramIlhLb0EEEbNS_6TensorES4_S4_lNS_14AccumulateTypeIT0_Lb1EE4typeES8_NS0_13TensorArgTypeES9_S9_EUllE0_EEvNS0_6detail10TensorInfoIT_T1_EESF_NSC_IKS6_SE_EElS8_S8_SE_T6_,"axG",@progbits,_ZN2at4cuda17kernelHistogram1DIlhlLi1ELi2ELin1ELNS0_23CUDAHistogramMemoryTypeE1EZNS0_21CUDA_tensor_histogramIlhLb0EEEbNS_6TensorES4_S4_lNS_14AccumulateTypeIT0_Lb1EE4typeES8_NS0_13TensorArgTypeES9_S9_EUllE0_EEvNS0_6detail10TensorInfoIT_T1_EESF_NSC_IKS6_SE_EElS8_S8_SE_T6_,comdat
.Lfunc_end7:
	.size	_ZN2at4cuda17kernelHistogram1DIlhlLi1ELi2ELin1ELNS0_23CUDAHistogramMemoryTypeE1EZNS0_21CUDA_tensor_histogramIlhLb0EEEbNS_6TensorES4_S4_lNS_14AccumulateTypeIT0_Lb1EE4typeES8_NS0_13TensorArgTypeES9_S9_EUllE0_EEvNS0_6detail10TensorInfoIT_T1_EESF_NSC_IKS6_SE_EElS8_S8_SE_T6_, .Lfunc_end7-_ZN2at4cuda17kernelHistogram1DIlhlLi1ELi2ELin1ELNS0_23CUDAHistogramMemoryTypeE1EZNS0_21CUDA_tensor_histogramIlhLb0EEEbNS_6TensorES4_S4_lNS_14AccumulateTypeIT0_Lb1EE4typeES8_NS0_13TensorArgTypeES9_S9_EUllE0_EEvNS0_6detail10TensorInfoIT_T1_EESF_NSC_IKS6_SE_EElS8_S8_SE_T6_
                                        ; -- End function
	.set _ZN2at4cuda17kernelHistogram1DIlhlLi1ELi2ELin1ELNS0_23CUDAHistogramMemoryTypeE1EZNS0_21CUDA_tensor_histogramIlhLb0EEEbNS_6TensorES4_S4_lNS_14AccumulateTypeIT0_Lb1EE4typeES8_NS0_13TensorArgTypeES9_S9_EUllE0_EEvNS0_6detail10TensorInfoIT_T1_EESF_NSC_IKS6_SE_EElS8_S8_SE_T6_.num_vgpr, 24
	.set _ZN2at4cuda17kernelHistogram1DIlhlLi1ELi2ELin1ELNS0_23CUDAHistogramMemoryTypeE1EZNS0_21CUDA_tensor_histogramIlhLb0EEEbNS_6TensorES4_S4_lNS_14AccumulateTypeIT0_Lb1EE4typeES8_NS0_13TensorArgTypeES9_S9_EUllE0_EEvNS0_6detail10TensorInfoIT_T1_EESF_NSC_IKS6_SE_EElS8_S8_SE_T6_.num_agpr, 0
	.set _ZN2at4cuda17kernelHistogram1DIlhlLi1ELi2ELin1ELNS0_23CUDAHistogramMemoryTypeE1EZNS0_21CUDA_tensor_histogramIlhLb0EEEbNS_6TensorES4_S4_lNS_14AccumulateTypeIT0_Lb1EE4typeES8_NS0_13TensorArgTypeES9_S9_EUllE0_EEvNS0_6detail10TensorInfoIT_T1_EESF_NSC_IKS6_SE_EElS8_S8_SE_T6_.numbered_sgpr, 51
	.set _ZN2at4cuda17kernelHistogram1DIlhlLi1ELi2ELin1ELNS0_23CUDAHistogramMemoryTypeE1EZNS0_21CUDA_tensor_histogramIlhLb0EEEbNS_6TensorES4_S4_lNS_14AccumulateTypeIT0_Lb1EE4typeES8_NS0_13TensorArgTypeES9_S9_EUllE0_EEvNS0_6detail10TensorInfoIT_T1_EESF_NSC_IKS6_SE_EElS8_S8_SE_T6_.num_named_barrier, 0
	.set _ZN2at4cuda17kernelHistogram1DIlhlLi1ELi2ELin1ELNS0_23CUDAHistogramMemoryTypeE1EZNS0_21CUDA_tensor_histogramIlhLb0EEEbNS_6TensorES4_S4_lNS_14AccumulateTypeIT0_Lb1EE4typeES8_NS0_13TensorArgTypeES9_S9_EUllE0_EEvNS0_6detail10TensorInfoIT_T1_EESF_NSC_IKS6_SE_EElS8_S8_SE_T6_.private_seg_size, 0
	.set _ZN2at4cuda17kernelHistogram1DIlhlLi1ELi2ELin1ELNS0_23CUDAHistogramMemoryTypeE1EZNS0_21CUDA_tensor_histogramIlhLb0EEEbNS_6TensorES4_S4_lNS_14AccumulateTypeIT0_Lb1EE4typeES8_NS0_13TensorArgTypeES9_S9_EUllE0_EEvNS0_6detail10TensorInfoIT_T1_EESF_NSC_IKS6_SE_EElS8_S8_SE_T6_.uses_vcc, 1
	.set _ZN2at4cuda17kernelHistogram1DIlhlLi1ELi2ELin1ELNS0_23CUDAHistogramMemoryTypeE1EZNS0_21CUDA_tensor_histogramIlhLb0EEEbNS_6TensorES4_S4_lNS_14AccumulateTypeIT0_Lb1EE4typeES8_NS0_13TensorArgTypeES9_S9_EUllE0_EEvNS0_6detail10TensorInfoIT_T1_EESF_NSC_IKS6_SE_EElS8_S8_SE_T6_.uses_flat_scratch, 0
	.set _ZN2at4cuda17kernelHistogram1DIlhlLi1ELi2ELin1ELNS0_23CUDAHistogramMemoryTypeE1EZNS0_21CUDA_tensor_histogramIlhLb0EEEbNS_6TensorES4_S4_lNS_14AccumulateTypeIT0_Lb1EE4typeES8_NS0_13TensorArgTypeES9_S9_EUllE0_EEvNS0_6detail10TensorInfoIT_T1_EESF_NSC_IKS6_SE_EElS8_S8_SE_T6_.has_dyn_sized_stack, 0
	.set _ZN2at4cuda17kernelHistogram1DIlhlLi1ELi2ELin1ELNS0_23CUDAHistogramMemoryTypeE1EZNS0_21CUDA_tensor_histogramIlhLb0EEEbNS_6TensorES4_S4_lNS_14AccumulateTypeIT0_Lb1EE4typeES8_NS0_13TensorArgTypeES9_S9_EUllE0_EEvNS0_6detail10TensorInfoIT_T1_EESF_NSC_IKS6_SE_EElS8_S8_SE_T6_.has_recursion, 0
	.set _ZN2at4cuda17kernelHistogram1DIlhlLi1ELi2ELin1ELNS0_23CUDAHistogramMemoryTypeE1EZNS0_21CUDA_tensor_histogramIlhLb0EEEbNS_6TensorES4_S4_lNS_14AccumulateTypeIT0_Lb1EE4typeES8_NS0_13TensorArgTypeES9_S9_EUllE0_EEvNS0_6detail10TensorInfoIT_T1_EESF_NSC_IKS6_SE_EElS8_S8_SE_T6_.has_indirect_call, 0
	.section	.AMDGPU.csdata,"",@progbits
; Kernel info:
; codeLenInByte = 2048
; TotalNumSgprs: 53
; NumVgprs: 24
; ScratchSize: 0
; MemoryBound: 0
; FloatMode: 240
; IeeeMode: 1
; LDSByteSize: 0 bytes/workgroup (compile time only)
; SGPRBlocks: 0
; VGPRBlocks: 1
; NumSGPRsForWavesPerEU: 53
; NumVGPRsForWavesPerEU: 24
; NamedBarCnt: 0
; Occupancy: 16
; WaveLimiterHint : 1
; COMPUTE_PGM_RSRC2:SCRATCH_EN: 0
; COMPUTE_PGM_RSRC2:USER_SGPR: 2
; COMPUTE_PGM_RSRC2:TRAP_HANDLER: 0
; COMPUTE_PGM_RSRC2:TGID_X_EN: 1
; COMPUTE_PGM_RSRC2:TGID_Y_EN: 0
; COMPUTE_PGM_RSRC2:TGID_Z_EN: 0
; COMPUTE_PGM_RSRC2:TIDIG_COMP_CNT: 0
	.section	.text._ZN2at4cuda17kernelHistogram1DIdhlLi1ELi2ELin1ELNS0_23CUDAHistogramMemoryTypeE0EZNS0_21CUDA_tensor_histogramIdhLb1EEEbNS_6TensorES4_S4_lNS_14AccumulateTypeIT0_Lb1EE4typeES8_NS0_13TensorArgTypeES9_S9_EUllE_EEvNS0_6detail10TensorInfoIT_T1_EESF_NSC_IKS6_SE_EElS8_S8_SE_T6_,"axG",@progbits,_ZN2at4cuda17kernelHistogram1DIdhlLi1ELi2ELin1ELNS0_23CUDAHistogramMemoryTypeE0EZNS0_21CUDA_tensor_histogramIdhLb1EEEbNS_6TensorES4_S4_lNS_14AccumulateTypeIT0_Lb1EE4typeES8_NS0_13TensorArgTypeES9_S9_EUllE_EEvNS0_6detail10TensorInfoIT_T1_EESF_NSC_IKS6_SE_EElS8_S8_SE_T6_,comdat
	.protected	_ZN2at4cuda17kernelHistogram1DIdhlLi1ELi2ELin1ELNS0_23CUDAHistogramMemoryTypeE0EZNS0_21CUDA_tensor_histogramIdhLb1EEEbNS_6TensorES4_S4_lNS_14AccumulateTypeIT0_Lb1EE4typeES8_NS0_13TensorArgTypeES9_S9_EUllE_EEvNS0_6detail10TensorInfoIT_T1_EESF_NSC_IKS6_SE_EElS8_S8_SE_T6_ ; -- Begin function _ZN2at4cuda17kernelHistogram1DIdhlLi1ELi2ELin1ELNS0_23CUDAHistogramMemoryTypeE0EZNS0_21CUDA_tensor_histogramIdhLb1EEEbNS_6TensorES4_S4_lNS_14AccumulateTypeIT0_Lb1EE4typeES8_NS0_13TensorArgTypeES9_S9_EUllE_EEvNS0_6detail10TensorInfoIT_T1_EESF_NSC_IKS6_SE_EElS8_S8_SE_T6_
	.globl	_ZN2at4cuda17kernelHistogram1DIdhlLi1ELi2ELin1ELNS0_23CUDAHistogramMemoryTypeE0EZNS0_21CUDA_tensor_histogramIdhLb1EEEbNS_6TensorES4_S4_lNS_14AccumulateTypeIT0_Lb1EE4typeES8_NS0_13TensorArgTypeES9_S9_EUllE_EEvNS0_6detail10TensorInfoIT_T1_EESF_NSC_IKS6_SE_EElS8_S8_SE_T6_
	.p2align	8
	.type	_ZN2at4cuda17kernelHistogram1DIdhlLi1ELi2ELin1ELNS0_23CUDAHistogramMemoryTypeE0EZNS0_21CUDA_tensor_histogramIdhLb1EEEbNS_6TensorES4_S4_lNS_14AccumulateTypeIT0_Lb1EE4typeES8_NS0_13TensorArgTypeES9_S9_EUllE_EEvNS0_6detail10TensorInfoIT_T1_EESF_NSC_IKS6_SE_EElS8_S8_SE_T6_,@function
_ZN2at4cuda17kernelHistogram1DIdhlLi1ELi2ELin1ELNS0_23CUDAHistogramMemoryTypeE0EZNS0_21CUDA_tensor_histogramIdhLb1EEEbNS_6TensorES4_S4_lNS_14AccumulateTypeIT0_Lb1EE4typeES8_NS0_13TensorArgTypeES9_S9_EUllE_EEvNS0_6detail10TensorInfoIT_T1_EESF_NSC_IKS6_SE_EElS8_S8_SE_T6_: ; @_ZN2at4cuda17kernelHistogram1DIdhlLi1ELi2ELin1ELNS0_23CUDAHistogramMemoryTypeE0EZNS0_21CUDA_tensor_histogramIdhLb1EEEbNS_6TensorES4_S4_lNS_14AccumulateTypeIT0_Lb1EE4typeES8_NS0_13TensorArgTypeES9_S9_EUllE_EEvNS0_6detail10TensorInfoIT_T1_EESF_NSC_IKS6_SE_EElS8_S8_SE_T6_
; %bb.0:
	s_clause 0x2
	s_load_b128 s[12:15], s[0:1], 0x0
	s_load_b64 s[16:17], s[0:1], 0x500
	s_load_b256 s[4:11], s[0:1], 0x4e0
	v_mov_b32_e32 v1, 0
	s_add_nc_u64 s[28:29], s[0:1], 0x6a0
	s_mov_b32 s3, exec_lo
                                        ; implicit-def: $sgpr18
                                        ; implicit-def: $sgpr19
	s_wait_kmcnt 0x0
	s_delay_alu instid0(VALU_DEP_1)
	v_cmp_gt_i64_e64 s2, s[14:15], v[0:1]
	v_cmpx_le_i64_e64 s[14:15], v[0:1]
	s_xor_b32 s3, exec_lo, s3
	s_cbranch_execz .LBB8_2
; %bb.1:
	s_load_b32 s18, s[28:29], 0xc
	s_wait_kmcnt 0x0
	s_and_b32 s19, s18, 0xffff
.LBB8_2:
	s_or_saveexec_b32 s3, s3
	v_dual_mov_b32 v16, s18 :: v_dual_mov_b32 v15, s19
	v_lshl_add_u32 v14, v0, 3, 0
	s_xor_b32 exec_lo, exec_lo, s3
	s_cbranch_execz .LBB8_6
; %bb.3:
	s_load_b32 s20, s[28:29], 0xc
	v_mov_b64_e32 v[2:3], 0
	v_mov_b64_e32 v[4:5], v[0:1]
	v_lshl_add_u32 v6, v0, 3, 0
	s_mov_b32 s19, 0
	s_delay_alu instid0(SALU_CYCLE_1) | instskip(SKIP_2) | instid1(SALU_CYCLE_1)
	s_mov_b32 s21, s19
	s_wait_kmcnt 0x0
	s_and_b32 s18, s20, 0xffff
	s_lshl_b32 s22, s18, 3
.LBB8_4:                                ; =>This Inner Loop Header: Depth=1
	v_add_nc_u64_e32 v[4:5], s[18:19], v[4:5]
	ds_store_b64 v6, v[2:3]
	v_add_nc_u32_e32 v6, s22, v6
	v_cmp_le_i64_e32 vcc_lo, s[14:15], v[4:5]
	s_or_b32 s21, vcc_lo, s21
	s_delay_alu instid0(SALU_CYCLE_1)
	s_and_not1_b32 exec_lo, exec_lo, s21
	s_cbranch_execnz .LBB8_4
; %bb.5:
	s_or_b32 exec_lo, exec_lo, s21
	v_dual_mov_b32 v16, s20 :: v_dual_mov_b32 v15, s18
.LBB8_6:
	s_or_b32 exec_lo, exec_lo, s3
	s_bfe_u32 s3, ttmp6, 0x4000c
	s_clause 0x1
	s_load_b64 s[18:19], s[0:1], 0xd0
	s_load_b64 s[20:21], s[0:1], 0x5d0
	s_add_co_i32 s3, s3, 1
	s_and_b32 s22, ttmp6, 15
	s_mul_i32 s3, ttmp9, s3
	s_getreg_b32 s23, hwreg(HW_REG_IB_STS2, 6, 4)
	s_add_co_i32 s22, s22, s3
	s_cmp_eq_u32 s23, 0
	v_mov_b32_e32 v4, 0
	s_cselect_b32 s3, ttmp9, s22
	s_mov_b32 s23, 0
	v_mad_u32 v2, s3, v15, v0
	s_mov_b32 s3, exec_lo
	v_mov_b32_e32 v3, v4
	s_wait_dscnt 0x0
	s_barrier_signal -1
	s_barrier_wait -1
	s_delay_alu instid0(VALU_DEP_1)
	v_cmpx_gt_i64_e64 s[10:11], v[2:3]
	s_cbranch_execz .LBB8_22
; %bb.7:
	s_load_b32 s33, s[0:1], 0x4d8
	s_load_b32 s22, s[28:29], 0x0
	s_clause 0x1
	s_load_b64 s[24:25], s[0:1], 0x410
	s_load_b64 s[26:27], s[0:1], 0x340
	s_add_nc_u64 s[34:35], s[0:1], 0x340
	v_mov_b32_e32 v7, v4
	s_wait_xcnt 0x0
	s_sub_nc_u64 s[28:29], s[8:9], s[6:7]
	s_mov_b64 s[30:31], 0xffffffff
	s_mov_b32 s46, 0
	s_wait_kmcnt 0x0
	s_cmp_gt_i32 s33, 1
	v_mul_lo_u32 v6, s22, v15
	s_cselect_b32 s1, -1, 0
	s_add_co_i32 s22, s33, -1
	s_add_co_i32 s33, s33, 1
	s_lshl_b64 s[36:37], s[22:23], 3
	s_delay_alu instid0(SALU_CYCLE_1)
	s_add_nc_u64 s[34:35], s[34:35], s[36:37]
	s_ashr_i32 s36, s29, 31
	s_add_nc_u64 s[34:35], s[34:35], 8
	s_branch .LBB8_10
.LBB8_8:                                ;   in Loop: Header=BB8_10 Depth=1
	s_or_b32 exec_lo, exec_lo, s0
	v_mul_u64_e32 v[8:9], s[20:21], v[2:3]
	s_delay_alu instid0(VALU_DEP_2) | instskip(NEXT) | instid1(VALU_DEP_1)
	v_ashrrev_i32_e32 v11, 31, v10
	v_cmp_eq_u64_e32 vcc_lo, s[4:5], v[10:11]
	v_subrev_co_ci_u32_e64 v5, null, 0, v10, vcc_lo
	s_delay_alu instid0(VALU_DEP_1)
	v_lshl_add_u32 v5, v5, 3, 0
	v_lshl_add_u64 v[8:9], v[8:9], 3, s[16:17]
	global_load_b64 v[8:9], v[8:9], off
	s_wait_loadcnt 0x0
	ds_add_f64 v5, v[8:9]
.LBB8_9:                                ;   in Loop: Header=BB8_10 Depth=1
	s_wait_xcnt 0x0
	s_or_b32 exec_lo, exec_lo, s40
	v_add_nc_u64_e32 v[2:3], v[2:3], v[6:7]
	s_delay_alu instid0(VALU_DEP_1) | instskip(SKIP_1) | instid1(SALU_CYCLE_1)
	v_cmp_le_i64_e32 vcc_lo, s[10:11], v[2:3]
	s_or_b32 s46, vcc_lo, s46
	s_and_not1_b32 exec_lo, exec_lo, s46
	s_cbranch_execz .LBB8_22
.LBB8_10:                               ; =>This Loop Header: Depth=1
                                        ;     Child Loop BB8_11 Depth 2
	v_mov_b64_e32 v[8:9], 0
	v_mov_b64_e32 v[10:11], v[2:3]
	;; [unrolled: 1-line block ×3, first 2 shown]
	s_and_not1_b32 vcc_lo, exec_lo, s1
	s_mov_b64 s[38:39], s[34:35]
	s_mov_b32 s37, s33
	s_cbranch_vccnz .LBB8_17
.LBB8_11:                               ;   Parent Loop BB8_10 Depth=1
                                        ; =>  This Inner Loop Header: Depth=2
	s_load_b64 s[40:41], s[38:39], 0x0
                                        ; implicit-def: $vgpr12_vgpr13
	s_mov_b32 s0, exec_lo
	s_wait_kmcnt 0x0
	s_delay_alu instid0(VALU_DEP_1) | instskip(NEXT) | instid1(VALU_DEP_1)
	v_or_b32_e32 v5, s41, v11
	v_cmpx_ne_u64_e32 0, v[4:5]
	s_xor_b32 s47, exec_lo, s0
	s_cbranch_execz .LBB8_13
; %bb.12:                               ;   in Loop: Header=BB8_11 Depth=2
	s_ashr_i32 s42, s41, 31
	v_dual_mov_b32 v21, v4 :: v_dual_ashrrev_i32 v12, 31, v11
	s_mov_b32 s43, s42
	v_mov_b32_e32 v29, v4
	s_add_nc_u64 s[44:45], s[40:41], s[42:43]
	s_delay_alu instid0(VALU_DEP_2) | instskip(SKIP_1) | instid1(SALU_CYCLE_1)
	v_mov_b32_e32 v13, v12
	s_xor_b64 s[44:45], s[44:45], s[42:43]
	s_cvt_f32_u32 s0, s44
	s_cvt_f32_u32 s22, s45
	s_sub_nc_u64 s[50:51], 0, s[44:45]
	v_add_nc_u64_e32 v[18:19], v[10:11], v[12:13]
	v_mov_b32_e32 v25, v4
	s_fmamk_f32 s0, s22, 0x4f800000, s0
	s_delay_alu instid0(SALU_CYCLE_3) | instskip(NEXT) | instid1(VALU_DEP_2)
	v_s_rcp_f32 s0, s0
	v_xor_b32_e32 v20, v18, v12
	s_delay_alu instid0(VALU_DEP_3) | instskip(SKIP_1) | instid1(TRANS32_DEP_1)
	v_xor_b32_e32 v24, v19, v12
	v_xor_b32_e32 v12, s42, v12
	s_mul_f32 s0, s0, 0x5f7ffffc
	s_delay_alu instid0(SALU_CYCLE_3) | instskip(NEXT) | instid1(SALU_CYCLE_3)
	s_mul_f32 s22, s0, 0x2f800000
	s_trunc_f32 s22, s22
	s_delay_alu instid0(SALU_CYCLE_3) | instskip(SKIP_1) | instid1(SALU_CYCLE_2)
	s_fmamk_f32 s0, s22, 0xcf800000, s0
	s_cvt_u32_f32 s49, s22
	s_cvt_u32_f32 s48, s0
	s_delay_alu instid0(SALU_CYCLE_3) | instskip(NEXT) | instid1(SALU_CYCLE_1)
	s_mul_u64 s[52:53], s[50:51], s[48:49]
	s_mul_hi_u32 s55, s48, s53
	s_mul_i32 s54, s48, s53
	s_mul_hi_u32 s22, s48, s52
	s_mul_i32 s43, s49, s52
	s_add_nc_u64 s[54:55], s[22:23], s[54:55]
	s_mul_hi_u32 s0, s49, s52
	s_mul_hi_u32 s56, s49, s53
	s_add_co_u32 s22, s54, s43
	s_add_co_ci_u32 s22, s55, s0
	s_mul_i32 s52, s49, s53
	s_add_co_ci_u32 s53, s56, 0
	s_delay_alu instid0(SALU_CYCLE_1) | instskip(NEXT) | instid1(SALU_CYCLE_1)
	s_add_nc_u64 s[52:53], s[22:23], s[52:53]
	s_add_co_u32 s48, s48, s52
	s_cselect_b32 s0, -1, 0
	s_delay_alu instid0(SALU_CYCLE_1) | instskip(SKIP_1) | instid1(SALU_CYCLE_1)
	s_cmp_lg_u32 s0, 0
	s_add_co_ci_u32 s49, s49, s53
	s_mul_u64 s[50:51], s[50:51], s[48:49]
	s_delay_alu instid0(SALU_CYCLE_1)
	s_mul_hi_u32 s53, s48, s51
	s_mul_i32 s52, s48, s51
	s_mul_hi_u32 s22, s48, s50
	s_mul_i32 s43, s49, s50
	s_add_nc_u64 s[52:53], s[22:23], s[52:53]
	s_mul_hi_u32 s0, s49, s50
	s_mul_hi_u32 s54, s49, s51
	s_add_co_u32 s22, s52, s43
	s_add_co_ci_u32 s22, s53, s0
	s_mul_i32 s50, s49, s51
	s_add_co_ci_u32 s51, s54, 0
	s_delay_alu instid0(SALU_CYCLE_1) | instskip(NEXT) | instid1(SALU_CYCLE_1)
	s_add_nc_u64 s[50:51], s[22:23], s[50:51]
	s_add_co_u32 s0, s48, s50
	s_cselect_b32 s22, -1, 0
	v_mul_hi_u32 v28, v20, s0
	s_cmp_lg_u32 s22, 0
	s_add_co_ci_u32 s22, s49, s51
	s_and_b64 s[48:49], s[0:1], s[30:31]
	v_mul_u64_e32 v[22:23], s[22:23], v[20:21]
	v_mul_u64_e32 v[18:19], s[48:49], v[24:25]
	;; [unrolled: 1-line block ×3, first 2 shown]
	s_delay_alu instid0(VALU_DEP_3) | instskip(NEXT) | instid1(VALU_DEP_1)
	v_add_nc_u64_e32 v[22:23], v[28:29], v[22:23]
	v_add_co_u32 v5, vcc_lo, v22, v18
	s_delay_alu instid0(VALU_DEP_2) | instskip(NEXT) | instid1(VALU_DEP_4)
	v_add_co_ci_u32_e32 v28, vcc_lo, v23, v19, vcc_lo
	v_add_co_ci_u32_e32 v27, vcc_lo, 0, v27, vcc_lo
	s_delay_alu instid0(VALU_DEP_1) | instskip(NEXT) | instid1(VALU_DEP_1)
	v_add_nc_u64_e32 v[18:19], v[28:29], v[26:27]
	v_mul_u64_e32 v[22:23], s[44:45], v[18:19]
	s_delay_alu instid0(VALU_DEP_1) | instskip(NEXT) | instid1(VALU_DEP_2)
	v_sub_nc_u32_e32 v5, v24, v23
	v_sub_co_u32 v13, vcc_lo, v20, v22
	s_delay_alu instid0(VALU_DEP_1) | instskip(NEXT) | instid1(VALU_DEP_3)
	v_sub_co_ci_u32_e64 v24, null, v24, v23, vcc_lo
	v_subrev_co_ci_u32_e64 v5, null, s45, v5, vcc_lo
	s_delay_alu instid0(VALU_DEP_3) | instskip(SKIP_1) | instid1(VALU_DEP_3)
	v_sub_co_u32 v17, s0, v13, s44
	v_add_nc_u64_e32 v[22:23], 1, v[18:19]
	v_subrev_co_ci_u32_e64 v5, null, 0, v5, s0
	s_delay_alu instid0(VALU_DEP_3) | instskip(SKIP_1) | instid1(VALU_DEP_3)
	v_cmp_le_u32_e32 vcc_lo, s44, v17
	v_cndmask_b32_e64 v17, 0, -1, vcc_lo
	v_cmp_le_u32_e32 vcc_lo, s45, v5
	v_cndmask_b32_e64 v20, 0, -1, vcc_lo
	;; [unrolled: 2-line block ×4, first 2 shown]
	v_cmp_eq_u32_e32 vcc_lo, s45, v5
	v_cndmask_b32_e32 v5, v20, v17, vcc_lo
	v_cmp_eq_u32_e32 vcc_lo, s45, v24
	v_add_nc_u64_e32 v[20:21], 2, v[18:19]
	v_cndmask_b32_e32 v13, v25, v13, vcc_lo
	s_delay_alu instid0(VALU_DEP_4) | instskip(NEXT) | instid1(VALU_DEP_2)
	v_cmp_ne_u32_e32 vcc_lo, 0, v5
	v_cmp_ne_u32_e64 s0, 0, v13
	s_delay_alu instid0(VALU_DEP_4) | instskip(NEXT) | instid1(VALU_DEP_1)
	v_dual_cndmask_b32 v5, v23, v21, vcc_lo :: v_dual_cndmask_b32 v13, v22, v20, vcc_lo
	v_dual_cndmask_b32 v17, v18, v13, s0 :: v_dual_mov_b32 v13, v12
	s_delay_alu instid0(VALU_DEP_1) | instskip(NEXT) | instid1(VALU_DEP_1)
	v_dual_cndmask_b32 v5, v19, v5, s0 :: v_dual_bitop2_b32 v18, v17, v12 bitop3:0x14
	v_xor_b32_e32 v19, v5, v12
	s_delay_alu instid0(VALU_DEP_1)
	v_sub_nc_u64_e32 v[12:13], v[18:19], v[12:13]
.LBB8_13:                               ;   in Loop: Header=BB8_11 Depth=2
	s_and_not1_saveexec_b32 s0, s47
	s_cbranch_execz .LBB8_15
; %bb.14:                               ;   in Loop: Header=BB8_11 Depth=2
	v_cvt_f32_u32_e32 v5, s40
	s_sub_co_i32 s22, 0, s40
	s_delay_alu instid0(VALU_DEP_1) | instskip(SKIP_1) | instid1(TRANS32_DEP_1)
	v_rcp_iflag_f32_e32 v5, v5
	v_nop
	v_mul_f32_e32 v5, 0x4f7ffffe, v5
	s_delay_alu instid0(VALU_DEP_1) | instskip(NEXT) | instid1(VALU_DEP_1)
	v_cvt_u32_f32_e32 v5, v5
	v_mul_lo_u32 v12, s22, v5
	s_delay_alu instid0(VALU_DEP_1) | instskip(NEXT) | instid1(VALU_DEP_1)
	v_mul_hi_u32 v12, v5, v12
	v_add_nc_u32_e32 v5, v5, v12
	s_delay_alu instid0(VALU_DEP_1) | instskip(NEXT) | instid1(VALU_DEP_1)
	v_mul_hi_u32 v5, v10, v5
	v_mul_lo_u32 v12, v5, s40
	s_delay_alu instid0(VALU_DEP_1) | instskip(NEXT) | instid1(VALU_DEP_1)
	v_dual_add_nc_u32 v13, 1, v5 :: v_dual_sub_nc_u32 v12, v10, v12
	v_subrev_nc_u32_e32 v17, s40, v12
	v_cmp_le_u32_e32 vcc_lo, s40, v12
	s_delay_alu instid0(VALU_DEP_2) | instskip(NEXT) | instid1(VALU_DEP_4)
	v_cndmask_b32_e32 v12, v12, v17, vcc_lo
	v_cndmask_b32_e32 v5, v5, v13, vcc_lo
	s_delay_alu instid0(VALU_DEP_2) | instskip(NEXT) | instid1(VALU_DEP_2)
	v_cmp_le_u32_e32 vcc_lo, s40, v12
	v_add_nc_u32_e32 v13, 1, v5
	s_delay_alu instid0(VALU_DEP_1)
	v_dual_cndmask_b32 v12, v5, v13 :: v_dual_mov_b32 v13, v4
.LBB8_15:                               ;   in Loop: Header=BB8_11 Depth=2
	s_or_b32 exec_lo, exec_lo, s0
	s_delay_alu instid0(VALU_DEP_1)
	v_mul_u64_e32 v[18:19], s[40:41], v[12:13]
	s_load_b64 s[40:41], s[38:39], 0xc8
	s_add_co_i32 s37, s37, -1
	s_wait_xcnt 0x0
	s_add_nc_u64 s[38:39], s[38:39], -8
	s_cmp_gt_u32 s37, 2
	s_delay_alu instid0(VALU_DEP_1) | instskip(SKIP_1) | instid1(VALU_DEP_1)
	v_sub_nc_u64_e32 v[10:11], v[10:11], v[18:19]
	s_wait_kmcnt 0x0
	v_mad_nc_u64_u32 v[8:9], s40, v10, v[8:9]
	s_delay_alu instid0(VALU_DEP_1) | instskip(NEXT) | instid1(VALU_DEP_1)
	v_mad_u32 v5, s41, v10, v9
	v_mad_u32 v9, s40, v11, v5
	s_cbranch_scc0 .LBB8_17
; %bb.16:                               ;   in Loop: Header=BB8_11 Depth=2
	v_mov_b64_e32 v[10:11], v[12:13]
	s_branch .LBB8_11
.LBB8_17:                               ;   in Loop: Header=BB8_10 Depth=1
	s_delay_alu instid0(VALU_DEP_1) | instskip(NEXT) | instid1(VALU_DEP_1)
	v_mad_nc_u64_u32 v[10:11], s24, v12, s[26:27]
	v_mad_u32 v5, s25, v12, v11
	s_delay_alu instid0(VALU_DEP_1) | instskip(NEXT) | instid1(VALU_DEP_1)
	v_mad_u32 v11, s24, v13, v5
	v_add_nc_u64_e32 v[8:9], v[10:11], v[8:9]
	global_load_u8 v5, v[8:9], off
	s_wait_xcnt 0x0
	v_mov_b32_e32 v9, s23
	s_wait_loadcnt 0x0
	v_and_b32_e32 v8, 0xffff, v5
	s_delay_alu instid0(VALU_DEP_1) | instskip(SKIP_2) | instid1(SALU_CYCLE_1)
	v_cmp_le_i64_e32 vcc_lo, s[6:7], v[8:9]
	v_cmp_ge_i64_e64 s0, s[8:9], v[8:9]
	s_and_b32 s0, vcc_lo, s0
	s_and_saveexec_b32 s40, s0
	s_cbranch_execz .LBB8_9
; %bb.18:                               ;   in Loop: Header=BB8_10 Depth=1
	v_sub_nc_u64_e64 v[8:9], v[8:9], s[6:7]
                                        ; implicit-def: $vgpr10_vgpr11
	s_mov_b32 s0, exec_lo
	s_delay_alu instid0(VALU_DEP_1) | instskip(NEXT) | instid1(VALU_DEP_1)
	v_mul_u64_e32 v[8:9], s[4:5], v[8:9]
	v_or_b32_e32 v5, s29, v9
	s_delay_alu instid0(VALU_DEP_1)
	v_cmpx_ne_u64_e32 0, v[4:5]
	s_xor_b32 s41, exec_lo, s0
	s_cbranch_execz .LBB8_20
; %bb.19:                               ;   in Loop: Header=BB8_10 Depth=1
	s_mov_b32 s37, s36
	v_dual_mov_b32 v13, v4 :: v_dual_ashrrev_i32 v10, 31, v9
	s_add_nc_u64 s[38:39], s[28:29], s[36:37]
	v_mov_b32_e32 v25, v4
	s_xor_b64 s[38:39], s[38:39], s[36:37]
	s_delay_alu instid0(VALU_DEP_2) | instskip(SKIP_3) | instid1(VALU_DEP_1)
	v_mov_b32_e32 v11, v10
	s_cvt_f32_u32 s0, s38
	s_cvt_f32_u32 s22, s39
	s_sub_nc_u64 s[44:45], 0, s[38:39]
	v_add_nc_u64_e32 v[8:9], v[8:9], v[10:11]
	s_delay_alu instid0(SALU_CYCLE_1) | instskip(SKIP_1) | instid1(SALU_CYCLE_2)
	s_fmamk_f32 s0, s22, 0x4f800000, s0
	v_mov_b32_e32 v21, v4
	v_s_rcp_f32 s0, s0
	s_delay_alu instid0(VALU_DEP_2) | instskip(NEXT) | instid1(VALU_DEP_3)
	v_xor_b32_e32 v12, v8, v10
	v_xor_b32_e32 v20, v9, v10
	s_delay_alu instid0(TRANS32_DEP_1) | instskip(NEXT) | instid1(SALU_CYCLE_3)
	s_mul_f32 s0, s0, 0x5f7ffffc
	s_mul_f32 s22, s0, 0x2f800000
	s_delay_alu instid0(SALU_CYCLE_3) | instskip(NEXT) | instid1(SALU_CYCLE_3)
	s_trunc_f32 s22, s22
	s_fmamk_f32 s0, s22, 0xcf800000, s0
	s_cvt_u32_f32 s43, s22
	s_delay_alu instid0(SALU_CYCLE_2) | instskip(NEXT) | instid1(SALU_CYCLE_3)
	s_cvt_u32_f32 s42, s0
	s_mul_u64 s[48:49], s[44:45], s[42:43]
	s_delay_alu instid0(SALU_CYCLE_1)
	s_mul_hi_u32 s51, s42, s49
	s_mul_i32 s50, s42, s49
	s_mul_hi_u32 s22, s42, s48
	s_mul_i32 s37, s43, s48
	s_add_nc_u64 s[50:51], s[22:23], s[50:51]
	s_mul_hi_u32 s0, s43, s48
	s_mul_hi_u32 s47, s43, s49
	s_add_co_u32 s22, s50, s37
	s_add_co_ci_u32 s22, s51, s0
	s_mul_i32 s48, s43, s49
	s_add_co_ci_u32 s49, s47, 0
	s_delay_alu instid0(SALU_CYCLE_1) | instskip(NEXT) | instid1(SALU_CYCLE_1)
	s_add_nc_u64 s[48:49], s[22:23], s[48:49]
	s_add_co_u32 s42, s42, s48
	s_cselect_b32 s0, -1, 0
	s_delay_alu instid0(SALU_CYCLE_1) | instskip(SKIP_1) | instid1(SALU_CYCLE_1)
	s_cmp_lg_u32 s0, 0
	s_add_co_ci_u32 s43, s43, s49
	s_mul_u64 s[44:45], s[44:45], s[42:43]
	s_delay_alu instid0(SALU_CYCLE_1)
	s_mul_hi_u32 s49, s42, s45
	s_mul_i32 s48, s42, s45
	s_mul_hi_u32 s22, s42, s44
	s_mul_i32 s37, s43, s44
	s_add_nc_u64 s[48:49], s[22:23], s[48:49]
	s_mul_hi_u32 s0, s43, s44
	s_mul_hi_u32 s47, s43, s45
	s_add_co_u32 s22, s48, s37
	s_add_co_ci_u32 s22, s49, s0
	s_mul_i32 s44, s43, s45
	s_add_co_ci_u32 s45, s47, 0
	s_delay_alu instid0(SALU_CYCLE_1) | instskip(NEXT) | instid1(SALU_CYCLE_1)
	s_add_nc_u64 s[44:45], s[22:23], s[44:45]
	s_add_co_u32 s0, s42, s44
	s_cselect_b32 s22, -1, 0
	v_mul_hi_u32 v24, v12, s0
	s_cmp_lg_u32 s22, 0
	s_add_co_ci_u32 s22, s43, s45
	s_and_b64 s[42:43], s[0:1], s[30:31]
	v_mul_u64_e32 v[18:19], s[22:23], v[12:13]
	v_mul_u64_e32 v[8:9], s[42:43], v[20:21]
	;; [unrolled: 1-line block ×3, first 2 shown]
	s_delay_alu instid0(VALU_DEP_3) | instskip(NEXT) | instid1(VALU_DEP_1)
	v_add_nc_u64_e32 v[18:19], v[24:25], v[18:19]
	v_add_co_u32 v5, vcc_lo, v18, v8
	s_delay_alu instid0(VALU_DEP_2) | instskip(NEXT) | instid1(VALU_DEP_4)
	v_add_co_ci_u32_e32 v24, vcc_lo, v19, v9, vcc_lo
	v_add_co_ci_u32_e32 v23, vcc_lo, 0, v23, vcc_lo
	s_delay_alu instid0(VALU_DEP_1) | instskip(NEXT) | instid1(VALU_DEP_1)
	v_add_nc_u64_e32 v[8:9], v[24:25], v[22:23]
	v_mul_u64_e32 v[18:19], s[38:39], v[8:9]
	s_delay_alu instid0(VALU_DEP_1) | instskip(NEXT) | instid1(VALU_DEP_2)
	v_sub_nc_u32_e32 v5, v20, v19
	v_sub_co_u32 v11, vcc_lo, v12, v18
	s_delay_alu instid0(VALU_DEP_1) | instskip(NEXT) | instid1(VALU_DEP_3)
	v_sub_co_ci_u32_e64 v17, null, v20, v19, vcc_lo
	v_subrev_co_ci_u32_e64 v5, null, s39, v5, vcc_lo
	s_delay_alu instid0(VALU_DEP_3) | instskip(SKIP_1) | instid1(VALU_DEP_3)
	v_sub_co_u32 v12, s0, v11, s38
	v_add_nc_u64_e32 v[18:19], 1, v[8:9]
	v_subrev_co_ci_u32_e64 v5, null, 0, v5, s0
	s_delay_alu instid0(VALU_DEP_3) | instskip(SKIP_1) | instid1(VALU_DEP_3)
	v_cmp_le_u32_e32 vcc_lo, s38, v12
	v_cndmask_b32_e64 v12, 0, -1, vcc_lo
	v_cmp_le_u32_e32 vcc_lo, s39, v5
	v_cndmask_b32_e64 v13, 0, -1, vcc_lo
	;; [unrolled: 2-line block ×4, first 2 shown]
	v_cmp_eq_u32_e32 vcc_lo, s39, v5
	v_cndmask_b32_e32 v5, v13, v12, vcc_lo
	v_cmp_eq_u32_e32 vcc_lo, s39, v17
	v_add_nc_u64_e32 v[12:13], 2, v[8:9]
	v_cndmask_b32_e32 v11, v20, v11, vcc_lo
	s_delay_alu instid0(VALU_DEP_4) | instskip(NEXT) | instid1(VALU_DEP_3)
	v_cmp_ne_u32_e32 vcc_lo, 0, v5
	v_cndmask_b32_e32 v5, v19, v13, vcc_lo
	s_delay_alu instid0(VALU_DEP_3) | instskip(SKIP_1) | instid1(VALU_DEP_1)
	v_cmp_ne_u32_e64 s0, 0, v11
	v_dual_cndmask_b32 v11, v18, v12, vcc_lo :: v_dual_bitop2_b32 v10, s36, v10 bitop3:0x14
	v_dual_cndmask_b32 v5, v9, v5, s0 :: v_dual_cndmask_b32 v8, v8, v11, s0
	s_delay_alu instid0(VALU_DEP_1) | instskip(NEXT) | instid1(VALU_DEP_2)
	v_dual_mov_b32 v11, v10 :: v_dual_bitop2_b32 v9, v5, v10 bitop3:0x14
	v_xor_b32_e32 v8, v8, v10
	s_delay_alu instid0(VALU_DEP_1)
	v_sub_nc_u64_e32 v[10:11], v[8:9], v[10:11]
                                        ; implicit-def: $vgpr8_vgpr9
.LBB8_20:                               ;   in Loop: Header=BB8_10 Depth=1
	s_and_not1_saveexec_b32 s0, s41
	s_cbranch_execz .LBB8_8
; %bb.21:                               ;   in Loop: Header=BB8_10 Depth=1
	v_cvt_f32_u32_e32 v5, s28
	s_sub_co_i32 s22, 0, s28
	s_delay_alu instid0(VALU_DEP_1) | instskip(SKIP_1) | instid1(TRANS32_DEP_1)
	v_rcp_iflag_f32_e32 v5, v5
	v_nop
	v_mul_f32_e32 v5, 0x4f7ffffe, v5
	s_delay_alu instid0(VALU_DEP_1) | instskip(NEXT) | instid1(VALU_DEP_1)
	v_cvt_u32_f32_e32 v5, v5
	v_mul_lo_u32 v9, s22, v5
	s_delay_alu instid0(VALU_DEP_1) | instskip(NEXT) | instid1(VALU_DEP_1)
	v_mul_hi_u32 v9, v5, v9
	v_add_nc_u32_e32 v5, v5, v9
	s_delay_alu instid0(VALU_DEP_1) | instskip(NEXT) | instid1(VALU_DEP_1)
	v_mul_hi_u32 v5, v8, v5
	v_mul_lo_u32 v9, v5, s28
	s_delay_alu instid0(VALU_DEP_1) | instskip(SKIP_1) | instid1(VALU_DEP_2)
	v_sub_nc_u32_e32 v8, v8, v9
	v_add_nc_u32_e32 v9, 1, v5
	v_subrev_nc_u32_e32 v10, s28, v8
	v_cmp_le_u32_e32 vcc_lo, s28, v8
	s_delay_alu instid0(VALU_DEP_2) | instskip(NEXT) | instid1(VALU_DEP_1)
	v_dual_cndmask_b32 v8, v8, v10 :: v_dual_cndmask_b32 v5, v5, v9
	v_cmp_le_u32_e32 vcc_lo, s28, v8
	s_delay_alu instid0(VALU_DEP_2) | instskip(NEXT) | instid1(VALU_DEP_1)
	v_add_nc_u32_e32 v9, 1, v5
	v_cndmask_b32_e32 v10, v5, v9, vcc_lo
	s_branch .LBB8_8
.LBB8_22:
	s_or_b32 exec_lo, exec_lo, s3
; %bb.23:
	s_wait_dscnt 0x0
	s_barrier_signal -1
	s_barrier_wait -1
	s_wait_xcnt 0x0
	s_and_saveexec_b32 s0, s2
	s_cbranch_execz .LBB8_26
; %bb.24:
	s_mov_b32 s0, 0
	v_and_b32_e32 v2, 0xffff, v16
	v_dual_mov_b32 v3, s0 :: v_dual_lshlrev_b32 v8, 3, v15
	s_wait_kmcnt 0x0
	v_mul_u64_e32 v[6:7], s[18:19], v[0:1]
	s_delay_alu instid0(VALU_DEP_2) | instskip(NEXT) | instid1(VALU_DEP_2)
	v_mul_u64_e32 v[4:5], s[18:19], v[2:3]
	v_lshl_add_u64 v[6:7], v[6:7], 3, s[12:13]
	s_delay_alu instid0(VALU_DEP_2)
	v_lshlrev_b64_e32 v[4:5], 3, v[4:5]
.LBB8_25:                               ; =>This Inner Loop Header: Depth=1
	ds_load_b64 v[10:11], v14
	v_add_nc_u64_e32 v[0:1], v[0:1], v[2:3]
	v_add_nc_u32_e32 v14, v14, v8
	s_delay_alu instid0(VALU_DEP_2)
	v_cmp_le_i64_e32 vcc_lo, s[14:15], v[0:1]
	s_or_b32 s0, vcc_lo, s0
	s_wait_dscnt 0x0
	global_atomic_add_f64 v[6:7], v[10:11], off scope:SCOPE_DEV
	s_wait_xcnt 0x0
	v_add_nc_u64_e32 v[6:7], v[6:7], v[4:5]
	s_and_not1_b32 exec_lo, exec_lo, s0
	s_cbranch_execnz .LBB8_25
.LBB8_26:
	s_endpgm
	.section	.rodata,"a",@progbits
	.p2align	6, 0x0
	.amdhsa_kernel _ZN2at4cuda17kernelHistogram1DIdhlLi1ELi2ELin1ELNS0_23CUDAHistogramMemoryTypeE0EZNS0_21CUDA_tensor_histogramIdhLb1EEEbNS_6TensorES4_S4_lNS_14AccumulateTypeIT0_Lb1EE4typeES8_NS0_13TensorArgTypeES9_S9_EUllE_EEvNS0_6detail10TensorInfoIT_T1_EESF_NSC_IKS6_SE_EElS8_S8_SE_T6_
		.amdhsa_group_segment_fixed_size 0
		.amdhsa_private_segment_fixed_size 0
		.amdhsa_kernarg_size 1952
		.amdhsa_user_sgpr_count 2
		.amdhsa_user_sgpr_dispatch_ptr 0
		.amdhsa_user_sgpr_queue_ptr 0
		.amdhsa_user_sgpr_kernarg_segment_ptr 1
		.amdhsa_user_sgpr_dispatch_id 0
		.amdhsa_user_sgpr_kernarg_preload_length 0
		.amdhsa_user_sgpr_kernarg_preload_offset 0
		.amdhsa_user_sgpr_private_segment_size 0
		.amdhsa_wavefront_size32 1
		.amdhsa_uses_dynamic_stack 0
		.amdhsa_enable_private_segment 0
		.amdhsa_system_sgpr_workgroup_id_x 1
		.amdhsa_system_sgpr_workgroup_id_y 0
		.amdhsa_system_sgpr_workgroup_id_z 0
		.amdhsa_system_sgpr_workgroup_info 0
		.amdhsa_system_vgpr_workitem_id 0
		.amdhsa_next_free_vgpr 30
		.amdhsa_next_free_sgpr 57
		.amdhsa_named_barrier_count 0
		.amdhsa_reserve_vcc 1
		.amdhsa_float_round_mode_32 0
		.amdhsa_float_round_mode_16_64 0
		.amdhsa_float_denorm_mode_32 3
		.amdhsa_float_denorm_mode_16_64 3
		.amdhsa_fp16_overflow 0
		.amdhsa_memory_ordered 1
		.amdhsa_forward_progress 1
		.amdhsa_inst_pref_size 19
		.amdhsa_round_robin_scheduling 0
		.amdhsa_exception_fp_ieee_invalid_op 0
		.amdhsa_exception_fp_denorm_src 0
		.amdhsa_exception_fp_ieee_div_zero 0
		.amdhsa_exception_fp_ieee_overflow 0
		.amdhsa_exception_fp_ieee_underflow 0
		.amdhsa_exception_fp_ieee_inexact 0
		.amdhsa_exception_int_div_zero 0
	.end_amdhsa_kernel
	.section	.text._ZN2at4cuda17kernelHistogram1DIdhlLi1ELi2ELin1ELNS0_23CUDAHistogramMemoryTypeE0EZNS0_21CUDA_tensor_histogramIdhLb1EEEbNS_6TensorES4_S4_lNS_14AccumulateTypeIT0_Lb1EE4typeES8_NS0_13TensorArgTypeES9_S9_EUllE_EEvNS0_6detail10TensorInfoIT_T1_EESF_NSC_IKS6_SE_EElS8_S8_SE_T6_,"axG",@progbits,_ZN2at4cuda17kernelHistogram1DIdhlLi1ELi2ELin1ELNS0_23CUDAHistogramMemoryTypeE0EZNS0_21CUDA_tensor_histogramIdhLb1EEEbNS_6TensorES4_S4_lNS_14AccumulateTypeIT0_Lb1EE4typeES8_NS0_13TensorArgTypeES9_S9_EUllE_EEvNS0_6detail10TensorInfoIT_T1_EESF_NSC_IKS6_SE_EElS8_S8_SE_T6_,comdat
.Lfunc_end8:
	.size	_ZN2at4cuda17kernelHistogram1DIdhlLi1ELi2ELin1ELNS0_23CUDAHistogramMemoryTypeE0EZNS0_21CUDA_tensor_histogramIdhLb1EEEbNS_6TensorES4_S4_lNS_14AccumulateTypeIT0_Lb1EE4typeES8_NS0_13TensorArgTypeES9_S9_EUllE_EEvNS0_6detail10TensorInfoIT_T1_EESF_NSC_IKS6_SE_EElS8_S8_SE_T6_, .Lfunc_end8-_ZN2at4cuda17kernelHistogram1DIdhlLi1ELi2ELin1ELNS0_23CUDAHistogramMemoryTypeE0EZNS0_21CUDA_tensor_histogramIdhLb1EEEbNS_6TensorES4_S4_lNS_14AccumulateTypeIT0_Lb1EE4typeES8_NS0_13TensorArgTypeES9_S9_EUllE_EEvNS0_6detail10TensorInfoIT_T1_EESF_NSC_IKS6_SE_EElS8_S8_SE_T6_
                                        ; -- End function
	.set _ZN2at4cuda17kernelHistogram1DIdhlLi1ELi2ELin1ELNS0_23CUDAHistogramMemoryTypeE0EZNS0_21CUDA_tensor_histogramIdhLb1EEEbNS_6TensorES4_S4_lNS_14AccumulateTypeIT0_Lb1EE4typeES8_NS0_13TensorArgTypeES9_S9_EUllE_EEvNS0_6detail10TensorInfoIT_T1_EESF_NSC_IKS6_SE_EElS8_S8_SE_T6_.num_vgpr, 30
	.set _ZN2at4cuda17kernelHistogram1DIdhlLi1ELi2ELin1ELNS0_23CUDAHistogramMemoryTypeE0EZNS0_21CUDA_tensor_histogramIdhLb1EEEbNS_6TensorES4_S4_lNS_14AccumulateTypeIT0_Lb1EE4typeES8_NS0_13TensorArgTypeES9_S9_EUllE_EEvNS0_6detail10TensorInfoIT_T1_EESF_NSC_IKS6_SE_EElS8_S8_SE_T6_.num_agpr, 0
	.set _ZN2at4cuda17kernelHistogram1DIdhlLi1ELi2ELin1ELNS0_23CUDAHistogramMemoryTypeE0EZNS0_21CUDA_tensor_histogramIdhLb1EEEbNS_6TensorES4_S4_lNS_14AccumulateTypeIT0_Lb1EE4typeES8_NS0_13TensorArgTypeES9_S9_EUllE_EEvNS0_6detail10TensorInfoIT_T1_EESF_NSC_IKS6_SE_EElS8_S8_SE_T6_.numbered_sgpr, 57
	.set _ZN2at4cuda17kernelHistogram1DIdhlLi1ELi2ELin1ELNS0_23CUDAHistogramMemoryTypeE0EZNS0_21CUDA_tensor_histogramIdhLb1EEEbNS_6TensorES4_S4_lNS_14AccumulateTypeIT0_Lb1EE4typeES8_NS0_13TensorArgTypeES9_S9_EUllE_EEvNS0_6detail10TensorInfoIT_T1_EESF_NSC_IKS6_SE_EElS8_S8_SE_T6_.num_named_barrier, 0
	.set _ZN2at4cuda17kernelHistogram1DIdhlLi1ELi2ELin1ELNS0_23CUDAHistogramMemoryTypeE0EZNS0_21CUDA_tensor_histogramIdhLb1EEEbNS_6TensorES4_S4_lNS_14AccumulateTypeIT0_Lb1EE4typeES8_NS0_13TensorArgTypeES9_S9_EUllE_EEvNS0_6detail10TensorInfoIT_T1_EESF_NSC_IKS6_SE_EElS8_S8_SE_T6_.private_seg_size, 0
	.set _ZN2at4cuda17kernelHistogram1DIdhlLi1ELi2ELin1ELNS0_23CUDAHistogramMemoryTypeE0EZNS0_21CUDA_tensor_histogramIdhLb1EEEbNS_6TensorES4_S4_lNS_14AccumulateTypeIT0_Lb1EE4typeES8_NS0_13TensorArgTypeES9_S9_EUllE_EEvNS0_6detail10TensorInfoIT_T1_EESF_NSC_IKS6_SE_EElS8_S8_SE_T6_.uses_vcc, 1
	.set _ZN2at4cuda17kernelHistogram1DIdhlLi1ELi2ELin1ELNS0_23CUDAHistogramMemoryTypeE0EZNS0_21CUDA_tensor_histogramIdhLb1EEEbNS_6TensorES4_S4_lNS_14AccumulateTypeIT0_Lb1EE4typeES8_NS0_13TensorArgTypeES9_S9_EUllE_EEvNS0_6detail10TensorInfoIT_T1_EESF_NSC_IKS6_SE_EElS8_S8_SE_T6_.uses_flat_scratch, 0
	.set _ZN2at4cuda17kernelHistogram1DIdhlLi1ELi2ELin1ELNS0_23CUDAHistogramMemoryTypeE0EZNS0_21CUDA_tensor_histogramIdhLb1EEEbNS_6TensorES4_S4_lNS_14AccumulateTypeIT0_Lb1EE4typeES8_NS0_13TensorArgTypeES9_S9_EUllE_EEvNS0_6detail10TensorInfoIT_T1_EESF_NSC_IKS6_SE_EElS8_S8_SE_T6_.has_dyn_sized_stack, 0
	.set _ZN2at4cuda17kernelHistogram1DIdhlLi1ELi2ELin1ELNS0_23CUDAHistogramMemoryTypeE0EZNS0_21CUDA_tensor_histogramIdhLb1EEEbNS_6TensorES4_S4_lNS_14AccumulateTypeIT0_Lb1EE4typeES8_NS0_13TensorArgTypeES9_S9_EUllE_EEvNS0_6detail10TensorInfoIT_T1_EESF_NSC_IKS6_SE_EElS8_S8_SE_T6_.has_recursion, 0
	.set _ZN2at4cuda17kernelHistogram1DIdhlLi1ELi2ELin1ELNS0_23CUDAHistogramMemoryTypeE0EZNS0_21CUDA_tensor_histogramIdhLb1EEEbNS_6TensorES4_S4_lNS_14AccumulateTypeIT0_Lb1EE4typeES8_NS0_13TensorArgTypeES9_S9_EUllE_EEvNS0_6detail10TensorInfoIT_T1_EESF_NSC_IKS6_SE_EElS8_S8_SE_T6_.has_indirect_call, 0
	.section	.AMDGPU.csdata,"",@progbits
; Kernel info:
; codeLenInByte = 2400
; TotalNumSgprs: 59
; NumVgprs: 30
; ScratchSize: 0
; MemoryBound: 0
; FloatMode: 240
; IeeeMode: 1
; LDSByteSize: 0 bytes/workgroup (compile time only)
; SGPRBlocks: 0
; VGPRBlocks: 1
; NumSGPRsForWavesPerEU: 59
; NumVGPRsForWavesPerEU: 30
; NamedBarCnt: 0
; Occupancy: 16
; WaveLimiterHint : 1
; COMPUTE_PGM_RSRC2:SCRATCH_EN: 0
; COMPUTE_PGM_RSRC2:USER_SGPR: 2
; COMPUTE_PGM_RSRC2:TRAP_HANDLER: 0
; COMPUTE_PGM_RSRC2:TGID_X_EN: 1
; COMPUTE_PGM_RSRC2:TGID_Y_EN: 0
; COMPUTE_PGM_RSRC2:TGID_Z_EN: 0
; COMPUTE_PGM_RSRC2:TIDIG_COMP_CNT: 0
	.section	.text._ZN2at4cuda17kernelHistogram1DIdhlLi1ELi2ELin1ELNS0_23CUDAHistogramMemoryTypeE1EZNS0_21CUDA_tensor_histogramIdhLb1EEEbNS_6TensorES4_S4_lNS_14AccumulateTypeIT0_Lb1EE4typeES8_NS0_13TensorArgTypeES9_S9_EUllE_EEvNS0_6detail10TensorInfoIT_T1_EESF_NSC_IKS6_SE_EElS8_S8_SE_T6_,"axG",@progbits,_ZN2at4cuda17kernelHistogram1DIdhlLi1ELi2ELin1ELNS0_23CUDAHistogramMemoryTypeE1EZNS0_21CUDA_tensor_histogramIdhLb1EEEbNS_6TensorES4_S4_lNS_14AccumulateTypeIT0_Lb1EE4typeES8_NS0_13TensorArgTypeES9_S9_EUllE_EEvNS0_6detail10TensorInfoIT_T1_EESF_NSC_IKS6_SE_EElS8_S8_SE_T6_,comdat
	.protected	_ZN2at4cuda17kernelHistogram1DIdhlLi1ELi2ELin1ELNS0_23CUDAHistogramMemoryTypeE1EZNS0_21CUDA_tensor_histogramIdhLb1EEEbNS_6TensorES4_S4_lNS_14AccumulateTypeIT0_Lb1EE4typeES8_NS0_13TensorArgTypeES9_S9_EUllE_EEvNS0_6detail10TensorInfoIT_T1_EESF_NSC_IKS6_SE_EElS8_S8_SE_T6_ ; -- Begin function _ZN2at4cuda17kernelHistogram1DIdhlLi1ELi2ELin1ELNS0_23CUDAHistogramMemoryTypeE1EZNS0_21CUDA_tensor_histogramIdhLb1EEEbNS_6TensorES4_S4_lNS_14AccumulateTypeIT0_Lb1EE4typeES8_NS0_13TensorArgTypeES9_S9_EUllE_EEvNS0_6detail10TensorInfoIT_T1_EESF_NSC_IKS6_SE_EElS8_S8_SE_T6_
	.globl	_ZN2at4cuda17kernelHistogram1DIdhlLi1ELi2ELin1ELNS0_23CUDAHistogramMemoryTypeE1EZNS0_21CUDA_tensor_histogramIdhLb1EEEbNS_6TensorES4_S4_lNS_14AccumulateTypeIT0_Lb1EE4typeES8_NS0_13TensorArgTypeES9_S9_EUllE_EEvNS0_6detail10TensorInfoIT_T1_EESF_NSC_IKS6_SE_EElS8_S8_SE_T6_
	.p2align	8
	.type	_ZN2at4cuda17kernelHistogram1DIdhlLi1ELi2ELin1ELNS0_23CUDAHistogramMemoryTypeE1EZNS0_21CUDA_tensor_histogramIdhLb1EEEbNS_6TensorES4_S4_lNS_14AccumulateTypeIT0_Lb1EE4typeES8_NS0_13TensorArgTypeES9_S9_EUllE_EEvNS0_6detail10TensorInfoIT_T1_EESF_NSC_IKS6_SE_EElS8_S8_SE_T6_,@function
_ZN2at4cuda17kernelHistogram1DIdhlLi1ELi2ELin1ELNS0_23CUDAHistogramMemoryTypeE1EZNS0_21CUDA_tensor_histogramIdhLb1EEEbNS_6TensorES4_S4_lNS_14AccumulateTypeIT0_Lb1EE4typeES8_NS0_13TensorArgTypeES9_S9_EUllE_EEvNS0_6detail10TensorInfoIT_T1_EESF_NSC_IKS6_SE_EElS8_S8_SE_T6_: ; @_ZN2at4cuda17kernelHistogram1DIdhlLi1ELi2ELin1ELNS0_23CUDAHistogramMemoryTypeE1EZNS0_21CUDA_tensor_histogramIdhLb1EEEbNS_6TensorES4_S4_lNS_14AccumulateTypeIT0_Lb1EE4typeES8_NS0_13TensorArgTypeES9_S9_EUllE_EEvNS0_6detail10TensorInfoIT_T1_EESF_NSC_IKS6_SE_EElS8_S8_SE_T6_
; %bb.0:
	s_load_b32 s2, s[0:1], 0x6ac
	s_bfe_u32 s12, ttmp6, 0x4000c
	s_load_b256 s[4:11], s[0:1], 0x4e0
	s_add_co_i32 s12, s12, 1
	s_and_b32 s3, ttmp6, 15
	s_mul_i32 s12, ttmp9, s12
	s_getreg_b32 s13, hwreg(HW_REG_IB_STS2, 6, 4)
	s_add_co_i32 s3, s3, s12
	v_mov_b32_e32 v2, 0
	s_mov_b32 s12, exec_lo
	s_delay_alu instid0(VALU_DEP_1) | instskip(SKIP_4) | instid1(SALU_CYCLE_1)
	v_mov_b32_e32 v1, v2
	s_wait_kmcnt 0x0
	s_and_b32 s2, s2, 0xffff
	s_cmp_eq_u32 s13, 0
	s_cselect_b32 s3, ttmp9, s3
	v_mad_u32 v0, s3, s2, v0
	s_mov_b32 s3, 0
	s_delay_alu instid0(VALU_DEP_1)
	v_cmpx_gt_i64_e64 s[10:11], v[0:1]
	s_cbranch_execz .LBB9_16
; %bb.1:
	s_clause 0x1
	s_load_b64 s[12:13], s[0:1], 0x5d0
	s_load_b32 s33, s[0:1], 0x4d8
	s_add_nc_u64 s[24:25], s[0:1], 0x6a0
	s_load_b32 s26, s[24:25], 0x0
	s_clause 0x4
	s_load_b64 s[14:15], s[0:1], 0x500
	s_load_b64 s[16:17], s[0:1], 0x0
	s_load_b64 s[18:19], s[0:1], 0xd0
	s_load_b64 s[20:21], s[0:1], 0x410
	s_load_b64 s[22:23], s[0:1], 0x340
	s_add_nc_u64 s[30:31], s[0:1], 0x340
	s_wait_xcnt 0x0
	s_sub_nc_u64 s[24:25], s[8:9], s[6:7]
	s_mov_b32 s27, s3
	s_mov_b64 s[28:29], 0xffffffff
	s_mov_b32 s44, 0
	s_wait_kmcnt 0x0
	s_mul_i32 s26, s26, s2
	s_cmp_gt_i32 s33, 1
	s_cselect_b32 s1, -1, 0
	s_add_co_i32 s2, s33, -1
	s_add_co_i32 s33, s33, 1
	s_lshl_b64 s[34:35], s[2:3], 3
	s_delay_alu instid0(SALU_CYCLE_1)
	s_add_nc_u64 s[34:35], s[30:31], s[34:35]
	s_ashr_i32 s30, s25, 31
	s_add_nc_u64 s[34:35], s[34:35], 8
	s_branch .LBB9_4
.LBB9_2:                                ;   in Loop: Header=BB9_4 Depth=1
	s_or_b32 exec_lo, exec_lo, s0
	v_mul_u64_e32 v[4:5], s[12:13], v[0:1]
	s_delay_alu instid0(VALU_DEP_2) | instskip(NEXT) | instid1(VALU_DEP_1)
	v_dual_ashrrev_i32 v7, 31, v6 :: v_dual_mov_b32 v9, s3
	v_cmp_eq_u64_e32 vcc_lo, s[4:5], v[6:7]
	v_cndmask_b32_e64 v8, 0, 1, vcc_lo
	s_delay_alu instid0(VALU_DEP_1) | instskip(NEXT) | instid1(VALU_DEP_1)
	v_sub_nc_u64_e32 v[6:7], v[6:7], v[8:9]
	v_mul_u64_e32 v[6:7], s[18:19], v[6:7]
	v_lshl_add_u64 v[4:5], v[4:5], 3, s[14:15]
	global_load_b64 v[4:5], v[4:5], off
	v_lshl_add_u64 v[6:7], v[6:7], 3, s[16:17]
	s_wait_xcnt 0x0
	s_wait_loadcnt 0x0
	global_atomic_add_f64 v[6:7], v[4:5], off scope:SCOPE_DEV
.LBB9_3:                                ;   in Loop: Header=BB9_4 Depth=1
	s_wait_xcnt 0x0
	s_or_b32 exec_lo, exec_lo, s38
	v_add_nc_u64_e32 v[0:1], s[26:27], v[0:1]
	s_delay_alu instid0(VALU_DEP_1) | instskip(SKIP_1) | instid1(SALU_CYCLE_1)
	v_cmp_le_i64_e32 vcc_lo, s[10:11], v[0:1]
	s_or_b32 s44, vcc_lo, s44
	s_and_not1_b32 exec_lo, exec_lo, s44
	s_cbranch_execz .LBB9_16
.LBB9_4:                                ; =>This Loop Header: Depth=1
                                        ;     Child Loop BB9_5 Depth 2
	v_mov_b64_e32 v[4:5], 0
	v_mov_b64_e32 v[6:7], v[0:1]
	;; [unrolled: 1-line block ×3, first 2 shown]
	s_and_not1_b32 vcc_lo, exec_lo, s1
	s_mov_b64 s[36:37], s[34:35]
	s_mov_b32 s31, s33
	s_cbranch_vccnz .LBB9_11
.LBB9_5:                                ;   Parent Loop BB9_4 Depth=1
                                        ; =>  This Inner Loop Header: Depth=2
	s_load_b64 s[38:39], s[36:37], 0x0
                                        ; implicit-def: $vgpr8_vgpr9
	s_mov_b32 s0, exec_lo
	s_wait_kmcnt 0x0
	s_delay_alu instid0(VALU_DEP_1) | instskip(NEXT) | instid1(VALU_DEP_1)
	v_or_b32_e32 v3, s39, v7
	v_cmpx_ne_u64_e32 0, v[2:3]
	s_xor_b32 s45, exec_lo, s0
	s_cbranch_execz .LBB9_7
; %bb.6:                                ;   in Loop: Header=BB9_5 Depth=2
	s_ashr_i32 s40, s39, 31
	v_dual_mov_b32 v13, v2 :: v_dual_ashrrev_i32 v8, 31, v7
	s_mov_b32 s41, s40
	s_delay_alu instid0(SALU_CYCLE_1) | instskip(NEXT) | instid1(VALU_DEP_1)
	s_add_nc_u64 s[42:43], s[38:39], s[40:41]
	v_mov_b32_e32 v9, v8
	s_xor_b64 s[42:43], s[42:43], s[40:41]
	s_delay_alu instid0(SALU_CYCLE_1)
	s_cvt_f32_u32 s0, s42
	s_cvt_f32_u32 s2, s43
	s_sub_nc_u64 s[48:49], 0, s[42:43]
	v_add_nc_u64_e32 v[10:11], v[6:7], v[8:9]
	v_mov_b32_e32 v17, v2
	s_fmamk_f32 s0, s2, 0x4f800000, s0
	s_delay_alu instid0(SALU_CYCLE_3) | instskip(NEXT) | instid1(VALU_DEP_2)
	v_s_rcp_f32 s0, s0
	v_xor_b32_e32 v12, v10, v8
	s_delay_alu instid0(VALU_DEP_3) | instskip(SKIP_1) | instid1(TRANS32_DEP_1)
	v_dual_mov_b32 v21, v2 :: v_dual_bitop2_b32 v16, v11, v8 bitop3:0x14
	v_xor_b32_e32 v8, s40, v8
	s_mul_f32 s0, s0, 0x5f7ffffc
	s_delay_alu instid0(SALU_CYCLE_3) | instskip(NEXT) | instid1(SALU_CYCLE_3)
	s_mul_f32 s2, s0, 0x2f800000
	s_trunc_f32 s2, s2
	s_delay_alu instid0(SALU_CYCLE_3) | instskip(SKIP_1) | instid1(SALU_CYCLE_2)
	s_fmamk_f32 s0, s2, 0xcf800000, s0
	s_cvt_u32_f32 s47, s2
	s_cvt_u32_f32 s46, s0
	s_delay_alu instid0(SALU_CYCLE_3) | instskip(NEXT) | instid1(SALU_CYCLE_1)
	s_mul_u64 s[50:51], s[48:49], s[46:47]
	s_mul_hi_u32 s53, s46, s51
	s_mul_i32 s52, s46, s51
	s_mul_hi_u32 s2, s46, s50
	s_mul_i32 s41, s47, s50
	s_add_nc_u64 s[52:53], s[2:3], s[52:53]
	s_mul_hi_u32 s0, s47, s50
	s_mul_hi_u32 s54, s47, s51
	s_add_co_u32 s2, s52, s41
	s_add_co_ci_u32 s2, s53, s0
	s_mul_i32 s50, s47, s51
	s_add_co_ci_u32 s51, s54, 0
	s_delay_alu instid0(SALU_CYCLE_1) | instskip(NEXT) | instid1(SALU_CYCLE_1)
	s_add_nc_u64 s[50:51], s[2:3], s[50:51]
	s_add_co_u32 s46, s46, s50
	s_cselect_b32 s0, -1, 0
	s_delay_alu instid0(SALU_CYCLE_1) | instskip(SKIP_1) | instid1(SALU_CYCLE_1)
	s_cmp_lg_u32 s0, 0
	s_add_co_ci_u32 s47, s47, s51
	s_mul_u64 s[48:49], s[48:49], s[46:47]
	s_delay_alu instid0(SALU_CYCLE_1)
	s_mul_hi_u32 s51, s46, s49
	s_mul_i32 s50, s46, s49
	s_mul_hi_u32 s2, s46, s48
	s_mul_i32 s41, s47, s48
	s_add_nc_u64 s[50:51], s[2:3], s[50:51]
	s_mul_hi_u32 s0, s47, s48
	s_mul_hi_u32 s52, s47, s49
	s_add_co_u32 s2, s50, s41
	s_add_co_ci_u32 s2, s51, s0
	s_mul_i32 s48, s47, s49
	s_add_co_ci_u32 s49, s52, 0
	s_delay_alu instid0(SALU_CYCLE_1) | instskip(NEXT) | instid1(SALU_CYCLE_1)
	s_add_nc_u64 s[48:49], s[2:3], s[48:49]
	s_add_co_u32 s0, s46, s48
	s_cselect_b32 s2, -1, 0
	v_mul_hi_u32 v20, v12, s0
	s_cmp_lg_u32 s2, 0
	s_add_co_ci_u32 s2, s47, s49
	s_and_b64 s[46:47], s[0:1], s[28:29]
	v_mul_u64_e32 v[14:15], s[2:3], v[12:13]
	v_mul_u64_e32 v[10:11], s[46:47], v[16:17]
	;; [unrolled: 1-line block ×3, first 2 shown]
	s_delay_alu instid0(VALU_DEP_3) | instskip(NEXT) | instid1(VALU_DEP_1)
	v_add_nc_u64_e32 v[14:15], v[20:21], v[14:15]
	v_add_co_u32 v3, vcc_lo, v14, v10
	s_delay_alu instid0(VALU_DEP_2) | instskip(NEXT) | instid1(VALU_DEP_4)
	v_add_co_ci_u32_e32 v20, vcc_lo, v15, v11, vcc_lo
	v_add_co_ci_u32_e32 v19, vcc_lo, 0, v19, vcc_lo
	s_delay_alu instid0(VALU_DEP_1) | instskip(NEXT) | instid1(VALU_DEP_1)
	v_add_nc_u64_e32 v[10:11], v[20:21], v[18:19]
	v_mul_u64_e32 v[14:15], s[42:43], v[10:11]
	s_delay_alu instid0(VALU_DEP_1) | instskip(NEXT) | instid1(VALU_DEP_2)
	v_sub_nc_u32_e32 v3, v16, v15
	v_sub_co_u32 v9, vcc_lo, v12, v14
	s_delay_alu instid0(VALU_DEP_1) | instskip(NEXT) | instid1(VALU_DEP_3)
	v_sub_co_ci_u32_e64 v16, null, v16, v15, vcc_lo
	v_subrev_co_ci_u32_e64 v3, null, s43, v3, vcc_lo
	s_delay_alu instid0(VALU_DEP_3) | instskip(SKIP_1) | instid1(VALU_DEP_3)
	v_sub_co_u32 v12, s0, v9, s42
	v_add_nc_u64_e32 v[14:15], 1, v[10:11]
	v_subrev_co_ci_u32_e64 v3, null, 0, v3, s0
	s_delay_alu instid0(VALU_DEP_3) | instskip(SKIP_1) | instid1(VALU_DEP_3)
	v_cmp_le_u32_e32 vcc_lo, s42, v12
	v_cndmask_b32_e64 v12, 0, -1, vcc_lo
	v_cmp_le_u32_e32 vcc_lo, s43, v3
	v_cndmask_b32_e64 v13, 0, -1, vcc_lo
	;; [unrolled: 2-line block ×4, first 2 shown]
	v_cmp_eq_u32_e32 vcc_lo, s43, v3
	v_cndmask_b32_e32 v3, v13, v12, vcc_lo
	v_cmp_eq_u32_e32 vcc_lo, s43, v16
	v_add_nc_u64_e32 v[12:13], 2, v[10:11]
	v_cndmask_b32_e32 v9, v17, v9, vcc_lo
	s_delay_alu instid0(VALU_DEP_4) | instskip(NEXT) | instid1(VALU_DEP_2)
	v_cmp_ne_u32_e32 vcc_lo, 0, v3
	v_cmp_ne_u32_e64 s0, 0, v9
	s_delay_alu instid0(VALU_DEP_4) | instskip(NEXT) | instid1(VALU_DEP_1)
	v_dual_cndmask_b32 v3, v15, v13, vcc_lo :: v_dual_cndmask_b32 v9, v14, v12, vcc_lo
	v_dual_cndmask_b32 v10, v10, v9, s0 :: v_dual_mov_b32 v9, v8
	s_delay_alu instid0(VALU_DEP_1) | instskip(NEXT) | instid1(VALU_DEP_1)
	v_dual_cndmask_b32 v3, v11, v3, s0 :: v_dual_bitop2_b32 v10, v10, v8 bitop3:0x14
	v_xor_b32_e32 v11, v3, v8
	s_delay_alu instid0(VALU_DEP_1)
	v_sub_nc_u64_e32 v[8:9], v[10:11], v[8:9]
.LBB9_7:                                ;   in Loop: Header=BB9_5 Depth=2
	s_and_not1_saveexec_b32 s0, s45
	s_cbranch_execz .LBB9_9
; %bb.8:                                ;   in Loop: Header=BB9_5 Depth=2
	v_cvt_f32_u32_e32 v3, s38
	s_sub_co_i32 s2, 0, s38
	s_delay_alu instid0(VALU_DEP_1) | instskip(SKIP_1) | instid1(TRANS32_DEP_1)
	v_rcp_iflag_f32_e32 v3, v3
	v_nop
	v_mul_f32_e32 v3, 0x4f7ffffe, v3
	s_delay_alu instid0(VALU_DEP_1) | instskip(NEXT) | instid1(VALU_DEP_1)
	v_cvt_u32_f32_e32 v3, v3
	v_mul_lo_u32 v8, s2, v3
	s_delay_alu instid0(VALU_DEP_1) | instskip(NEXT) | instid1(VALU_DEP_1)
	v_mul_hi_u32 v8, v3, v8
	v_add_nc_u32_e32 v3, v3, v8
	s_delay_alu instid0(VALU_DEP_1) | instskip(NEXT) | instid1(VALU_DEP_1)
	v_mul_hi_u32 v3, v6, v3
	v_mul_lo_u32 v8, v3, s38
	s_delay_alu instid0(VALU_DEP_1) | instskip(NEXT) | instid1(VALU_DEP_1)
	v_dual_add_nc_u32 v9, 1, v3 :: v_dual_sub_nc_u32 v8, v6, v8
	v_subrev_nc_u32_e32 v10, s38, v8
	v_cmp_le_u32_e32 vcc_lo, s38, v8
	s_delay_alu instid0(VALU_DEP_2) | instskip(NEXT) | instid1(VALU_DEP_1)
	v_dual_cndmask_b32 v8, v8, v10 :: v_dual_cndmask_b32 v3, v3, v9
	v_cmp_le_u32_e32 vcc_lo, s38, v8
	s_delay_alu instid0(VALU_DEP_2) | instskip(NEXT) | instid1(VALU_DEP_1)
	v_add_nc_u32_e32 v9, 1, v3
	v_dual_cndmask_b32 v8, v3, v9 :: v_dual_mov_b32 v9, v2
.LBB9_9:                                ;   in Loop: Header=BB9_5 Depth=2
	s_or_b32 exec_lo, exec_lo, s0
	s_delay_alu instid0(VALU_DEP_1)
	v_mul_u64_e32 v[10:11], s[38:39], v[8:9]
	s_load_b64 s[38:39], s[36:37], 0xc8
	s_add_co_i32 s31, s31, -1
	s_wait_xcnt 0x0
	s_add_nc_u64 s[36:37], s[36:37], -8
	s_cmp_gt_u32 s31, 2
	s_delay_alu instid0(VALU_DEP_1) | instskip(SKIP_1) | instid1(VALU_DEP_1)
	v_sub_nc_u64_e32 v[6:7], v[6:7], v[10:11]
	s_wait_kmcnt 0x0
	v_mad_nc_u64_u32 v[4:5], s38, v6, v[4:5]
	s_delay_alu instid0(VALU_DEP_1) | instskip(NEXT) | instid1(VALU_DEP_1)
	v_mad_u32 v3, s39, v6, v5
	v_mad_u32 v5, s38, v7, v3
	s_cbranch_scc0 .LBB9_11
; %bb.10:                               ;   in Loop: Header=BB9_5 Depth=2
	v_mov_b64_e32 v[6:7], v[8:9]
	s_branch .LBB9_5
.LBB9_11:                               ;   in Loop: Header=BB9_4 Depth=1
	s_delay_alu instid0(VALU_DEP_1) | instskip(NEXT) | instid1(VALU_DEP_1)
	v_mad_nc_u64_u32 v[6:7], s20, v8, s[22:23]
	v_mad_u32 v3, s21, v8, v7
	s_delay_alu instid0(VALU_DEP_1) | instskip(NEXT) | instid1(VALU_DEP_1)
	v_mad_u32 v7, s20, v9, v3
	v_add_nc_u64_e32 v[4:5], v[6:7], v[4:5]
	global_load_u8 v3, v[4:5], off
	s_wait_xcnt 0x0
	v_mov_b32_e32 v5, s3
	s_wait_loadcnt 0x0
	v_and_b32_e32 v4, 0xffff, v3
	s_delay_alu instid0(VALU_DEP_1) | instskip(SKIP_2) | instid1(SALU_CYCLE_1)
	v_cmp_le_i64_e32 vcc_lo, s[6:7], v[4:5]
	v_cmp_ge_i64_e64 s0, s[8:9], v[4:5]
	s_and_b32 s0, vcc_lo, s0
	s_and_saveexec_b32 s38, s0
	s_cbranch_execz .LBB9_3
; %bb.12:                               ;   in Loop: Header=BB9_4 Depth=1
	v_sub_nc_u64_e64 v[4:5], v[4:5], s[6:7]
                                        ; implicit-def: $vgpr6_vgpr7
	s_mov_b32 s0, exec_lo
	s_delay_alu instid0(VALU_DEP_1) | instskip(NEXT) | instid1(VALU_DEP_1)
	v_mul_u64_e32 v[4:5], s[4:5], v[4:5]
	v_or_b32_e32 v3, s25, v5
	s_delay_alu instid0(VALU_DEP_1)
	v_cmpx_ne_u64_e32 0, v[2:3]
	s_xor_b32 s39, exec_lo, s0
	s_cbranch_execz .LBB9_14
; %bb.13:                               ;   in Loop: Header=BB9_4 Depth=1
	s_mov_b32 s31, s30
	v_dual_mov_b32 v9, v2 :: v_dual_ashrrev_i32 v6, 31, v5
	s_add_nc_u64 s[36:37], s[24:25], s[30:31]
	s_delay_alu instid0(SALU_CYCLE_1) | instskip(NEXT) | instid1(VALU_DEP_1)
	s_xor_b64 s[36:37], s[36:37], s[30:31]
	v_mov_b32_e32 v7, v6
	s_cvt_f32_u32 s0, s36
	s_cvt_f32_u32 s2, s37
	s_sub_nc_u64 s[42:43], 0, s[36:37]
	s_delay_alu instid0(VALU_DEP_1) | instskip(NEXT) | instid1(SALU_CYCLE_1)
	v_add_nc_u64_e32 v[4:5], v[4:5], v[6:7]
	s_fmamk_f32 s0, s2, 0x4f800000, s0
	v_mov_b32_e32 v13, v2
	s_delay_alu instid0(SALU_CYCLE_2) | instskip(NEXT) | instid1(VALU_DEP_2)
	v_s_rcp_f32 s0, s0
	v_xor_b32_e32 v8, v4, v6
	s_delay_alu instid0(VALU_DEP_3) | instskip(NEXT) | instid1(TRANS32_DEP_1)
	v_dual_mov_b32 v17, v2 :: v_dual_bitop2_b32 v12, v5, v6 bitop3:0x14
	s_mul_f32 s0, s0, 0x5f7ffffc
	s_delay_alu instid0(SALU_CYCLE_3) | instskip(NEXT) | instid1(SALU_CYCLE_3)
	s_mul_f32 s2, s0, 0x2f800000
	s_trunc_f32 s2, s2
	s_delay_alu instid0(SALU_CYCLE_3) | instskip(SKIP_1) | instid1(SALU_CYCLE_2)
	s_fmamk_f32 s0, s2, 0xcf800000, s0
	s_cvt_u32_f32 s41, s2
	s_cvt_u32_f32 s40, s0
	s_delay_alu instid0(SALU_CYCLE_3) | instskip(NEXT) | instid1(SALU_CYCLE_1)
	s_mul_u64 s[46:47], s[42:43], s[40:41]
	s_mul_hi_u32 s49, s40, s47
	s_mul_i32 s48, s40, s47
	s_mul_hi_u32 s2, s40, s46
	s_mul_i32 s31, s41, s46
	s_add_nc_u64 s[48:49], s[2:3], s[48:49]
	s_mul_hi_u32 s0, s41, s46
	s_mul_hi_u32 s45, s41, s47
	s_add_co_u32 s2, s48, s31
	s_add_co_ci_u32 s2, s49, s0
	s_mul_i32 s46, s41, s47
	s_add_co_ci_u32 s47, s45, 0
	s_delay_alu instid0(SALU_CYCLE_1) | instskip(NEXT) | instid1(SALU_CYCLE_1)
	s_add_nc_u64 s[46:47], s[2:3], s[46:47]
	s_add_co_u32 s40, s40, s46
	s_cselect_b32 s0, -1, 0
	s_delay_alu instid0(SALU_CYCLE_1) | instskip(SKIP_1) | instid1(SALU_CYCLE_1)
	s_cmp_lg_u32 s0, 0
	s_add_co_ci_u32 s41, s41, s47
	s_mul_u64 s[42:43], s[42:43], s[40:41]
	s_delay_alu instid0(SALU_CYCLE_1)
	s_mul_hi_u32 s47, s40, s43
	s_mul_i32 s46, s40, s43
	s_mul_hi_u32 s2, s40, s42
	s_mul_i32 s31, s41, s42
	s_add_nc_u64 s[46:47], s[2:3], s[46:47]
	s_mul_hi_u32 s0, s41, s42
	s_mul_hi_u32 s45, s41, s43
	s_add_co_u32 s2, s46, s31
	s_add_co_ci_u32 s2, s47, s0
	s_mul_i32 s42, s41, s43
	s_add_co_ci_u32 s43, s45, 0
	s_delay_alu instid0(SALU_CYCLE_1) | instskip(NEXT) | instid1(SALU_CYCLE_1)
	s_add_nc_u64 s[42:43], s[2:3], s[42:43]
	s_add_co_u32 s0, s40, s42
	s_cselect_b32 s2, -1, 0
	v_mul_hi_u32 v16, v8, s0
	s_cmp_lg_u32 s2, 0
	s_add_co_ci_u32 s2, s41, s43
	s_and_b64 s[40:41], s[0:1], s[28:29]
	v_mul_u64_e32 v[10:11], s[2:3], v[8:9]
	v_mul_u64_e32 v[4:5], s[40:41], v[12:13]
	;; [unrolled: 1-line block ×3, first 2 shown]
	s_delay_alu instid0(VALU_DEP_3) | instskip(NEXT) | instid1(VALU_DEP_1)
	v_add_nc_u64_e32 v[10:11], v[16:17], v[10:11]
	v_add_co_u32 v3, vcc_lo, v10, v4
	s_delay_alu instid0(VALU_DEP_2) | instskip(NEXT) | instid1(VALU_DEP_4)
	v_add_co_ci_u32_e32 v16, vcc_lo, v11, v5, vcc_lo
	v_add_co_ci_u32_e32 v15, vcc_lo, 0, v15, vcc_lo
	s_delay_alu instid0(VALU_DEP_1) | instskip(NEXT) | instid1(VALU_DEP_1)
	v_add_nc_u64_e32 v[4:5], v[16:17], v[14:15]
	v_mul_u64_e32 v[10:11], s[36:37], v[4:5]
	s_delay_alu instid0(VALU_DEP_1) | instskip(NEXT) | instid1(VALU_DEP_2)
	v_sub_nc_u32_e32 v3, v12, v11
	v_sub_co_u32 v7, vcc_lo, v8, v10
	s_delay_alu instid0(VALU_DEP_1) | instskip(NEXT) | instid1(VALU_DEP_3)
	v_sub_co_ci_u32_e64 v12, null, v12, v11, vcc_lo
	v_subrev_co_ci_u32_e64 v3, null, s37, v3, vcc_lo
	s_delay_alu instid0(VALU_DEP_3) | instskip(SKIP_1) | instid1(VALU_DEP_3)
	v_sub_co_u32 v8, s0, v7, s36
	v_add_nc_u64_e32 v[10:11], 1, v[4:5]
	v_subrev_co_ci_u32_e64 v3, null, 0, v3, s0
	s_delay_alu instid0(VALU_DEP_3) | instskip(SKIP_1) | instid1(VALU_DEP_3)
	v_cmp_le_u32_e32 vcc_lo, s36, v8
	v_cndmask_b32_e64 v8, 0, -1, vcc_lo
	v_cmp_le_u32_e32 vcc_lo, s37, v3
	v_cndmask_b32_e64 v9, 0, -1, vcc_lo
	v_cmp_le_u32_e32 vcc_lo, s36, v7
	v_cndmask_b32_e64 v7, 0, -1, vcc_lo
	v_cmp_le_u32_e32 vcc_lo, s37, v12
	v_cndmask_b32_e64 v13, 0, -1, vcc_lo
	v_cmp_eq_u32_e32 vcc_lo, s37, v3
	v_cndmask_b32_e32 v3, v9, v8, vcc_lo
	v_cmp_eq_u32_e32 vcc_lo, s37, v12
	v_add_nc_u64_e32 v[8:9], 2, v[4:5]
	v_cndmask_b32_e32 v7, v13, v7, vcc_lo
	s_delay_alu instid0(VALU_DEP_4) | instskip(NEXT) | instid1(VALU_DEP_3)
	v_cmp_ne_u32_e32 vcc_lo, 0, v3
	v_cndmask_b32_e32 v3, v11, v9, vcc_lo
	s_delay_alu instid0(VALU_DEP_3) | instskip(SKIP_1) | instid1(VALU_DEP_2)
	v_cmp_ne_u32_e64 s0, 0, v7
	v_dual_cndmask_b32 v7, v10, v8, vcc_lo :: v_dual_bitop2_b32 v6, s30, v6 bitop3:0x14
	v_cndmask_b32_e64 v3, v5, v3, s0
	s_delay_alu instid0(VALU_DEP_2) | instskip(NEXT) | instid1(VALU_DEP_2)
	v_dual_cndmask_b32 v4, v4, v7, s0 :: v_dual_mov_b32 v7, v6
	v_xor_b32_e32 v5, v3, v6
	s_delay_alu instid0(VALU_DEP_2) | instskip(NEXT) | instid1(VALU_DEP_1)
	v_xor_b32_e32 v4, v4, v6
	v_sub_nc_u64_e32 v[6:7], v[4:5], v[6:7]
                                        ; implicit-def: $vgpr4_vgpr5
.LBB9_14:                               ;   in Loop: Header=BB9_4 Depth=1
	s_and_not1_saveexec_b32 s0, s39
	s_cbranch_execz .LBB9_2
; %bb.15:                               ;   in Loop: Header=BB9_4 Depth=1
	v_cvt_f32_u32_e32 v3, s24
	s_sub_co_i32 s2, 0, s24
	s_delay_alu instid0(VALU_DEP_1) | instskip(SKIP_1) | instid1(TRANS32_DEP_1)
	v_rcp_iflag_f32_e32 v3, v3
	v_nop
	v_mul_f32_e32 v3, 0x4f7ffffe, v3
	s_delay_alu instid0(VALU_DEP_1) | instskip(NEXT) | instid1(VALU_DEP_1)
	v_cvt_u32_f32_e32 v3, v3
	v_mul_lo_u32 v5, s2, v3
	s_delay_alu instid0(VALU_DEP_1) | instskip(NEXT) | instid1(VALU_DEP_1)
	v_mul_hi_u32 v5, v3, v5
	v_add_nc_u32_e32 v3, v3, v5
	s_delay_alu instid0(VALU_DEP_1) | instskip(NEXT) | instid1(VALU_DEP_1)
	v_mul_hi_u32 v3, v4, v3
	v_mul_lo_u32 v5, v3, s24
	s_delay_alu instid0(VALU_DEP_1) | instskip(NEXT) | instid1(VALU_DEP_1)
	v_dual_sub_nc_u32 v4, v4, v5 :: v_dual_add_nc_u32 v5, 1, v3
	v_subrev_nc_u32_e32 v6, s24, v4
	v_cmp_le_u32_e32 vcc_lo, s24, v4
	s_delay_alu instid0(VALU_DEP_2) | instskip(NEXT) | instid1(VALU_DEP_1)
	v_dual_cndmask_b32 v4, v4, v6 :: v_dual_cndmask_b32 v3, v3, v5
	v_cmp_le_u32_e32 vcc_lo, s24, v4
	s_delay_alu instid0(VALU_DEP_2) | instskip(NEXT) | instid1(VALU_DEP_1)
	v_add_nc_u32_e32 v5, 1, v3
	v_cndmask_b32_e32 v6, v3, v5, vcc_lo
	s_branch .LBB9_2
.LBB9_16:
	s_endpgm
	.section	.rodata,"a",@progbits
	.p2align	6, 0x0
	.amdhsa_kernel _ZN2at4cuda17kernelHistogram1DIdhlLi1ELi2ELin1ELNS0_23CUDAHistogramMemoryTypeE1EZNS0_21CUDA_tensor_histogramIdhLb1EEEbNS_6TensorES4_S4_lNS_14AccumulateTypeIT0_Lb1EE4typeES8_NS0_13TensorArgTypeES9_S9_EUllE_EEvNS0_6detail10TensorInfoIT_T1_EESF_NSC_IKS6_SE_EElS8_S8_SE_T6_
		.amdhsa_group_segment_fixed_size 0
		.amdhsa_private_segment_fixed_size 0
		.amdhsa_kernarg_size 1952
		.amdhsa_user_sgpr_count 2
		.amdhsa_user_sgpr_dispatch_ptr 0
		.amdhsa_user_sgpr_queue_ptr 0
		.amdhsa_user_sgpr_kernarg_segment_ptr 1
		.amdhsa_user_sgpr_dispatch_id 0
		.amdhsa_user_sgpr_kernarg_preload_length 0
		.amdhsa_user_sgpr_kernarg_preload_offset 0
		.amdhsa_user_sgpr_private_segment_size 0
		.amdhsa_wavefront_size32 1
		.amdhsa_uses_dynamic_stack 0
		.amdhsa_enable_private_segment 0
		.amdhsa_system_sgpr_workgroup_id_x 1
		.amdhsa_system_sgpr_workgroup_id_y 0
		.amdhsa_system_sgpr_workgroup_id_z 0
		.amdhsa_system_sgpr_workgroup_info 0
		.amdhsa_system_vgpr_workitem_id 0
		.amdhsa_next_free_vgpr 22
		.amdhsa_next_free_sgpr 55
		.amdhsa_named_barrier_count 0
		.amdhsa_reserve_vcc 1
		.amdhsa_float_round_mode_32 0
		.amdhsa_float_round_mode_16_64 0
		.amdhsa_float_denorm_mode_32 3
		.amdhsa_float_denorm_mode_16_64 3
		.amdhsa_fp16_overflow 0
		.amdhsa_memory_ordered 1
		.amdhsa_forward_progress 1
		.amdhsa_inst_pref_size 17
		.amdhsa_round_robin_scheduling 0
		.amdhsa_exception_fp_ieee_invalid_op 0
		.amdhsa_exception_fp_denorm_src 0
		.amdhsa_exception_fp_ieee_div_zero 0
		.amdhsa_exception_fp_ieee_overflow 0
		.amdhsa_exception_fp_ieee_underflow 0
		.amdhsa_exception_fp_ieee_inexact 0
		.amdhsa_exception_int_div_zero 0
	.end_amdhsa_kernel
	.section	.text._ZN2at4cuda17kernelHistogram1DIdhlLi1ELi2ELin1ELNS0_23CUDAHistogramMemoryTypeE1EZNS0_21CUDA_tensor_histogramIdhLb1EEEbNS_6TensorES4_S4_lNS_14AccumulateTypeIT0_Lb1EE4typeES8_NS0_13TensorArgTypeES9_S9_EUllE_EEvNS0_6detail10TensorInfoIT_T1_EESF_NSC_IKS6_SE_EElS8_S8_SE_T6_,"axG",@progbits,_ZN2at4cuda17kernelHistogram1DIdhlLi1ELi2ELin1ELNS0_23CUDAHistogramMemoryTypeE1EZNS0_21CUDA_tensor_histogramIdhLb1EEEbNS_6TensorES4_S4_lNS_14AccumulateTypeIT0_Lb1EE4typeES8_NS0_13TensorArgTypeES9_S9_EUllE_EEvNS0_6detail10TensorInfoIT_T1_EESF_NSC_IKS6_SE_EElS8_S8_SE_T6_,comdat
.Lfunc_end9:
	.size	_ZN2at4cuda17kernelHistogram1DIdhlLi1ELi2ELin1ELNS0_23CUDAHistogramMemoryTypeE1EZNS0_21CUDA_tensor_histogramIdhLb1EEEbNS_6TensorES4_S4_lNS_14AccumulateTypeIT0_Lb1EE4typeES8_NS0_13TensorArgTypeES9_S9_EUllE_EEvNS0_6detail10TensorInfoIT_T1_EESF_NSC_IKS6_SE_EElS8_S8_SE_T6_, .Lfunc_end9-_ZN2at4cuda17kernelHistogram1DIdhlLi1ELi2ELin1ELNS0_23CUDAHistogramMemoryTypeE1EZNS0_21CUDA_tensor_histogramIdhLb1EEEbNS_6TensorES4_S4_lNS_14AccumulateTypeIT0_Lb1EE4typeES8_NS0_13TensorArgTypeES9_S9_EUllE_EEvNS0_6detail10TensorInfoIT_T1_EESF_NSC_IKS6_SE_EElS8_S8_SE_T6_
                                        ; -- End function
	.set _ZN2at4cuda17kernelHistogram1DIdhlLi1ELi2ELin1ELNS0_23CUDAHistogramMemoryTypeE1EZNS0_21CUDA_tensor_histogramIdhLb1EEEbNS_6TensorES4_S4_lNS_14AccumulateTypeIT0_Lb1EE4typeES8_NS0_13TensorArgTypeES9_S9_EUllE_EEvNS0_6detail10TensorInfoIT_T1_EESF_NSC_IKS6_SE_EElS8_S8_SE_T6_.num_vgpr, 22
	.set _ZN2at4cuda17kernelHistogram1DIdhlLi1ELi2ELin1ELNS0_23CUDAHistogramMemoryTypeE1EZNS0_21CUDA_tensor_histogramIdhLb1EEEbNS_6TensorES4_S4_lNS_14AccumulateTypeIT0_Lb1EE4typeES8_NS0_13TensorArgTypeES9_S9_EUllE_EEvNS0_6detail10TensorInfoIT_T1_EESF_NSC_IKS6_SE_EElS8_S8_SE_T6_.num_agpr, 0
	.set _ZN2at4cuda17kernelHistogram1DIdhlLi1ELi2ELin1ELNS0_23CUDAHistogramMemoryTypeE1EZNS0_21CUDA_tensor_histogramIdhLb1EEEbNS_6TensorES4_S4_lNS_14AccumulateTypeIT0_Lb1EE4typeES8_NS0_13TensorArgTypeES9_S9_EUllE_EEvNS0_6detail10TensorInfoIT_T1_EESF_NSC_IKS6_SE_EElS8_S8_SE_T6_.numbered_sgpr, 55
	.set _ZN2at4cuda17kernelHistogram1DIdhlLi1ELi2ELin1ELNS0_23CUDAHistogramMemoryTypeE1EZNS0_21CUDA_tensor_histogramIdhLb1EEEbNS_6TensorES4_S4_lNS_14AccumulateTypeIT0_Lb1EE4typeES8_NS0_13TensorArgTypeES9_S9_EUllE_EEvNS0_6detail10TensorInfoIT_T1_EESF_NSC_IKS6_SE_EElS8_S8_SE_T6_.num_named_barrier, 0
	.set _ZN2at4cuda17kernelHistogram1DIdhlLi1ELi2ELin1ELNS0_23CUDAHistogramMemoryTypeE1EZNS0_21CUDA_tensor_histogramIdhLb1EEEbNS_6TensorES4_S4_lNS_14AccumulateTypeIT0_Lb1EE4typeES8_NS0_13TensorArgTypeES9_S9_EUllE_EEvNS0_6detail10TensorInfoIT_T1_EESF_NSC_IKS6_SE_EElS8_S8_SE_T6_.private_seg_size, 0
	.set _ZN2at4cuda17kernelHistogram1DIdhlLi1ELi2ELin1ELNS0_23CUDAHistogramMemoryTypeE1EZNS0_21CUDA_tensor_histogramIdhLb1EEEbNS_6TensorES4_S4_lNS_14AccumulateTypeIT0_Lb1EE4typeES8_NS0_13TensorArgTypeES9_S9_EUllE_EEvNS0_6detail10TensorInfoIT_T1_EESF_NSC_IKS6_SE_EElS8_S8_SE_T6_.uses_vcc, 1
	.set _ZN2at4cuda17kernelHistogram1DIdhlLi1ELi2ELin1ELNS0_23CUDAHistogramMemoryTypeE1EZNS0_21CUDA_tensor_histogramIdhLb1EEEbNS_6TensorES4_S4_lNS_14AccumulateTypeIT0_Lb1EE4typeES8_NS0_13TensorArgTypeES9_S9_EUllE_EEvNS0_6detail10TensorInfoIT_T1_EESF_NSC_IKS6_SE_EElS8_S8_SE_T6_.uses_flat_scratch, 0
	.set _ZN2at4cuda17kernelHistogram1DIdhlLi1ELi2ELin1ELNS0_23CUDAHistogramMemoryTypeE1EZNS0_21CUDA_tensor_histogramIdhLb1EEEbNS_6TensorES4_S4_lNS_14AccumulateTypeIT0_Lb1EE4typeES8_NS0_13TensorArgTypeES9_S9_EUllE_EEvNS0_6detail10TensorInfoIT_T1_EESF_NSC_IKS6_SE_EElS8_S8_SE_T6_.has_dyn_sized_stack, 0
	.set _ZN2at4cuda17kernelHistogram1DIdhlLi1ELi2ELin1ELNS0_23CUDAHistogramMemoryTypeE1EZNS0_21CUDA_tensor_histogramIdhLb1EEEbNS_6TensorES4_S4_lNS_14AccumulateTypeIT0_Lb1EE4typeES8_NS0_13TensorArgTypeES9_S9_EUllE_EEvNS0_6detail10TensorInfoIT_T1_EESF_NSC_IKS6_SE_EElS8_S8_SE_T6_.has_recursion, 0
	.set _ZN2at4cuda17kernelHistogram1DIdhlLi1ELi2ELin1ELNS0_23CUDAHistogramMemoryTypeE1EZNS0_21CUDA_tensor_histogramIdhLb1EEEbNS_6TensorES4_S4_lNS_14AccumulateTypeIT0_Lb1EE4typeES8_NS0_13TensorArgTypeES9_S9_EUllE_EEvNS0_6detail10TensorInfoIT_T1_EESF_NSC_IKS6_SE_EElS8_S8_SE_T6_.has_indirect_call, 0
	.section	.AMDGPU.csdata,"",@progbits
; Kernel info:
; codeLenInByte = 2108
; TotalNumSgprs: 57
; NumVgprs: 22
; ScratchSize: 0
; MemoryBound: 0
; FloatMode: 240
; IeeeMode: 1
; LDSByteSize: 0 bytes/workgroup (compile time only)
; SGPRBlocks: 0
; VGPRBlocks: 1
; NumSGPRsForWavesPerEU: 57
; NumVGPRsForWavesPerEU: 22
; NamedBarCnt: 0
; Occupancy: 16
; WaveLimiterHint : 1
; COMPUTE_PGM_RSRC2:SCRATCH_EN: 0
; COMPUTE_PGM_RSRC2:USER_SGPR: 2
; COMPUTE_PGM_RSRC2:TRAP_HANDLER: 0
; COMPUTE_PGM_RSRC2:TGID_X_EN: 1
; COMPUTE_PGM_RSRC2:TGID_Y_EN: 0
; COMPUTE_PGM_RSRC2:TGID_Z_EN: 0
; COMPUTE_PGM_RSRC2:TIDIG_COMP_CNT: 0
	.section	.text._ZN2at4cuda17kernelHistogram1DIdhlLi1ELi2ELin1ELNS0_23CUDAHistogramMemoryTypeE0EZNS0_21CUDA_tensor_histogramIdhLb1EEEbNS_6TensorES4_S4_lNS_14AccumulateTypeIT0_Lb1EE4typeES8_NS0_13TensorArgTypeES9_S9_EUllE0_EEvNS0_6detail10TensorInfoIT_T1_EESF_NSC_IKS6_SE_EElS8_S8_SE_T6_,"axG",@progbits,_ZN2at4cuda17kernelHistogram1DIdhlLi1ELi2ELin1ELNS0_23CUDAHistogramMemoryTypeE0EZNS0_21CUDA_tensor_histogramIdhLb1EEEbNS_6TensorES4_S4_lNS_14AccumulateTypeIT0_Lb1EE4typeES8_NS0_13TensorArgTypeES9_S9_EUllE0_EEvNS0_6detail10TensorInfoIT_T1_EESF_NSC_IKS6_SE_EElS8_S8_SE_T6_,comdat
	.protected	_ZN2at4cuda17kernelHistogram1DIdhlLi1ELi2ELin1ELNS0_23CUDAHistogramMemoryTypeE0EZNS0_21CUDA_tensor_histogramIdhLb1EEEbNS_6TensorES4_S4_lNS_14AccumulateTypeIT0_Lb1EE4typeES8_NS0_13TensorArgTypeES9_S9_EUllE0_EEvNS0_6detail10TensorInfoIT_T1_EESF_NSC_IKS6_SE_EElS8_S8_SE_T6_ ; -- Begin function _ZN2at4cuda17kernelHistogram1DIdhlLi1ELi2ELin1ELNS0_23CUDAHistogramMemoryTypeE0EZNS0_21CUDA_tensor_histogramIdhLb1EEEbNS_6TensorES4_S4_lNS_14AccumulateTypeIT0_Lb1EE4typeES8_NS0_13TensorArgTypeES9_S9_EUllE0_EEvNS0_6detail10TensorInfoIT_T1_EESF_NSC_IKS6_SE_EElS8_S8_SE_T6_
	.globl	_ZN2at4cuda17kernelHistogram1DIdhlLi1ELi2ELin1ELNS0_23CUDAHistogramMemoryTypeE0EZNS0_21CUDA_tensor_histogramIdhLb1EEEbNS_6TensorES4_S4_lNS_14AccumulateTypeIT0_Lb1EE4typeES8_NS0_13TensorArgTypeES9_S9_EUllE0_EEvNS0_6detail10TensorInfoIT_T1_EESF_NSC_IKS6_SE_EElS8_S8_SE_T6_
	.p2align	8
	.type	_ZN2at4cuda17kernelHistogram1DIdhlLi1ELi2ELin1ELNS0_23CUDAHistogramMemoryTypeE0EZNS0_21CUDA_tensor_histogramIdhLb1EEEbNS_6TensorES4_S4_lNS_14AccumulateTypeIT0_Lb1EE4typeES8_NS0_13TensorArgTypeES9_S9_EUllE0_EEvNS0_6detail10TensorInfoIT_T1_EESF_NSC_IKS6_SE_EElS8_S8_SE_T6_,@function
_ZN2at4cuda17kernelHistogram1DIdhlLi1ELi2ELin1ELNS0_23CUDAHistogramMemoryTypeE0EZNS0_21CUDA_tensor_histogramIdhLb1EEEbNS_6TensorES4_S4_lNS_14AccumulateTypeIT0_Lb1EE4typeES8_NS0_13TensorArgTypeES9_S9_EUllE0_EEvNS0_6detail10TensorInfoIT_T1_EESF_NSC_IKS6_SE_EElS8_S8_SE_T6_: ; @_ZN2at4cuda17kernelHistogram1DIdhlLi1ELi2ELin1ELNS0_23CUDAHistogramMemoryTypeE0EZNS0_21CUDA_tensor_histogramIdhLb1EEEbNS_6TensorES4_S4_lNS_14AccumulateTypeIT0_Lb1EE4typeES8_NS0_13TensorArgTypeES9_S9_EUllE0_EEvNS0_6detail10TensorInfoIT_T1_EESF_NSC_IKS6_SE_EElS8_S8_SE_T6_
; %bb.0:
	s_load_b128 s[12:15], s[0:1], 0x0
	v_mov_b32_e32 v1, 0
	s_add_nc_u64 s[24:25], s[0:1], 0x508
	s_mov_b32 s3, exec_lo
                                        ; implicit-def: $sgpr4
                                        ; implicit-def: $sgpr5
	s_wait_kmcnt 0x0
	s_delay_alu instid0(VALU_DEP_1)
	v_cmp_gt_i64_e64 s2, s[14:15], v[0:1]
	v_cmpx_le_i64_e64 s[14:15], v[0:1]
	s_xor_b32 s3, exec_lo, s3
	s_cbranch_execz .LBB10_2
; %bb.1:
	s_load_b32 s4, s[24:25], 0xc
	s_wait_kmcnt 0x0
	s_and_b32 s5, s4, 0xffff
.LBB10_2:
	s_or_saveexec_b32 s3, s3
	v_dual_mov_b32 v18, s4 :: v_dual_mov_b32 v17, s5
	v_lshl_add_u32 v16, v0, 3, 0
	s_xor_b32 exec_lo, exec_lo, s3
	s_cbranch_execz .LBB10_6
; %bb.3:
	s_load_b32 s6, s[24:25], 0xc
	v_mov_b64_e32 v[2:3], 0
	v_mov_b64_e32 v[4:5], v[0:1]
	v_lshl_add_u32 v6, v0, 3, 0
	s_mov_b32 s5, 0
	s_delay_alu instid0(SALU_CYCLE_1) | instskip(SKIP_2) | instid1(SALU_CYCLE_1)
	s_mov_b32 s7, s5
	s_wait_kmcnt 0x0
	s_and_b32 s4, s6, 0xffff
	s_lshl_b32 s8, s4, 3
.LBB10_4:                               ; =>This Inner Loop Header: Depth=1
	v_add_nc_u64_e32 v[4:5], s[4:5], v[4:5]
	ds_store_b64 v6, v[2:3]
	v_add_nc_u32_e32 v6, s8, v6
	v_cmp_le_i64_e32 vcc_lo, s[14:15], v[4:5]
	s_or_b32 s7, vcc_lo, s7
	s_delay_alu instid0(SALU_CYCLE_1)
	s_and_not1_b32 exec_lo, exec_lo, s7
	s_cbranch_execnz .LBB10_4
; %bb.5:
	s_or_b32 exec_lo, exec_lo, s7
	v_dual_mov_b32 v18, s6 :: v_dual_mov_b32 v17, s4
.LBB10_6:
	s_or_b32 exec_lo, exec_lo, s3
	s_bfe_u32 s3, ttmp6, 0x4000c
	s_clause 0x1
	s_load_b64 s[16:17], s[0:1], 0xd0
	s_load_b256 s[4:11], s[0:1], 0x4e0
	s_add_co_i32 s3, s3, 1
	s_and_b32 s18, ttmp6, 15
	s_mul_i32 s3, ttmp9, s3
	s_getreg_b32 s19, hwreg(HW_REG_IB_STS2, 6, 4)
	s_add_co_i32 s18, s18, s3
	s_cmp_eq_u32 s19, 0
	v_mov_b32_e32 v4, 0
	s_cselect_b32 s3, ttmp9, s18
	s_mov_b32 s19, 0
	v_mad_u32 v2, s3, v17, v0
	s_mov_b32 s3, exec_lo
	v_mov_b32_e32 v3, v4
	s_wait_dscnt 0x0
	s_barrier_signal -1
	s_barrier_wait -1
	s_wait_kmcnt 0x0
	s_delay_alu instid0(VALU_DEP_2)
	v_cmpx_gt_i64_e64 s[10:11], v[2:3]
	s_cbranch_execz .LBB10_22
; %bb.7:
	s_load_b32 s33, s[0:1], 0x4d8
	s_load_b32 s18, s[24:25], 0x0
	s_clause 0x1
	s_load_b64 s[20:21], s[0:1], 0x410
	s_load_b64 s[22:23], s[0:1], 0x340
	s_add_nc_u64 s[28:29], s[0:1], 0x340
	v_mov_b64_e32 v[8:9], 1.0
	v_mov_b32_e32 v7, v4
	s_wait_xcnt 0x0
	s_sub_nc_u64 s[24:25], s[8:9], s[6:7]
	s_mov_b64 s[26:27], 0xffffffff
	s_mov_b32 s42, 0
	s_wait_kmcnt 0x0
	s_cmp_gt_i32 s33, 1
	v_mul_lo_u32 v6, s18, v17
	s_cselect_b32 s1, -1, 0
	s_add_co_i32 s18, s33, -1
	s_add_co_i32 s33, s33, 1
	s_lshl_b64 s[30:31], s[18:19], 3
	s_delay_alu instid0(SALU_CYCLE_1)
	s_add_nc_u64 s[28:29], s[28:29], s[30:31]
	s_ashr_i32 s30, s25, 31
	s_add_nc_u64 s[28:29], s[28:29], 8
	s_branch .LBB10_10
.LBB10_8:                               ;   in Loop: Header=BB10_10 Depth=1
	s_or_b32 exec_lo, exec_lo, s0
	s_delay_alu instid0(VALU_DEP_1) | instskip(NEXT) | instid1(VALU_DEP_1)
	v_ashrrev_i32_e32 v13, 31, v12
	v_cmp_eq_u64_e32 vcc_lo, s[4:5], v[12:13]
	v_subrev_co_ci_u32_e64 v5, null, 0, v12, vcc_lo
	s_delay_alu instid0(VALU_DEP_1)
	v_lshl_add_u32 v5, v5, 3, 0
	ds_add_f64 v5, v[8:9]
.LBB10_9:                               ;   in Loop: Header=BB10_10 Depth=1
	s_or_b32 exec_lo, exec_lo, s36
	v_add_nc_u64_e32 v[2:3], v[2:3], v[6:7]
	s_delay_alu instid0(VALU_DEP_1) | instskip(SKIP_1) | instid1(SALU_CYCLE_1)
	v_cmp_le_i64_e32 vcc_lo, s[10:11], v[2:3]
	s_or_b32 s42, vcc_lo, s42
	s_and_not1_b32 exec_lo, exec_lo, s42
	s_cbranch_execz .LBB10_22
.LBB10_10:                              ; =>This Loop Header: Depth=1
                                        ;     Child Loop BB10_11 Depth 2
	v_mov_b64_e32 v[10:11], 0
	v_mov_b64_e32 v[12:13], v[2:3]
	;; [unrolled: 1-line block ×3, first 2 shown]
	s_and_not1_b32 vcc_lo, exec_lo, s1
	s_mov_b64 s[34:35], s[28:29]
	s_mov_b32 s31, s33
	s_cbranch_vccnz .LBB10_17
.LBB10_11:                              ;   Parent Loop BB10_10 Depth=1
                                        ; =>  This Inner Loop Header: Depth=2
	s_load_b64 s[36:37], s[34:35], 0x0
                                        ; implicit-def: $vgpr14_vgpr15
	s_mov_b32 s0, exec_lo
	s_wait_kmcnt 0x0
	s_delay_alu instid0(VALU_DEP_1) | instskip(NEXT) | instid1(VALU_DEP_1)
	v_or_b32_e32 v5, s37, v13
	v_cmpx_ne_u64_e32 0, v[4:5]
	s_xor_b32 s43, exec_lo, s0
	s_cbranch_execz .LBB10_13
; %bb.12:                               ;   in Loop: Header=BB10_11 Depth=2
	s_ashr_i32 s38, s37, 31
	v_dual_mov_b32 v23, v4 :: v_dual_ashrrev_i32 v14, 31, v13
	s_mov_b32 s39, s38
	s_delay_alu instid0(SALU_CYCLE_1) | instskip(NEXT) | instid1(VALU_DEP_1)
	s_add_nc_u64 s[40:41], s[36:37], s[38:39]
	v_mov_b32_e32 v15, v14
	s_xor_b64 s[40:41], s[40:41], s[38:39]
	s_delay_alu instid0(SALU_CYCLE_1)
	s_cvt_f32_u32 s0, s40
	s_cvt_f32_u32 s18, s41
	s_sub_nc_u64 s[46:47], 0, s[40:41]
	v_add_nc_u64_e32 v[20:21], v[12:13], v[14:15]
	v_mov_b32_e32 v27, v4
	s_fmamk_f32 s0, s18, 0x4f800000, s0
	s_delay_alu instid0(SALU_CYCLE_3) | instskip(NEXT) | instid1(VALU_DEP_2)
	v_s_rcp_f32 s0, s0
	v_xor_b32_e32 v22, v20, v14
	s_delay_alu instid0(VALU_DEP_3) | instskip(SKIP_1) | instid1(TRANS32_DEP_1)
	v_dual_mov_b32 v31, v4 :: v_dual_bitop2_b32 v26, v21, v14 bitop3:0x14
	v_xor_b32_e32 v14, s38, v14
	s_mul_f32 s0, s0, 0x5f7ffffc
	s_delay_alu instid0(SALU_CYCLE_3) | instskip(NEXT) | instid1(SALU_CYCLE_3)
	s_mul_f32 s18, s0, 0x2f800000
	s_trunc_f32 s18, s18
	s_delay_alu instid0(SALU_CYCLE_3) | instskip(SKIP_1) | instid1(SALU_CYCLE_2)
	s_fmamk_f32 s0, s18, 0xcf800000, s0
	s_cvt_u32_f32 s45, s18
	s_cvt_u32_f32 s44, s0
	s_delay_alu instid0(SALU_CYCLE_3) | instskip(NEXT) | instid1(SALU_CYCLE_1)
	s_mul_u64 s[48:49], s[46:47], s[44:45]
	s_mul_hi_u32 s51, s44, s49
	s_mul_i32 s50, s44, s49
	s_mul_hi_u32 s18, s44, s48
	s_mul_i32 s39, s45, s48
	s_add_nc_u64 s[50:51], s[18:19], s[50:51]
	s_mul_hi_u32 s0, s45, s48
	s_mul_hi_u32 s52, s45, s49
	s_add_co_u32 s18, s50, s39
	s_add_co_ci_u32 s18, s51, s0
	s_mul_i32 s48, s45, s49
	s_add_co_ci_u32 s49, s52, 0
	s_delay_alu instid0(SALU_CYCLE_1) | instskip(NEXT) | instid1(SALU_CYCLE_1)
	s_add_nc_u64 s[48:49], s[18:19], s[48:49]
	s_add_co_u32 s44, s44, s48
	s_cselect_b32 s0, -1, 0
	s_delay_alu instid0(SALU_CYCLE_1) | instskip(SKIP_1) | instid1(SALU_CYCLE_1)
	s_cmp_lg_u32 s0, 0
	s_add_co_ci_u32 s45, s45, s49
	s_mul_u64 s[46:47], s[46:47], s[44:45]
	s_delay_alu instid0(SALU_CYCLE_1)
	s_mul_hi_u32 s49, s44, s47
	s_mul_i32 s48, s44, s47
	s_mul_hi_u32 s18, s44, s46
	s_mul_i32 s39, s45, s46
	s_add_nc_u64 s[48:49], s[18:19], s[48:49]
	s_mul_hi_u32 s0, s45, s46
	s_mul_hi_u32 s50, s45, s47
	s_add_co_u32 s18, s48, s39
	s_add_co_ci_u32 s18, s49, s0
	s_mul_i32 s46, s45, s47
	s_add_co_ci_u32 s47, s50, 0
	s_delay_alu instid0(SALU_CYCLE_1) | instskip(NEXT) | instid1(SALU_CYCLE_1)
	s_add_nc_u64 s[46:47], s[18:19], s[46:47]
	s_add_co_u32 s0, s44, s46
	s_cselect_b32 s18, -1, 0
	v_mul_hi_u32 v30, v22, s0
	s_cmp_lg_u32 s18, 0
	s_add_co_ci_u32 s18, s45, s47
	s_and_b64 s[44:45], s[0:1], s[26:27]
	v_mul_u64_e32 v[24:25], s[18:19], v[22:23]
	v_mul_u64_e32 v[20:21], s[44:45], v[26:27]
	;; [unrolled: 1-line block ×3, first 2 shown]
	s_delay_alu instid0(VALU_DEP_3) | instskip(NEXT) | instid1(VALU_DEP_1)
	v_add_nc_u64_e32 v[24:25], v[30:31], v[24:25]
	v_add_co_u32 v5, vcc_lo, v24, v20
	s_delay_alu instid0(VALU_DEP_2) | instskip(NEXT) | instid1(VALU_DEP_4)
	v_add_co_ci_u32_e32 v30, vcc_lo, v25, v21, vcc_lo
	v_add_co_ci_u32_e32 v29, vcc_lo, 0, v29, vcc_lo
	s_delay_alu instid0(VALU_DEP_1) | instskip(NEXT) | instid1(VALU_DEP_1)
	v_add_nc_u64_e32 v[20:21], v[30:31], v[28:29]
	v_mul_u64_e32 v[24:25], s[40:41], v[20:21]
	s_delay_alu instid0(VALU_DEP_1) | instskip(NEXT) | instid1(VALU_DEP_2)
	v_sub_nc_u32_e32 v5, v26, v25
	v_sub_co_u32 v15, vcc_lo, v22, v24
	s_delay_alu instid0(VALU_DEP_1) | instskip(NEXT) | instid1(VALU_DEP_3)
	v_sub_co_ci_u32_e64 v26, null, v26, v25, vcc_lo
	v_subrev_co_ci_u32_e64 v5, null, s41, v5, vcc_lo
	s_delay_alu instid0(VALU_DEP_3) | instskip(SKIP_1) | instid1(VALU_DEP_3)
	v_sub_co_u32 v19, s0, v15, s40
	v_add_nc_u64_e32 v[24:25], 1, v[20:21]
	v_subrev_co_ci_u32_e64 v5, null, 0, v5, s0
	s_delay_alu instid0(VALU_DEP_3) | instskip(SKIP_1) | instid1(VALU_DEP_3)
	v_cmp_le_u32_e32 vcc_lo, s40, v19
	v_cndmask_b32_e64 v19, 0, -1, vcc_lo
	v_cmp_le_u32_e32 vcc_lo, s41, v5
	v_cndmask_b32_e64 v22, 0, -1, vcc_lo
	v_cmp_le_u32_e32 vcc_lo, s40, v15
	v_cndmask_b32_e64 v15, 0, -1, vcc_lo
	v_cmp_le_u32_e32 vcc_lo, s41, v26
	v_cndmask_b32_e64 v27, 0, -1, vcc_lo
	v_cmp_eq_u32_e32 vcc_lo, s41, v5
	v_cndmask_b32_e32 v5, v22, v19, vcc_lo
	v_cmp_eq_u32_e32 vcc_lo, s41, v26
	v_add_nc_u64_e32 v[22:23], 2, v[20:21]
	v_cndmask_b32_e32 v15, v27, v15, vcc_lo
	s_delay_alu instid0(VALU_DEP_4) | instskip(NEXT) | instid1(VALU_DEP_2)
	v_cmp_ne_u32_e32 vcc_lo, 0, v5
	v_cmp_ne_u32_e64 s0, 0, v15
	s_delay_alu instid0(VALU_DEP_4) | instskip(NEXT) | instid1(VALU_DEP_1)
	v_dual_cndmask_b32 v5, v25, v23, vcc_lo :: v_dual_cndmask_b32 v15, v24, v22, vcc_lo
	v_dual_cndmask_b32 v19, v20, v15, s0 :: v_dual_mov_b32 v15, v14
	s_delay_alu instid0(VALU_DEP_1) | instskip(NEXT) | instid1(VALU_DEP_1)
	v_dual_cndmask_b32 v5, v21, v5, s0 :: v_dual_bitop2_b32 v20, v19, v14 bitop3:0x14
	v_xor_b32_e32 v21, v5, v14
	s_delay_alu instid0(VALU_DEP_1)
	v_sub_nc_u64_e32 v[14:15], v[20:21], v[14:15]
.LBB10_13:                              ;   in Loop: Header=BB10_11 Depth=2
	s_and_not1_saveexec_b32 s0, s43
	s_cbranch_execz .LBB10_15
; %bb.14:                               ;   in Loop: Header=BB10_11 Depth=2
	v_cvt_f32_u32_e32 v5, s36
	s_sub_co_i32 s18, 0, s36
	s_delay_alu instid0(VALU_DEP_1) | instskip(SKIP_1) | instid1(TRANS32_DEP_1)
	v_rcp_iflag_f32_e32 v5, v5
	v_nop
	v_mul_f32_e32 v5, 0x4f7ffffe, v5
	s_delay_alu instid0(VALU_DEP_1) | instskip(NEXT) | instid1(VALU_DEP_1)
	v_cvt_u32_f32_e32 v5, v5
	v_mul_lo_u32 v14, s18, v5
	s_delay_alu instid0(VALU_DEP_1) | instskip(NEXT) | instid1(VALU_DEP_1)
	v_mul_hi_u32 v14, v5, v14
	v_add_nc_u32_e32 v5, v5, v14
	s_delay_alu instid0(VALU_DEP_1) | instskip(NEXT) | instid1(VALU_DEP_1)
	v_mul_hi_u32 v5, v12, v5
	v_mul_lo_u32 v14, v5, s36
	s_delay_alu instid0(VALU_DEP_1) | instskip(NEXT) | instid1(VALU_DEP_1)
	v_dual_add_nc_u32 v15, 1, v5 :: v_dual_sub_nc_u32 v14, v12, v14
	v_subrev_nc_u32_e32 v19, s36, v14
	v_cmp_le_u32_e32 vcc_lo, s36, v14
	s_delay_alu instid0(VALU_DEP_2) | instskip(NEXT) | instid1(VALU_DEP_4)
	v_cndmask_b32_e32 v14, v14, v19, vcc_lo
	v_cndmask_b32_e32 v5, v5, v15, vcc_lo
	s_delay_alu instid0(VALU_DEP_2) | instskip(NEXT) | instid1(VALU_DEP_2)
	v_cmp_le_u32_e32 vcc_lo, s36, v14
	v_add_nc_u32_e32 v15, 1, v5
	s_delay_alu instid0(VALU_DEP_1)
	v_dual_cndmask_b32 v14, v5, v15 :: v_dual_mov_b32 v15, v4
.LBB10_15:                              ;   in Loop: Header=BB10_11 Depth=2
	s_or_b32 exec_lo, exec_lo, s0
	s_delay_alu instid0(VALU_DEP_1)
	v_mul_u64_e32 v[20:21], s[36:37], v[14:15]
	s_load_b64 s[36:37], s[34:35], 0xc8
	s_add_co_i32 s31, s31, -1
	s_wait_xcnt 0x0
	s_add_nc_u64 s[34:35], s[34:35], -8
	s_cmp_gt_u32 s31, 2
	s_delay_alu instid0(VALU_DEP_1) | instskip(SKIP_1) | instid1(VALU_DEP_1)
	v_sub_nc_u64_e32 v[12:13], v[12:13], v[20:21]
	s_wait_kmcnt 0x0
	v_mad_nc_u64_u32 v[10:11], s36, v12, v[10:11]
	s_delay_alu instid0(VALU_DEP_1) | instskip(NEXT) | instid1(VALU_DEP_1)
	v_mad_u32 v5, s37, v12, v11
	v_mad_u32 v11, s36, v13, v5
	s_cbranch_scc0 .LBB10_17
; %bb.16:                               ;   in Loop: Header=BB10_11 Depth=2
	v_mov_b64_e32 v[12:13], v[14:15]
	s_branch .LBB10_11
.LBB10_17:                              ;   in Loop: Header=BB10_10 Depth=1
	s_delay_alu instid0(VALU_DEP_1) | instskip(NEXT) | instid1(VALU_DEP_1)
	v_mad_nc_u64_u32 v[12:13], s20, v14, s[22:23]
	v_mad_u32 v5, s21, v14, v13
	s_delay_alu instid0(VALU_DEP_1) | instskip(NEXT) | instid1(VALU_DEP_1)
	v_mad_u32 v13, s20, v15, v5
	v_add_nc_u64_e32 v[10:11], v[12:13], v[10:11]
	global_load_u8 v5, v[10:11], off
	s_wait_xcnt 0x0
	v_mov_b32_e32 v11, s19
	s_wait_loadcnt 0x0
	v_and_b32_e32 v10, 0xffff, v5
	s_delay_alu instid0(VALU_DEP_1) | instskip(SKIP_2) | instid1(SALU_CYCLE_1)
	v_cmp_le_i64_e32 vcc_lo, s[6:7], v[10:11]
	v_cmp_ge_i64_e64 s0, s[8:9], v[10:11]
	s_and_b32 s0, vcc_lo, s0
	s_and_saveexec_b32 s36, s0
	s_cbranch_execz .LBB10_9
; %bb.18:                               ;   in Loop: Header=BB10_10 Depth=1
	v_sub_nc_u64_e64 v[10:11], v[10:11], s[6:7]
                                        ; implicit-def: $vgpr12_vgpr13
	s_mov_b32 s0, exec_lo
	s_delay_alu instid0(VALU_DEP_1) | instskip(NEXT) | instid1(VALU_DEP_1)
	v_mul_u64_e32 v[10:11], s[4:5], v[10:11]
	v_or_b32_e32 v5, s25, v11
	s_delay_alu instid0(VALU_DEP_1)
	v_cmpx_ne_u64_e32 0, v[4:5]
	s_xor_b32 s37, exec_lo, s0
	s_cbranch_execz .LBB10_20
; %bb.19:                               ;   in Loop: Header=BB10_10 Depth=1
	s_mov_b32 s31, s30
	v_dual_mov_b32 v15, v4 :: v_dual_ashrrev_i32 v12, 31, v11
	s_add_nc_u64 s[34:35], s[24:25], s[30:31]
	s_delay_alu instid0(SALU_CYCLE_1) | instskip(NEXT) | instid1(VALU_DEP_1)
	s_xor_b64 s[34:35], s[34:35], s[30:31]
	v_mov_b32_e32 v13, v12
	s_cvt_f32_u32 s0, s34
	s_cvt_f32_u32 s18, s35
	s_sub_nc_u64 s[40:41], 0, s[34:35]
	s_delay_alu instid0(VALU_DEP_1) | instskip(NEXT) | instid1(SALU_CYCLE_1)
	v_add_nc_u64_e32 v[10:11], v[10:11], v[12:13]
	s_fmamk_f32 s0, s18, 0x4f800000, s0
	v_mov_b32_e32 v23, v4
	s_delay_alu instid0(SALU_CYCLE_2) | instskip(NEXT) | instid1(VALU_DEP_2)
	v_s_rcp_f32 s0, s0
	v_xor_b32_e32 v14, v10, v12
	s_delay_alu instid0(VALU_DEP_3) | instskip(NEXT) | instid1(TRANS32_DEP_1)
	v_dual_mov_b32 v27, v4 :: v_dual_bitop2_b32 v22, v11, v12 bitop3:0x14
	s_mul_f32 s0, s0, 0x5f7ffffc
	s_delay_alu instid0(SALU_CYCLE_3) | instskip(NEXT) | instid1(SALU_CYCLE_3)
	s_mul_f32 s18, s0, 0x2f800000
	s_trunc_f32 s18, s18
	s_delay_alu instid0(SALU_CYCLE_3) | instskip(SKIP_1) | instid1(SALU_CYCLE_2)
	s_fmamk_f32 s0, s18, 0xcf800000, s0
	s_cvt_u32_f32 s39, s18
	s_cvt_u32_f32 s38, s0
	s_delay_alu instid0(SALU_CYCLE_3) | instskip(NEXT) | instid1(SALU_CYCLE_1)
	s_mul_u64 s[44:45], s[40:41], s[38:39]
	s_mul_hi_u32 s47, s38, s45
	s_mul_i32 s46, s38, s45
	s_mul_hi_u32 s18, s38, s44
	s_mul_i32 s31, s39, s44
	s_add_nc_u64 s[46:47], s[18:19], s[46:47]
	s_mul_hi_u32 s0, s39, s44
	s_mul_hi_u32 s43, s39, s45
	s_add_co_u32 s18, s46, s31
	s_add_co_ci_u32 s18, s47, s0
	s_mul_i32 s44, s39, s45
	s_add_co_ci_u32 s45, s43, 0
	s_delay_alu instid0(SALU_CYCLE_1) | instskip(NEXT) | instid1(SALU_CYCLE_1)
	s_add_nc_u64 s[44:45], s[18:19], s[44:45]
	s_add_co_u32 s38, s38, s44
	s_cselect_b32 s0, -1, 0
	s_delay_alu instid0(SALU_CYCLE_1) | instskip(SKIP_1) | instid1(SALU_CYCLE_1)
	s_cmp_lg_u32 s0, 0
	s_add_co_ci_u32 s39, s39, s45
	s_mul_u64 s[40:41], s[40:41], s[38:39]
	s_delay_alu instid0(SALU_CYCLE_1)
	s_mul_hi_u32 s45, s38, s41
	s_mul_i32 s44, s38, s41
	s_mul_hi_u32 s18, s38, s40
	s_mul_i32 s31, s39, s40
	s_add_nc_u64 s[44:45], s[18:19], s[44:45]
	s_mul_hi_u32 s0, s39, s40
	s_mul_hi_u32 s43, s39, s41
	s_add_co_u32 s18, s44, s31
	s_add_co_ci_u32 s18, s45, s0
	s_mul_i32 s40, s39, s41
	s_add_co_ci_u32 s41, s43, 0
	s_delay_alu instid0(SALU_CYCLE_1) | instskip(NEXT) | instid1(SALU_CYCLE_1)
	s_add_nc_u64 s[40:41], s[18:19], s[40:41]
	s_add_co_u32 s0, s38, s40
	s_cselect_b32 s18, -1, 0
	v_mul_hi_u32 v26, v14, s0
	s_cmp_lg_u32 s18, 0
	s_add_co_ci_u32 s18, s39, s41
	s_and_b64 s[38:39], s[0:1], s[26:27]
	v_mul_u64_e32 v[20:21], s[18:19], v[14:15]
	v_mul_u64_e32 v[10:11], s[38:39], v[22:23]
	;; [unrolled: 1-line block ×3, first 2 shown]
	s_delay_alu instid0(VALU_DEP_3) | instskip(NEXT) | instid1(VALU_DEP_1)
	v_add_nc_u64_e32 v[20:21], v[26:27], v[20:21]
	v_add_co_u32 v5, vcc_lo, v20, v10
	s_delay_alu instid0(VALU_DEP_2) | instskip(NEXT) | instid1(VALU_DEP_4)
	v_add_co_ci_u32_e32 v26, vcc_lo, v21, v11, vcc_lo
	v_add_co_ci_u32_e32 v25, vcc_lo, 0, v25, vcc_lo
	s_delay_alu instid0(VALU_DEP_1) | instskip(NEXT) | instid1(VALU_DEP_1)
	v_add_nc_u64_e32 v[10:11], v[26:27], v[24:25]
	v_mul_u64_e32 v[20:21], s[34:35], v[10:11]
	s_delay_alu instid0(VALU_DEP_1) | instskip(NEXT) | instid1(VALU_DEP_2)
	v_sub_nc_u32_e32 v5, v22, v21
	v_sub_co_u32 v13, vcc_lo, v14, v20
	s_delay_alu instid0(VALU_DEP_1) | instskip(NEXT) | instid1(VALU_DEP_3)
	v_sub_co_ci_u32_e64 v19, null, v22, v21, vcc_lo
	v_subrev_co_ci_u32_e64 v5, null, s35, v5, vcc_lo
	s_delay_alu instid0(VALU_DEP_3) | instskip(SKIP_1) | instid1(VALU_DEP_3)
	v_sub_co_u32 v14, s0, v13, s34
	v_add_nc_u64_e32 v[20:21], 1, v[10:11]
	v_subrev_co_ci_u32_e64 v5, null, 0, v5, s0
	s_delay_alu instid0(VALU_DEP_3) | instskip(SKIP_1) | instid1(VALU_DEP_3)
	v_cmp_le_u32_e32 vcc_lo, s34, v14
	v_cndmask_b32_e64 v14, 0, -1, vcc_lo
	v_cmp_le_u32_e32 vcc_lo, s35, v5
	v_cndmask_b32_e64 v15, 0, -1, vcc_lo
	;; [unrolled: 2-line block ×4, first 2 shown]
	v_cmp_eq_u32_e32 vcc_lo, s35, v5
	v_cndmask_b32_e32 v5, v15, v14, vcc_lo
	v_cmp_eq_u32_e32 vcc_lo, s35, v19
	v_add_nc_u64_e32 v[14:15], 2, v[10:11]
	v_cndmask_b32_e32 v13, v22, v13, vcc_lo
	s_delay_alu instid0(VALU_DEP_4) | instskip(NEXT) | instid1(VALU_DEP_2)
	v_cmp_ne_u32_e32 vcc_lo, 0, v5
	v_cmp_ne_u32_e64 s0, 0, v13
	s_delay_alu instid0(VALU_DEP_4) | instskip(NEXT) | instid1(VALU_DEP_1)
	v_dual_cndmask_b32 v5, v21, v15, vcc_lo :: v_dual_cndmask_b32 v13, v20, v14, vcc_lo
	v_dual_cndmask_b32 v5, v11, v5, s0 :: v_dual_bitop2_b32 v12, s30, v12 bitop3:0x14
	s_delay_alu instid0(VALU_DEP_1) | instskip(NEXT) | instid1(VALU_DEP_2)
	v_dual_cndmask_b32 v10, v10, v13, s0 :: v_dual_mov_b32 v13, v12
	v_xor_b32_e32 v11, v5, v12
	s_delay_alu instid0(VALU_DEP_2) | instskip(NEXT) | instid1(VALU_DEP_1)
	v_xor_b32_e32 v10, v10, v12
	v_sub_nc_u64_e32 v[12:13], v[10:11], v[12:13]
                                        ; implicit-def: $vgpr10_vgpr11
.LBB10_20:                              ;   in Loop: Header=BB10_10 Depth=1
	s_and_not1_saveexec_b32 s0, s37
	s_cbranch_execz .LBB10_8
; %bb.21:                               ;   in Loop: Header=BB10_10 Depth=1
	v_cvt_f32_u32_e32 v5, s24
	s_sub_co_i32 s18, 0, s24
	s_delay_alu instid0(VALU_DEP_1) | instskip(SKIP_1) | instid1(TRANS32_DEP_1)
	v_rcp_iflag_f32_e32 v5, v5
	v_nop
	v_mul_f32_e32 v5, 0x4f7ffffe, v5
	s_delay_alu instid0(VALU_DEP_1) | instskip(NEXT) | instid1(VALU_DEP_1)
	v_cvt_u32_f32_e32 v5, v5
	v_mul_lo_u32 v11, s18, v5
	s_delay_alu instid0(VALU_DEP_1) | instskip(NEXT) | instid1(VALU_DEP_1)
	v_mul_hi_u32 v11, v5, v11
	v_add_nc_u32_e32 v5, v5, v11
	s_delay_alu instid0(VALU_DEP_1) | instskip(NEXT) | instid1(VALU_DEP_1)
	v_mul_hi_u32 v5, v10, v5
	v_mul_lo_u32 v11, v5, s24
	s_delay_alu instid0(VALU_DEP_1) | instskip(NEXT) | instid1(VALU_DEP_1)
	v_dual_sub_nc_u32 v10, v10, v11 :: v_dual_add_nc_u32 v11, 1, v5
	v_subrev_nc_u32_e32 v12, s24, v10
	v_cmp_le_u32_e32 vcc_lo, s24, v10
	s_delay_alu instid0(VALU_DEP_2) | instskip(NEXT) | instid1(VALU_DEP_1)
	v_dual_cndmask_b32 v10, v10, v12 :: v_dual_cndmask_b32 v5, v5, v11
	v_cmp_le_u32_e32 vcc_lo, s24, v10
	s_delay_alu instid0(VALU_DEP_2) | instskip(NEXT) | instid1(VALU_DEP_1)
	v_add_nc_u32_e32 v11, 1, v5
	v_cndmask_b32_e32 v12, v5, v11, vcc_lo
	s_branch .LBB10_8
.LBB10_22:
	s_or_b32 exec_lo, exec_lo, s3
; %bb.23:
	s_wait_dscnt 0x0
	s_barrier_signal -1
	s_barrier_wait -1
	s_and_saveexec_b32 s0, s2
	s_cbranch_execz .LBB10_26
; %bb.24:
	s_mov_b32 s0, 0
	v_and_b32_e32 v2, 0xffff, v18
	v_dual_mov_b32 v3, s0 :: v_dual_lshlrev_b32 v8, 3, v17
	v_mul_u64_e32 v[6:7], s[16:17], v[0:1]
	s_delay_alu instid0(VALU_DEP_2) | instskip(NEXT) | instid1(VALU_DEP_2)
	v_mul_u64_e32 v[4:5], s[16:17], v[2:3]
	v_lshl_add_u64 v[6:7], v[6:7], 3, s[12:13]
	s_delay_alu instid0(VALU_DEP_2)
	v_lshlrev_b64_e32 v[4:5], 3, v[4:5]
.LBB10_25:                              ; =>This Inner Loop Header: Depth=1
	ds_load_b64 v[10:11], v16
	v_add_nc_u64_e32 v[0:1], v[0:1], v[2:3]
	v_add_nc_u32_e32 v16, v16, v8
	s_delay_alu instid0(VALU_DEP_2)
	v_cmp_le_i64_e32 vcc_lo, s[14:15], v[0:1]
	s_or_b32 s0, vcc_lo, s0
	s_wait_dscnt 0x0
	global_atomic_add_f64 v[6:7], v[10:11], off scope:SCOPE_DEV
	s_wait_xcnt 0x0
	v_add_nc_u64_e32 v[6:7], v[6:7], v[4:5]
	s_and_not1_b32 exec_lo, exec_lo, s0
	s_cbranch_execnz .LBB10_25
.LBB10_26:
	s_endpgm
	.section	.rodata,"a",@progbits
	.p2align	6, 0x0
	.amdhsa_kernel _ZN2at4cuda17kernelHistogram1DIdhlLi1ELi2ELin1ELNS0_23CUDAHistogramMemoryTypeE0EZNS0_21CUDA_tensor_histogramIdhLb1EEEbNS_6TensorES4_S4_lNS_14AccumulateTypeIT0_Lb1EE4typeES8_NS0_13TensorArgTypeES9_S9_EUllE0_EEvNS0_6detail10TensorInfoIT_T1_EESF_NSC_IKS6_SE_EElS8_S8_SE_T6_
		.amdhsa_group_segment_fixed_size 0
		.amdhsa_private_segment_fixed_size 0
		.amdhsa_kernarg_size 1544
		.amdhsa_user_sgpr_count 2
		.amdhsa_user_sgpr_dispatch_ptr 0
		.amdhsa_user_sgpr_queue_ptr 0
		.amdhsa_user_sgpr_kernarg_segment_ptr 1
		.amdhsa_user_sgpr_dispatch_id 0
		.amdhsa_user_sgpr_kernarg_preload_length 0
		.amdhsa_user_sgpr_kernarg_preload_offset 0
		.amdhsa_user_sgpr_private_segment_size 0
		.amdhsa_wavefront_size32 1
		.amdhsa_uses_dynamic_stack 0
		.amdhsa_enable_private_segment 0
		.amdhsa_system_sgpr_workgroup_id_x 1
		.amdhsa_system_sgpr_workgroup_id_y 0
		.amdhsa_system_sgpr_workgroup_id_z 0
		.amdhsa_system_sgpr_workgroup_info 0
		.amdhsa_system_vgpr_workitem_id 0
		.amdhsa_next_free_vgpr 32
		.amdhsa_next_free_sgpr 53
		.amdhsa_named_barrier_count 0
		.amdhsa_reserve_vcc 1
		.amdhsa_float_round_mode_32 0
		.amdhsa_float_round_mode_16_64 0
		.amdhsa_float_denorm_mode_32 3
		.amdhsa_float_denorm_mode_16_64 3
		.amdhsa_fp16_overflow 0
		.amdhsa_memory_ordered 1
		.amdhsa_forward_progress 1
		.amdhsa_inst_pref_size 19
		.amdhsa_round_robin_scheduling 0
		.amdhsa_exception_fp_ieee_invalid_op 0
		.amdhsa_exception_fp_denorm_src 0
		.amdhsa_exception_fp_ieee_div_zero 0
		.amdhsa_exception_fp_ieee_overflow 0
		.amdhsa_exception_fp_ieee_underflow 0
		.amdhsa_exception_fp_ieee_inexact 0
		.amdhsa_exception_int_div_zero 0
	.end_amdhsa_kernel
	.section	.text._ZN2at4cuda17kernelHistogram1DIdhlLi1ELi2ELin1ELNS0_23CUDAHistogramMemoryTypeE0EZNS0_21CUDA_tensor_histogramIdhLb1EEEbNS_6TensorES4_S4_lNS_14AccumulateTypeIT0_Lb1EE4typeES8_NS0_13TensorArgTypeES9_S9_EUllE0_EEvNS0_6detail10TensorInfoIT_T1_EESF_NSC_IKS6_SE_EElS8_S8_SE_T6_,"axG",@progbits,_ZN2at4cuda17kernelHistogram1DIdhlLi1ELi2ELin1ELNS0_23CUDAHistogramMemoryTypeE0EZNS0_21CUDA_tensor_histogramIdhLb1EEEbNS_6TensorES4_S4_lNS_14AccumulateTypeIT0_Lb1EE4typeES8_NS0_13TensorArgTypeES9_S9_EUllE0_EEvNS0_6detail10TensorInfoIT_T1_EESF_NSC_IKS6_SE_EElS8_S8_SE_T6_,comdat
.Lfunc_end10:
	.size	_ZN2at4cuda17kernelHistogram1DIdhlLi1ELi2ELin1ELNS0_23CUDAHistogramMemoryTypeE0EZNS0_21CUDA_tensor_histogramIdhLb1EEEbNS_6TensorES4_S4_lNS_14AccumulateTypeIT0_Lb1EE4typeES8_NS0_13TensorArgTypeES9_S9_EUllE0_EEvNS0_6detail10TensorInfoIT_T1_EESF_NSC_IKS6_SE_EElS8_S8_SE_T6_, .Lfunc_end10-_ZN2at4cuda17kernelHistogram1DIdhlLi1ELi2ELin1ELNS0_23CUDAHistogramMemoryTypeE0EZNS0_21CUDA_tensor_histogramIdhLb1EEEbNS_6TensorES4_S4_lNS_14AccumulateTypeIT0_Lb1EE4typeES8_NS0_13TensorArgTypeES9_S9_EUllE0_EEvNS0_6detail10TensorInfoIT_T1_EESF_NSC_IKS6_SE_EElS8_S8_SE_T6_
                                        ; -- End function
	.set _ZN2at4cuda17kernelHistogram1DIdhlLi1ELi2ELin1ELNS0_23CUDAHistogramMemoryTypeE0EZNS0_21CUDA_tensor_histogramIdhLb1EEEbNS_6TensorES4_S4_lNS_14AccumulateTypeIT0_Lb1EE4typeES8_NS0_13TensorArgTypeES9_S9_EUllE0_EEvNS0_6detail10TensorInfoIT_T1_EESF_NSC_IKS6_SE_EElS8_S8_SE_T6_.num_vgpr, 32
	.set _ZN2at4cuda17kernelHistogram1DIdhlLi1ELi2ELin1ELNS0_23CUDAHistogramMemoryTypeE0EZNS0_21CUDA_tensor_histogramIdhLb1EEEbNS_6TensorES4_S4_lNS_14AccumulateTypeIT0_Lb1EE4typeES8_NS0_13TensorArgTypeES9_S9_EUllE0_EEvNS0_6detail10TensorInfoIT_T1_EESF_NSC_IKS6_SE_EElS8_S8_SE_T6_.num_agpr, 0
	.set _ZN2at4cuda17kernelHistogram1DIdhlLi1ELi2ELin1ELNS0_23CUDAHistogramMemoryTypeE0EZNS0_21CUDA_tensor_histogramIdhLb1EEEbNS_6TensorES4_S4_lNS_14AccumulateTypeIT0_Lb1EE4typeES8_NS0_13TensorArgTypeES9_S9_EUllE0_EEvNS0_6detail10TensorInfoIT_T1_EESF_NSC_IKS6_SE_EElS8_S8_SE_T6_.numbered_sgpr, 53
	.set _ZN2at4cuda17kernelHistogram1DIdhlLi1ELi2ELin1ELNS0_23CUDAHistogramMemoryTypeE0EZNS0_21CUDA_tensor_histogramIdhLb1EEEbNS_6TensorES4_S4_lNS_14AccumulateTypeIT0_Lb1EE4typeES8_NS0_13TensorArgTypeES9_S9_EUllE0_EEvNS0_6detail10TensorInfoIT_T1_EESF_NSC_IKS6_SE_EElS8_S8_SE_T6_.num_named_barrier, 0
	.set _ZN2at4cuda17kernelHistogram1DIdhlLi1ELi2ELin1ELNS0_23CUDAHistogramMemoryTypeE0EZNS0_21CUDA_tensor_histogramIdhLb1EEEbNS_6TensorES4_S4_lNS_14AccumulateTypeIT0_Lb1EE4typeES8_NS0_13TensorArgTypeES9_S9_EUllE0_EEvNS0_6detail10TensorInfoIT_T1_EESF_NSC_IKS6_SE_EElS8_S8_SE_T6_.private_seg_size, 0
	.set _ZN2at4cuda17kernelHistogram1DIdhlLi1ELi2ELin1ELNS0_23CUDAHistogramMemoryTypeE0EZNS0_21CUDA_tensor_histogramIdhLb1EEEbNS_6TensorES4_S4_lNS_14AccumulateTypeIT0_Lb1EE4typeES8_NS0_13TensorArgTypeES9_S9_EUllE0_EEvNS0_6detail10TensorInfoIT_T1_EESF_NSC_IKS6_SE_EElS8_S8_SE_T6_.uses_vcc, 1
	.set _ZN2at4cuda17kernelHistogram1DIdhlLi1ELi2ELin1ELNS0_23CUDAHistogramMemoryTypeE0EZNS0_21CUDA_tensor_histogramIdhLb1EEEbNS_6TensorES4_S4_lNS_14AccumulateTypeIT0_Lb1EE4typeES8_NS0_13TensorArgTypeES9_S9_EUllE0_EEvNS0_6detail10TensorInfoIT_T1_EESF_NSC_IKS6_SE_EElS8_S8_SE_T6_.uses_flat_scratch, 0
	.set _ZN2at4cuda17kernelHistogram1DIdhlLi1ELi2ELin1ELNS0_23CUDAHistogramMemoryTypeE0EZNS0_21CUDA_tensor_histogramIdhLb1EEEbNS_6TensorES4_S4_lNS_14AccumulateTypeIT0_Lb1EE4typeES8_NS0_13TensorArgTypeES9_S9_EUllE0_EEvNS0_6detail10TensorInfoIT_T1_EESF_NSC_IKS6_SE_EElS8_S8_SE_T6_.has_dyn_sized_stack, 0
	.set _ZN2at4cuda17kernelHistogram1DIdhlLi1ELi2ELin1ELNS0_23CUDAHistogramMemoryTypeE0EZNS0_21CUDA_tensor_histogramIdhLb1EEEbNS_6TensorES4_S4_lNS_14AccumulateTypeIT0_Lb1EE4typeES8_NS0_13TensorArgTypeES9_S9_EUllE0_EEvNS0_6detail10TensorInfoIT_T1_EESF_NSC_IKS6_SE_EElS8_S8_SE_T6_.has_recursion, 0
	.set _ZN2at4cuda17kernelHistogram1DIdhlLi1ELi2ELin1ELNS0_23CUDAHistogramMemoryTypeE0EZNS0_21CUDA_tensor_histogramIdhLb1EEEbNS_6TensorES4_S4_lNS_14AccumulateTypeIT0_Lb1EE4typeES8_NS0_13TensorArgTypeES9_S9_EUllE0_EEvNS0_6detail10TensorInfoIT_T1_EESF_NSC_IKS6_SE_EElS8_S8_SE_T6_.has_indirect_call, 0
	.section	.AMDGPU.csdata,"",@progbits
; Kernel info:
; codeLenInByte = 2364
; TotalNumSgprs: 55
; NumVgprs: 32
; ScratchSize: 0
; MemoryBound: 0
; FloatMode: 240
; IeeeMode: 1
; LDSByteSize: 0 bytes/workgroup (compile time only)
; SGPRBlocks: 0
; VGPRBlocks: 1
; NumSGPRsForWavesPerEU: 55
; NumVGPRsForWavesPerEU: 32
; NamedBarCnt: 0
; Occupancy: 16
; WaveLimiterHint : 1
; COMPUTE_PGM_RSRC2:SCRATCH_EN: 0
; COMPUTE_PGM_RSRC2:USER_SGPR: 2
; COMPUTE_PGM_RSRC2:TRAP_HANDLER: 0
; COMPUTE_PGM_RSRC2:TGID_X_EN: 1
; COMPUTE_PGM_RSRC2:TGID_Y_EN: 0
; COMPUTE_PGM_RSRC2:TGID_Z_EN: 0
; COMPUTE_PGM_RSRC2:TIDIG_COMP_CNT: 0
	.section	.text._ZN2at4cuda17kernelHistogram1DIdhlLi1ELi2ELin1ELNS0_23CUDAHistogramMemoryTypeE1EZNS0_21CUDA_tensor_histogramIdhLb1EEEbNS_6TensorES4_S4_lNS_14AccumulateTypeIT0_Lb1EE4typeES8_NS0_13TensorArgTypeES9_S9_EUllE0_EEvNS0_6detail10TensorInfoIT_T1_EESF_NSC_IKS6_SE_EElS8_S8_SE_T6_,"axG",@progbits,_ZN2at4cuda17kernelHistogram1DIdhlLi1ELi2ELin1ELNS0_23CUDAHistogramMemoryTypeE1EZNS0_21CUDA_tensor_histogramIdhLb1EEEbNS_6TensorES4_S4_lNS_14AccumulateTypeIT0_Lb1EE4typeES8_NS0_13TensorArgTypeES9_S9_EUllE0_EEvNS0_6detail10TensorInfoIT_T1_EESF_NSC_IKS6_SE_EElS8_S8_SE_T6_,comdat
	.protected	_ZN2at4cuda17kernelHistogram1DIdhlLi1ELi2ELin1ELNS0_23CUDAHistogramMemoryTypeE1EZNS0_21CUDA_tensor_histogramIdhLb1EEEbNS_6TensorES4_S4_lNS_14AccumulateTypeIT0_Lb1EE4typeES8_NS0_13TensorArgTypeES9_S9_EUllE0_EEvNS0_6detail10TensorInfoIT_T1_EESF_NSC_IKS6_SE_EElS8_S8_SE_T6_ ; -- Begin function _ZN2at4cuda17kernelHistogram1DIdhlLi1ELi2ELin1ELNS0_23CUDAHistogramMemoryTypeE1EZNS0_21CUDA_tensor_histogramIdhLb1EEEbNS_6TensorES4_S4_lNS_14AccumulateTypeIT0_Lb1EE4typeES8_NS0_13TensorArgTypeES9_S9_EUllE0_EEvNS0_6detail10TensorInfoIT_T1_EESF_NSC_IKS6_SE_EElS8_S8_SE_T6_
	.globl	_ZN2at4cuda17kernelHistogram1DIdhlLi1ELi2ELin1ELNS0_23CUDAHistogramMemoryTypeE1EZNS0_21CUDA_tensor_histogramIdhLb1EEEbNS_6TensorES4_S4_lNS_14AccumulateTypeIT0_Lb1EE4typeES8_NS0_13TensorArgTypeES9_S9_EUllE0_EEvNS0_6detail10TensorInfoIT_T1_EESF_NSC_IKS6_SE_EElS8_S8_SE_T6_
	.p2align	8
	.type	_ZN2at4cuda17kernelHistogram1DIdhlLi1ELi2ELin1ELNS0_23CUDAHistogramMemoryTypeE1EZNS0_21CUDA_tensor_histogramIdhLb1EEEbNS_6TensorES4_S4_lNS_14AccumulateTypeIT0_Lb1EE4typeES8_NS0_13TensorArgTypeES9_S9_EUllE0_EEvNS0_6detail10TensorInfoIT_T1_EESF_NSC_IKS6_SE_EElS8_S8_SE_T6_,@function
_ZN2at4cuda17kernelHistogram1DIdhlLi1ELi2ELin1ELNS0_23CUDAHistogramMemoryTypeE1EZNS0_21CUDA_tensor_histogramIdhLb1EEEbNS_6TensorES4_S4_lNS_14AccumulateTypeIT0_Lb1EE4typeES8_NS0_13TensorArgTypeES9_S9_EUllE0_EEvNS0_6detail10TensorInfoIT_T1_EESF_NSC_IKS6_SE_EElS8_S8_SE_T6_: ; @_ZN2at4cuda17kernelHistogram1DIdhlLi1ELi2ELin1ELNS0_23CUDAHistogramMemoryTypeE1EZNS0_21CUDA_tensor_histogramIdhLb1EEEbNS_6TensorES4_S4_lNS_14AccumulateTypeIT0_Lb1EE4typeES8_NS0_13TensorArgTypeES9_S9_EUllE0_EEvNS0_6detail10TensorInfoIT_T1_EESF_NSC_IKS6_SE_EElS8_S8_SE_T6_
; %bb.0:
	s_load_b32 s2, s[0:1], 0x514
	s_bfe_u32 s12, ttmp6, 0x4000c
	s_load_b256 s[4:11], s[0:1], 0x4e0
	s_add_co_i32 s12, s12, 1
	s_and_b32 s3, ttmp6, 15
	s_mul_i32 s12, ttmp9, s12
	s_getreg_b32 s13, hwreg(HW_REG_IB_STS2, 6, 4)
	s_add_co_i32 s3, s3, s12
	v_mov_b32_e32 v2, 0
	s_mov_b32 s12, exec_lo
	s_delay_alu instid0(VALU_DEP_1) | instskip(SKIP_4) | instid1(SALU_CYCLE_1)
	v_mov_b32_e32 v1, v2
	s_wait_kmcnt 0x0
	s_and_b32 s2, s2, 0xffff
	s_cmp_eq_u32 s13, 0
	s_cselect_b32 s3, ttmp9, s3
	v_mad_u32 v0, s3, s2, v0
	s_mov_b32 s3, 0
	s_delay_alu instid0(VALU_DEP_1)
	v_cmpx_gt_i64_e64 s[10:11], v[0:1]
	s_cbranch_execz .LBB11_16
; %bb.1:
	s_load_b32 s28, s[0:1], 0x4d8
	s_add_nc_u64 s[20:21], s[0:1], 0x508
	s_load_b32 s22, s[20:21], 0x0
	s_clause 0x3
	s_load_b64 s[12:13], s[0:1], 0x0
	s_load_b64 s[14:15], s[0:1], 0xd0
	;; [unrolled: 1-line block ×4, first 2 shown]
	s_add_nc_u64 s[26:27], s[0:1], 0x340
	v_mov_b64_e32 v[4:5], 1.0
	s_wait_xcnt 0x0
	s_sub_nc_u64 s[20:21], s[8:9], s[6:7]
	s_mov_b32 s23, s3
	s_mov_b64 s[24:25], 0xffffffff
	s_mov_b32 s40, 0
	s_wait_kmcnt 0x0
	s_mul_i32 s22, s22, s2
	s_cmp_gt_i32 s28, 1
	s_cselect_b32 s1, -1, 0
	s_add_co_i32 s2, s28, -1
	s_add_co_i32 s33, s28, 1
	s_lshl_b64 s[28:29], s[2:3], 3
	s_delay_alu instid0(SALU_CYCLE_1)
	s_add_nc_u64 s[28:29], s[26:27], s[28:29]
	s_ashr_i32 s26, s21, 31
	s_add_nc_u64 s[28:29], s[28:29], 8
	s_branch .LBB11_4
.LBB11_2:                               ;   in Loop: Header=BB11_4 Depth=1
	s_or_b32 exec_lo, exec_lo, s0
	s_delay_alu instid0(VALU_DEP_1) | instskip(NEXT) | instid1(VALU_DEP_1)
	v_dual_ashrrev_i32 v9, 31, v8 :: v_dual_mov_b32 v7, s3
	v_cmp_eq_u64_e32 vcc_lo, s[4:5], v[8:9]
	v_cndmask_b32_e64 v6, 0, 1, vcc_lo
	s_delay_alu instid0(VALU_DEP_1) | instskip(NEXT) | instid1(VALU_DEP_1)
	v_sub_nc_u64_e32 v[6:7], v[8:9], v[6:7]
	v_mul_u64_e32 v[6:7], s[14:15], v[6:7]
	s_delay_alu instid0(VALU_DEP_1)
	v_lshl_add_u64 v[6:7], v[6:7], 3, s[12:13]
	global_atomic_add_f64 v[6:7], v[4:5], off scope:SCOPE_DEV
.LBB11_3:                               ;   in Loop: Header=BB11_4 Depth=1
	s_wait_xcnt 0x0
	s_or_b32 exec_lo, exec_lo, s34
	v_add_nc_u64_e32 v[0:1], s[22:23], v[0:1]
	s_delay_alu instid0(VALU_DEP_1) | instskip(SKIP_1) | instid1(SALU_CYCLE_1)
	v_cmp_le_i64_e32 vcc_lo, s[10:11], v[0:1]
	s_or_b32 s40, vcc_lo, s40
	s_and_not1_b32 exec_lo, exec_lo, s40
	s_cbranch_execz .LBB11_16
.LBB11_4:                               ; =>This Loop Header: Depth=1
                                        ;     Child Loop BB11_5 Depth 2
	v_mov_b64_e32 v[6:7], 0
	v_mov_b64_e32 v[8:9], v[0:1]
	;; [unrolled: 1-line block ×3, first 2 shown]
	s_and_not1_b32 vcc_lo, exec_lo, s1
	s_mov_b64 s[30:31], s[28:29]
	s_mov_b32 s27, s33
	s_cbranch_vccnz .LBB11_11
.LBB11_5:                               ;   Parent Loop BB11_4 Depth=1
                                        ; =>  This Inner Loop Header: Depth=2
	s_load_b64 s[34:35], s[30:31], 0x0
                                        ; implicit-def: $vgpr10_vgpr11
	s_mov_b32 s0, exec_lo
	s_wait_kmcnt 0x0
	s_delay_alu instid0(VALU_DEP_1) | instskip(NEXT) | instid1(VALU_DEP_1)
	v_or_b32_e32 v3, s35, v9
	v_cmpx_ne_u64_e32 0, v[2:3]
	s_xor_b32 s41, exec_lo, s0
	s_cbranch_execz .LBB11_7
; %bb.6:                                ;   in Loop: Header=BB11_5 Depth=2
	s_ashr_i32 s36, s35, 31
	v_dual_mov_b32 v15, v2 :: v_dual_ashrrev_i32 v10, 31, v9
	s_mov_b32 s37, s36
	v_mov_b32_e32 v23, v2
	s_add_nc_u64 s[38:39], s[34:35], s[36:37]
	s_delay_alu instid0(VALU_DEP_2) | instskip(SKIP_1) | instid1(SALU_CYCLE_1)
	v_mov_b32_e32 v11, v10
	s_xor_b64 s[38:39], s[38:39], s[36:37]
	s_cvt_f32_u32 s0, s38
	s_cvt_f32_u32 s2, s39
	s_sub_nc_u64 s[44:45], 0, s[38:39]
	v_add_nc_u64_e32 v[12:13], v[8:9], v[10:11]
	v_mov_b32_e32 v19, v2
	s_fmamk_f32 s0, s2, 0x4f800000, s0
	s_delay_alu instid0(SALU_CYCLE_3) | instskip(NEXT) | instid1(VALU_DEP_2)
	v_s_rcp_f32 s0, s0
	v_xor_b32_e32 v14, v12, v10
	s_delay_alu instid0(VALU_DEP_3) | instskip(NEXT) | instid1(TRANS32_DEP_1)
	v_xor_b32_e32 v18, v13, v10
	s_mul_f32 s0, s0, 0x5f7ffffc
	s_delay_alu instid0(SALU_CYCLE_3) | instskip(NEXT) | instid1(SALU_CYCLE_3)
	s_mul_f32 s2, s0, 0x2f800000
	s_trunc_f32 s2, s2
	s_delay_alu instid0(SALU_CYCLE_3) | instskip(SKIP_1) | instid1(SALU_CYCLE_2)
	s_fmamk_f32 s0, s2, 0xcf800000, s0
	s_cvt_u32_f32 s43, s2
	s_cvt_u32_f32 s42, s0
	s_delay_alu instid0(SALU_CYCLE_3) | instskip(NEXT) | instid1(SALU_CYCLE_1)
	s_mul_u64 s[46:47], s[44:45], s[42:43]
	s_mul_hi_u32 s49, s42, s47
	s_mul_i32 s48, s42, s47
	s_mul_hi_u32 s2, s42, s46
	s_mul_i32 s37, s43, s46
	s_add_nc_u64 s[48:49], s[2:3], s[48:49]
	s_mul_hi_u32 s0, s43, s46
	s_mul_hi_u32 s50, s43, s47
	s_add_co_u32 s2, s48, s37
	s_add_co_ci_u32 s2, s49, s0
	s_mul_i32 s46, s43, s47
	s_add_co_ci_u32 s47, s50, 0
	s_delay_alu instid0(SALU_CYCLE_1) | instskip(NEXT) | instid1(SALU_CYCLE_1)
	s_add_nc_u64 s[46:47], s[2:3], s[46:47]
	s_add_co_u32 s42, s42, s46
	s_cselect_b32 s0, -1, 0
	s_delay_alu instid0(SALU_CYCLE_1) | instskip(SKIP_1) | instid1(SALU_CYCLE_1)
	s_cmp_lg_u32 s0, 0
	s_add_co_ci_u32 s43, s43, s47
	s_mul_u64 s[44:45], s[44:45], s[42:43]
	s_delay_alu instid0(SALU_CYCLE_1)
	s_mul_hi_u32 s47, s42, s45
	s_mul_i32 s46, s42, s45
	s_mul_hi_u32 s2, s42, s44
	s_mul_i32 s37, s43, s44
	s_add_nc_u64 s[46:47], s[2:3], s[46:47]
	s_mul_hi_u32 s0, s43, s44
	s_mul_hi_u32 s48, s43, s45
	s_add_co_u32 s2, s46, s37
	s_add_co_ci_u32 s2, s47, s0
	s_mul_i32 s44, s43, s45
	s_add_co_ci_u32 s45, s48, 0
	s_delay_alu instid0(SALU_CYCLE_1) | instskip(NEXT) | instid1(SALU_CYCLE_1)
	s_add_nc_u64 s[44:45], s[2:3], s[44:45]
	s_add_co_u32 s0, s42, s44
	s_cselect_b32 s2, -1, 0
	v_mul_hi_u32 v22, v14, s0
	s_cmp_lg_u32 s2, 0
	s_add_co_ci_u32 s2, s43, s45
	s_and_b64 s[42:43], s[0:1], s[24:25]
	v_mul_u64_e32 v[16:17], s[2:3], v[14:15]
	v_mul_u64_e32 v[12:13], s[42:43], v[18:19]
	;; [unrolled: 1-line block ×3, first 2 shown]
	s_delay_alu instid0(VALU_DEP_3) | instskip(NEXT) | instid1(VALU_DEP_1)
	v_add_nc_u64_e32 v[16:17], v[22:23], v[16:17]
	v_add_co_u32 v3, vcc_lo, v16, v12
	s_delay_alu instid0(VALU_DEP_2) | instskip(NEXT) | instid1(VALU_DEP_4)
	v_add_co_ci_u32_e32 v22, vcc_lo, v17, v13, vcc_lo
	v_add_co_ci_u32_e32 v21, vcc_lo, 0, v21, vcc_lo
	s_delay_alu instid0(VALU_DEP_1) | instskip(NEXT) | instid1(VALU_DEP_1)
	v_add_nc_u64_e32 v[12:13], v[22:23], v[20:21]
	v_mul_u64_e32 v[16:17], s[38:39], v[12:13]
	s_delay_alu instid0(VALU_DEP_1) | instskip(NEXT) | instid1(VALU_DEP_2)
	v_sub_nc_u32_e32 v3, v18, v17
	v_sub_co_u32 v11, vcc_lo, v14, v16
	s_delay_alu instid0(VALU_DEP_1) | instskip(NEXT) | instid1(VALU_DEP_3)
	v_sub_co_ci_u32_e64 v18, null, v18, v17, vcc_lo
	v_subrev_co_ci_u32_e64 v3, null, s39, v3, vcc_lo
	s_delay_alu instid0(VALU_DEP_3) | instskip(SKIP_1) | instid1(VALU_DEP_3)
	v_sub_co_u32 v14, s0, v11, s38
	v_add_nc_u64_e32 v[16:17], 1, v[12:13]
	v_subrev_co_ci_u32_e64 v3, null, 0, v3, s0
	s_delay_alu instid0(VALU_DEP_3) | instskip(SKIP_1) | instid1(VALU_DEP_3)
	v_cmp_le_u32_e32 vcc_lo, s38, v14
	v_cndmask_b32_e64 v14, 0, -1, vcc_lo
	v_cmp_le_u32_e32 vcc_lo, s39, v3
	v_cndmask_b32_e64 v15, 0, -1, vcc_lo
	;; [unrolled: 2-line block ×4, first 2 shown]
	v_cmp_eq_u32_e32 vcc_lo, s39, v3
	v_cndmask_b32_e32 v3, v15, v14, vcc_lo
	v_cmp_eq_u32_e32 vcc_lo, s39, v18
	v_add_nc_u64_e32 v[14:15], 2, v[12:13]
	v_cndmask_b32_e32 v11, v19, v11, vcc_lo
	s_delay_alu instid0(VALU_DEP_4) | instskip(NEXT) | instid1(VALU_DEP_2)
	v_cmp_ne_u32_e32 vcc_lo, 0, v3
	v_cmp_ne_u32_e64 s0, 0, v11
	s_delay_alu instid0(VALU_DEP_4) | instskip(NEXT) | instid1(VALU_DEP_1)
	v_dual_cndmask_b32 v3, v17, v15, vcc_lo :: v_dual_cndmask_b32 v11, v16, v14, vcc_lo
	v_dual_cndmask_b32 v3, v13, v3, s0 :: v_dual_bitop2_b32 v10, s36, v10 bitop3:0x14
	s_delay_alu instid0(VALU_DEP_1) | instskip(NEXT) | instid1(VALU_DEP_2)
	v_dual_cndmask_b32 v12, v12, v11, s0 :: v_dual_mov_b32 v11, v10
	v_xor_b32_e32 v13, v3, v10
	s_delay_alu instid0(VALU_DEP_2) | instskip(NEXT) | instid1(VALU_DEP_1)
	v_xor_b32_e32 v12, v12, v10
	v_sub_nc_u64_e32 v[10:11], v[12:13], v[10:11]
.LBB11_7:                               ;   in Loop: Header=BB11_5 Depth=2
	s_and_not1_saveexec_b32 s0, s41
	s_cbranch_execz .LBB11_9
; %bb.8:                                ;   in Loop: Header=BB11_5 Depth=2
	v_cvt_f32_u32_e32 v3, s34
	s_sub_co_i32 s2, 0, s34
	s_delay_alu instid0(VALU_DEP_1) | instskip(SKIP_1) | instid1(TRANS32_DEP_1)
	v_rcp_iflag_f32_e32 v3, v3
	v_nop
	v_mul_f32_e32 v3, 0x4f7ffffe, v3
	s_delay_alu instid0(VALU_DEP_1) | instskip(NEXT) | instid1(VALU_DEP_1)
	v_cvt_u32_f32_e32 v3, v3
	v_mul_lo_u32 v10, s2, v3
	s_delay_alu instid0(VALU_DEP_1) | instskip(NEXT) | instid1(VALU_DEP_1)
	v_mul_hi_u32 v10, v3, v10
	v_add_nc_u32_e32 v3, v3, v10
	s_delay_alu instid0(VALU_DEP_1) | instskip(NEXT) | instid1(VALU_DEP_1)
	v_mul_hi_u32 v3, v8, v3
	v_mul_lo_u32 v10, v3, s34
	s_delay_alu instid0(VALU_DEP_1) | instskip(NEXT) | instid1(VALU_DEP_1)
	v_dual_add_nc_u32 v11, 1, v3 :: v_dual_sub_nc_u32 v10, v8, v10
	v_subrev_nc_u32_e32 v12, s34, v10
	v_cmp_le_u32_e32 vcc_lo, s34, v10
	s_delay_alu instid0(VALU_DEP_2) | instskip(NEXT) | instid1(VALU_DEP_1)
	v_dual_cndmask_b32 v10, v10, v12 :: v_dual_cndmask_b32 v3, v3, v11
	v_cmp_le_u32_e32 vcc_lo, s34, v10
	s_delay_alu instid0(VALU_DEP_2) | instskip(NEXT) | instid1(VALU_DEP_1)
	v_add_nc_u32_e32 v11, 1, v3
	v_dual_cndmask_b32 v10, v3, v11 :: v_dual_mov_b32 v11, v2
.LBB11_9:                               ;   in Loop: Header=BB11_5 Depth=2
	s_or_b32 exec_lo, exec_lo, s0
	s_delay_alu instid0(VALU_DEP_1)
	v_mul_u64_e32 v[12:13], s[34:35], v[10:11]
	s_load_b64 s[34:35], s[30:31], 0xc8
	s_add_co_i32 s27, s27, -1
	s_wait_xcnt 0x0
	s_add_nc_u64 s[30:31], s[30:31], -8
	s_cmp_gt_u32 s27, 2
	s_delay_alu instid0(VALU_DEP_1) | instskip(SKIP_1) | instid1(VALU_DEP_1)
	v_sub_nc_u64_e32 v[8:9], v[8:9], v[12:13]
	s_wait_kmcnt 0x0
	v_mad_nc_u64_u32 v[6:7], s34, v8, v[6:7]
	s_delay_alu instid0(VALU_DEP_1) | instskip(NEXT) | instid1(VALU_DEP_1)
	v_mad_u32 v3, s35, v8, v7
	v_mad_u32 v7, s34, v9, v3
	s_cbranch_scc0 .LBB11_11
; %bb.10:                               ;   in Loop: Header=BB11_5 Depth=2
	v_mov_b64_e32 v[8:9], v[10:11]
	s_branch .LBB11_5
.LBB11_11:                              ;   in Loop: Header=BB11_4 Depth=1
	s_delay_alu instid0(VALU_DEP_1) | instskip(NEXT) | instid1(VALU_DEP_1)
	v_mad_nc_u64_u32 v[8:9], s16, v10, s[18:19]
	v_mad_u32 v3, s17, v10, v9
	s_delay_alu instid0(VALU_DEP_1) | instskip(NEXT) | instid1(VALU_DEP_1)
	v_mad_u32 v9, s16, v11, v3
	v_add_nc_u64_e32 v[6:7], v[8:9], v[6:7]
	global_load_u8 v3, v[6:7], off
	s_wait_xcnt 0x0
	v_mov_b32_e32 v7, s3
	s_wait_loadcnt 0x0
	v_and_b32_e32 v6, 0xffff, v3
	s_delay_alu instid0(VALU_DEP_1) | instskip(SKIP_2) | instid1(SALU_CYCLE_1)
	v_cmp_le_i64_e32 vcc_lo, s[6:7], v[6:7]
	v_cmp_ge_i64_e64 s0, s[8:9], v[6:7]
	s_and_b32 s0, vcc_lo, s0
	s_and_saveexec_b32 s34, s0
	s_cbranch_execz .LBB11_3
; %bb.12:                               ;   in Loop: Header=BB11_4 Depth=1
	v_sub_nc_u64_e64 v[6:7], v[6:7], s[6:7]
                                        ; implicit-def: $vgpr8_vgpr9
	s_mov_b32 s0, exec_lo
	s_delay_alu instid0(VALU_DEP_1) | instskip(NEXT) | instid1(VALU_DEP_1)
	v_mul_u64_e32 v[6:7], s[4:5], v[6:7]
	v_or_b32_e32 v3, s21, v7
	s_delay_alu instid0(VALU_DEP_1)
	v_cmpx_ne_u64_e32 0, v[2:3]
	s_xor_b32 s35, exec_lo, s0
	s_cbranch_execz .LBB11_14
; %bb.13:                               ;   in Loop: Header=BB11_4 Depth=1
	s_mov_b32 s27, s26
	v_dual_mov_b32 v11, v2 :: v_dual_ashrrev_i32 v8, 31, v7
	s_add_nc_u64 s[30:31], s[20:21], s[26:27]
	v_mov_b32_e32 v19, v2
	s_xor_b64 s[30:31], s[30:31], s[26:27]
	s_delay_alu instid0(VALU_DEP_2) | instskip(SKIP_3) | instid1(VALU_DEP_1)
	v_mov_b32_e32 v9, v8
	s_cvt_f32_u32 s0, s30
	s_cvt_f32_u32 s2, s31
	s_sub_nc_u64 s[38:39], 0, s[30:31]
	v_add_nc_u64_e32 v[6:7], v[6:7], v[8:9]
	s_delay_alu instid0(SALU_CYCLE_1) | instskip(SKIP_1) | instid1(SALU_CYCLE_2)
	s_fmamk_f32 s0, s2, 0x4f800000, s0
	v_mov_b32_e32 v15, v2
	v_s_rcp_f32 s0, s0
	s_delay_alu instid0(VALU_DEP_2) | instskip(NEXT) | instid1(VALU_DEP_3)
	v_xor_b32_e32 v10, v6, v8
	v_xor_b32_e32 v14, v7, v8
	s_delay_alu instid0(TRANS32_DEP_1) | instskip(NEXT) | instid1(SALU_CYCLE_3)
	s_mul_f32 s0, s0, 0x5f7ffffc
	s_mul_f32 s2, s0, 0x2f800000
	s_delay_alu instid0(SALU_CYCLE_3) | instskip(NEXT) | instid1(SALU_CYCLE_3)
	s_trunc_f32 s2, s2
	s_fmamk_f32 s0, s2, 0xcf800000, s0
	s_cvt_u32_f32 s37, s2
	s_delay_alu instid0(SALU_CYCLE_2) | instskip(NEXT) | instid1(SALU_CYCLE_3)
	s_cvt_u32_f32 s36, s0
	s_mul_u64 s[42:43], s[38:39], s[36:37]
	s_delay_alu instid0(SALU_CYCLE_1)
	s_mul_hi_u32 s45, s36, s43
	s_mul_i32 s44, s36, s43
	s_mul_hi_u32 s2, s36, s42
	s_mul_i32 s27, s37, s42
	s_add_nc_u64 s[44:45], s[2:3], s[44:45]
	s_mul_hi_u32 s0, s37, s42
	s_mul_hi_u32 s41, s37, s43
	s_add_co_u32 s2, s44, s27
	s_add_co_ci_u32 s2, s45, s0
	s_mul_i32 s42, s37, s43
	s_add_co_ci_u32 s43, s41, 0
	s_delay_alu instid0(SALU_CYCLE_1) | instskip(NEXT) | instid1(SALU_CYCLE_1)
	s_add_nc_u64 s[42:43], s[2:3], s[42:43]
	s_add_co_u32 s36, s36, s42
	s_cselect_b32 s0, -1, 0
	s_delay_alu instid0(SALU_CYCLE_1) | instskip(SKIP_1) | instid1(SALU_CYCLE_1)
	s_cmp_lg_u32 s0, 0
	s_add_co_ci_u32 s37, s37, s43
	s_mul_u64 s[38:39], s[38:39], s[36:37]
	s_delay_alu instid0(SALU_CYCLE_1)
	s_mul_hi_u32 s43, s36, s39
	s_mul_i32 s42, s36, s39
	s_mul_hi_u32 s2, s36, s38
	s_mul_i32 s27, s37, s38
	s_add_nc_u64 s[42:43], s[2:3], s[42:43]
	s_mul_hi_u32 s0, s37, s38
	s_mul_hi_u32 s41, s37, s39
	s_add_co_u32 s2, s42, s27
	s_add_co_ci_u32 s2, s43, s0
	s_mul_i32 s38, s37, s39
	s_add_co_ci_u32 s39, s41, 0
	s_delay_alu instid0(SALU_CYCLE_1) | instskip(NEXT) | instid1(SALU_CYCLE_1)
	s_add_nc_u64 s[38:39], s[2:3], s[38:39]
	s_add_co_u32 s0, s36, s38
	s_cselect_b32 s2, -1, 0
	v_mul_hi_u32 v18, v10, s0
	s_cmp_lg_u32 s2, 0
	s_add_co_ci_u32 s2, s37, s39
	s_and_b64 s[36:37], s[0:1], s[24:25]
	v_mul_u64_e32 v[12:13], s[2:3], v[10:11]
	v_mul_u64_e32 v[6:7], s[36:37], v[14:15]
	;; [unrolled: 1-line block ×3, first 2 shown]
	s_delay_alu instid0(VALU_DEP_3) | instskip(NEXT) | instid1(VALU_DEP_1)
	v_add_nc_u64_e32 v[12:13], v[18:19], v[12:13]
	v_add_co_u32 v3, vcc_lo, v12, v6
	s_delay_alu instid0(VALU_DEP_2) | instskip(NEXT) | instid1(VALU_DEP_4)
	v_add_co_ci_u32_e32 v18, vcc_lo, v13, v7, vcc_lo
	v_add_co_ci_u32_e32 v17, vcc_lo, 0, v17, vcc_lo
	s_delay_alu instid0(VALU_DEP_1) | instskip(NEXT) | instid1(VALU_DEP_1)
	v_add_nc_u64_e32 v[6:7], v[18:19], v[16:17]
	v_mul_u64_e32 v[12:13], s[30:31], v[6:7]
	s_delay_alu instid0(VALU_DEP_1) | instskip(NEXT) | instid1(VALU_DEP_2)
	v_sub_nc_u32_e32 v3, v14, v13
	v_sub_co_u32 v9, vcc_lo, v10, v12
	s_delay_alu instid0(VALU_DEP_1) | instskip(NEXT) | instid1(VALU_DEP_3)
	v_sub_co_ci_u32_e64 v14, null, v14, v13, vcc_lo
	v_subrev_co_ci_u32_e64 v3, null, s31, v3, vcc_lo
	s_delay_alu instid0(VALU_DEP_3) | instskip(SKIP_1) | instid1(VALU_DEP_3)
	v_sub_co_u32 v10, s0, v9, s30
	v_add_nc_u64_e32 v[12:13], 1, v[6:7]
	v_subrev_co_ci_u32_e64 v3, null, 0, v3, s0
	s_delay_alu instid0(VALU_DEP_3) | instskip(SKIP_1) | instid1(VALU_DEP_3)
	v_cmp_le_u32_e32 vcc_lo, s30, v10
	v_cndmask_b32_e64 v10, 0, -1, vcc_lo
	v_cmp_le_u32_e32 vcc_lo, s31, v3
	v_cndmask_b32_e64 v11, 0, -1, vcc_lo
	;; [unrolled: 2-line block ×4, first 2 shown]
	v_cmp_eq_u32_e32 vcc_lo, s31, v3
	v_cndmask_b32_e32 v3, v11, v10, vcc_lo
	v_cmp_eq_u32_e32 vcc_lo, s31, v14
	v_add_nc_u64_e32 v[10:11], 2, v[6:7]
	v_cndmask_b32_e32 v9, v15, v9, vcc_lo
	s_delay_alu instid0(VALU_DEP_4) | instskip(NEXT) | instid1(VALU_DEP_3)
	v_cmp_ne_u32_e32 vcc_lo, 0, v3
	v_cndmask_b32_e32 v3, v13, v11, vcc_lo
	s_delay_alu instid0(VALU_DEP_3) | instskip(SKIP_1) | instid1(VALU_DEP_1)
	v_cmp_ne_u32_e64 s0, 0, v9
	v_dual_cndmask_b32 v9, v12, v10, vcc_lo :: v_dual_bitop2_b32 v8, s26, v8 bitop3:0x14
	v_dual_cndmask_b32 v3, v7, v3, s0 :: v_dual_cndmask_b32 v6, v6, v9, s0
	s_delay_alu instid0(VALU_DEP_1) | instskip(NEXT) | instid1(VALU_DEP_2)
	v_dual_mov_b32 v9, v8 :: v_dual_bitop2_b32 v7, v3, v8 bitop3:0x14
	v_xor_b32_e32 v6, v6, v8
	s_delay_alu instid0(VALU_DEP_1)
	v_sub_nc_u64_e32 v[8:9], v[6:7], v[8:9]
                                        ; implicit-def: $vgpr6_vgpr7
.LBB11_14:                              ;   in Loop: Header=BB11_4 Depth=1
	s_and_not1_saveexec_b32 s0, s35
	s_cbranch_execz .LBB11_2
; %bb.15:                               ;   in Loop: Header=BB11_4 Depth=1
	v_cvt_f32_u32_e32 v3, s20
	s_sub_co_i32 s2, 0, s20
	s_delay_alu instid0(VALU_DEP_1) | instskip(SKIP_1) | instid1(TRANS32_DEP_1)
	v_rcp_iflag_f32_e32 v3, v3
	v_nop
	v_mul_f32_e32 v3, 0x4f7ffffe, v3
	s_delay_alu instid0(VALU_DEP_1) | instskip(NEXT) | instid1(VALU_DEP_1)
	v_cvt_u32_f32_e32 v3, v3
	v_mul_lo_u32 v7, s2, v3
	s_delay_alu instid0(VALU_DEP_1) | instskip(NEXT) | instid1(VALU_DEP_1)
	v_mul_hi_u32 v7, v3, v7
	v_add_nc_u32_e32 v3, v3, v7
	s_delay_alu instid0(VALU_DEP_1) | instskip(NEXT) | instid1(VALU_DEP_1)
	v_mul_hi_u32 v3, v6, v3
	v_mul_lo_u32 v7, v3, s20
	s_delay_alu instid0(VALU_DEP_1) | instskip(SKIP_1) | instid1(VALU_DEP_2)
	v_sub_nc_u32_e32 v6, v6, v7
	v_add_nc_u32_e32 v7, 1, v3
	v_subrev_nc_u32_e32 v8, s20, v6
	v_cmp_le_u32_e32 vcc_lo, s20, v6
	s_delay_alu instid0(VALU_DEP_2) | instskip(NEXT) | instid1(VALU_DEP_1)
	v_dual_cndmask_b32 v6, v6, v8 :: v_dual_cndmask_b32 v3, v3, v7
	v_cmp_le_u32_e32 vcc_lo, s20, v6
	s_delay_alu instid0(VALU_DEP_2) | instskip(NEXT) | instid1(VALU_DEP_1)
	v_add_nc_u32_e32 v7, 1, v3
	v_cndmask_b32_e32 v8, v3, v7, vcc_lo
	s_branch .LBB11_2
.LBB11_16:
	s_endpgm
	.section	.rodata,"a",@progbits
	.p2align	6, 0x0
	.amdhsa_kernel _ZN2at4cuda17kernelHistogram1DIdhlLi1ELi2ELin1ELNS0_23CUDAHistogramMemoryTypeE1EZNS0_21CUDA_tensor_histogramIdhLb1EEEbNS_6TensorES4_S4_lNS_14AccumulateTypeIT0_Lb1EE4typeES8_NS0_13TensorArgTypeES9_S9_EUllE0_EEvNS0_6detail10TensorInfoIT_T1_EESF_NSC_IKS6_SE_EElS8_S8_SE_T6_
		.amdhsa_group_segment_fixed_size 0
		.amdhsa_private_segment_fixed_size 0
		.amdhsa_kernarg_size 1544
		.amdhsa_user_sgpr_count 2
		.amdhsa_user_sgpr_dispatch_ptr 0
		.amdhsa_user_sgpr_queue_ptr 0
		.amdhsa_user_sgpr_kernarg_segment_ptr 1
		.amdhsa_user_sgpr_dispatch_id 0
		.amdhsa_user_sgpr_kernarg_preload_length 0
		.amdhsa_user_sgpr_kernarg_preload_offset 0
		.amdhsa_user_sgpr_private_segment_size 0
		.amdhsa_wavefront_size32 1
		.amdhsa_uses_dynamic_stack 0
		.amdhsa_enable_private_segment 0
		.amdhsa_system_sgpr_workgroup_id_x 1
		.amdhsa_system_sgpr_workgroup_id_y 0
		.amdhsa_system_sgpr_workgroup_id_z 0
		.amdhsa_system_sgpr_workgroup_info 0
		.amdhsa_system_vgpr_workitem_id 0
		.amdhsa_next_free_vgpr 24
		.amdhsa_next_free_sgpr 51
		.amdhsa_named_barrier_count 0
		.amdhsa_reserve_vcc 1
		.amdhsa_float_round_mode_32 0
		.amdhsa_float_round_mode_16_64 0
		.amdhsa_float_denorm_mode_32 3
		.amdhsa_float_denorm_mode_16_64 3
		.amdhsa_fp16_overflow 0
		.amdhsa_memory_ordered 1
		.amdhsa_forward_progress 1
		.amdhsa_inst_pref_size 16
		.amdhsa_round_robin_scheduling 0
		.amdhsa_exception_fp_ieee_invalid_op 0
		.amdhsa_exception_fp_denorm_src 0
		.amdhsa_exception_fp_ieee_div_zero 0
		.amdhsa_exception_fp_ieee_overflow 0
		.amdhsa_exception_fp_ieee_underflow 0
		.amdhsa_exception_fp_ieee_inexact 0
		.amdhsa_exception_int_div_zero 0
	.end_amdhsa_kernel
	.section	.text._ZN2at4cuda17kernelHistogram1DIdhlLi1ELi2ELin1ELNS0_23CUDAHistogramMemoryTypeE1EZNS0_21CUDA_tensor_histogramIdhLb1EEEbNS_6TensorES4_S4_lNS_14AccumulateTypeIT0_Lb1EE4typeES8_NS0_13TensorArgTypeES9_S9_EUllE0_EEvNS0_6detail10TensorInfoIT_T1_EESF_NSC_IKS6_SE_EElS8_S8_SE_T6_,"axG",@progbits,_ZN2at4cuda17kernelHistogram1DIdhlLi1ELi2ELin1ELNS0_23CUDAHistogramMemoryTypeE1EZNS0_21CUDA_tensor_histogramIdhLb1EEEbNS_6TensorES4_S4_lNS_14AccumulateTypeIT0_Lb1EE4typeES8_NS0_13TensorArgTypeES9_S9_EUllE0_EEvNS0_6detail10TensorInfoIT_T1_EESF_NSC_IKS6_SE_EElS8_S8_SE_T6_,comdat
.Lfunc_end11:
	.size	_ZN2at4cuda17kernelHistogram1DIdhlLi1ELi2ELin1ELNS0_23CUDAHistogramMemoryTypeE1EZNS0_21CUDA_tensor_histogramIdhLb1EEEbNS_6TensorES4_S4_lNS_14AccumulateTypeIT0_Lb1EE4typeES8_NS0_13TensorArgTypeES9_S9_EUllE0_EEvNS0_6detail10TensorInfoIT_T1_EESF_NSC_IKS6_SE_EElS8_S8_SE_T6_, .Lfunc_end11-_ZN2at4cuda17kernelHistogram1DIdhlLi1ELi2ELin1ELNS0_23CUDAHistogramMemoryTypeE1EZNS0_21CUDA_tensor_histogramIdhLb1EEEbNS_6TensorES4_S4_lNS_14AccumulateTypeIT0_Lb1EE4typeES8_NS0_13TensorArgTypeES9_S9_EUllE0_EEvNS0_6detail10TensorInfoIT_T1_EESF_NSC_IKS6_SE_EElS8_S8_SE_T6_
                                        ; -- End function
	.set _ZN2at4cuda17kernelHistogram1DIdhlLi1ELi2ELin1ELNS0_23CUDAHistogramMemoryTypeE1EZNS0_21CUDA_tensor_histogramIdhLb1EEEbNS_6TensorES4_S4_lNS_14AccumulateTypeIT0_Lb1EE4typeES8_NS0_13TensorArgTypeES9_S9_EUllE0_EEvNS0_6detail10TensorInfoIT_T1_EESF_NSC_IKS6_SE_EElS8_S8_SE_T6_.num_vgpr, 24
	.set _ZN2at4cuda17kernelHistogram1DIdhlLi1ELi2ELin1ELNS0_23CUDAHistogramMemoryTypeE1EZNS0_21CUDA_tensor_histogramIdhLb1EEEbNS_6TensorES4_S4_lNS_14AccumulateTypeIT0_Lb1EE4typeES8_NS0_13TensorArgTypeES9_S9_EUllE0_EEvNS0_6detail10TensorInfoIT_T1_EESF_NSC_IKS6_SE_EElS8_S8_SE_T6_.num_agpr, 0
	.set _ZN2at4cuda17kernelHistogram1DIdhlLi1ELi2ELin1ELNS0_23CUDAHistogramMemoryTypeE1EZNS0_21CUDA_tensor_histogramIdhLb1EEEbNS_6TensorES4_S4_lNS_14AccumulateTypeIT0_Lb1EE4typeES8_NS0_13TensorArgTypeES9_S9_EUllE0_EEvNS0_6detail10TensorInfoIT_T1_EESF_NSC_IKS6_SE_EElS8_S8_SE_T6_.numbered_sgpr, 51
	.set _ZN2at4cuda17kernelHistogram1DIdhlLi1ELi2ELin1ELNS0_23CUDAHistogramMemoryTypeE1EZNS0_21CUDA_tensor_histogramIdhLb1EEEbNS_6TensorES4_S4_lNS_14AccumulateTypeIT0_Lb1EE4typeES8_NS0_13TensorArgTypeES9_S9_EUllE0_EEvNS0_6detail10TensorInfoIT_T1_EESF_NSC_IKS6_SE_EElS8_S8_SE_T6_.num_named_barrier, 0
	.set _ZN2at4cuda17kernelHistogram1DIdhlLi1ELi2ELin1ELNS0_23CUDAHistogramMemoryTypeE1EZNS0_21CUDA_tensor_histogramIdhLb1EEEbNS_6TensorES4_S4_lNS_14AccumulateTypeIT0_Lb1EE4typeES8_NS0_13TensorArgTypeES9_S9_EUllE0_EEvNS0_6detail10TensorInfoIT_T1_EESF_NSC_IKS6_SE_EElS8_S8_SE_T6_.private_seg_size, 0
	.set _ZN2at4cuda17kernelHistogram1DIdhlLi1ELi2ELin1ELNS0_23CUDAHistogramMemoryTypeE1EZNS0_21CUDA_tensor_histogramIdhLb1EEEbNS_6TensorES4_S4_lNS_14AccumulateTypeIT0_Lb1EE4typeES8_NS0_13TensorArgTypeES9_S9_EUllE0_EEvNS0_6detail10TensorInfoIT_T1_EESF_NSC_IKS6_SE_EElS8_S8_SE_T6_.uses_vcc, 1
	.set _ZN2at4cuda17kernelHistogram1DIdhlLi1ELi2ELin1ELNS0_23CUDAHistogramMemoryTypeE1EZNS0_21CUDA_tensor_histogramIdhLb1EEEbNS_6TensorES4_S4_lNS_14AccumulateTypeIT0_Lb1EE4typeES8_NS0_13TensorArgTypeES9_S9_EUllE0_EEvNS0_6detail10TensorInfoIT_T1_EESF_NSC_IKS6_SE_EElS8_S8_SE_T6_.uses_flat_scratch, 0
	.set _ZN2at4cuda17kernelHistogram1DIdhlLi1ELi2ELin1ELNS0_23CUDAHistogramMemoryTypeE1EZNS0_21CUDA_tensor_histogramIdhLb1EEEbNS_6TensorES4_S4_lNS_14AccumulateTypeIT0_Lb1EE4typeES8_NS0_13TensorArgTypeES9_S9_EUllE0_EEvNS0_6detail10TensorInfoIT_T1_EESF_NSC_IKS6_SE_EElS8_S8_SE_T6_.has_dyn_sized_stack, 0
	.set _ZN2at4cuda17kernelHistogram1DIdhlLi1ELi2ELin1ELNS0_23CUDAHistogramMemoryTypeE1EZNS0_21CUDA_tensor_histogramIdhLb1EEEbNS_6TensorES4_S4_lNS_14AccumulateTypeIT0_Lb1EE4typeES8_NS0_13TensorArgTypeES9_S9_EUllE0_EEvNS0_6detail10TensorInfoIT_T1_EESF_NSC_IKS6_SE_EElS8_S8_SE_T6_.has_recursion, 0
	.set _ZN2at4cuda17kernelHistogram1DIdhlLi1ELi2ELin1ELNS0_23CUDAHistogramMemoryTypeE1EZNS0_21CUDA_tensor_histogramIdhLb1EEEbNS_6TensorES4_S4_lNS_14AccumulateTypeIT0_Lb1EE4typeES8_NS0_13TensorArgTypeES9_S9_EUllE0_EEvNS0_6detail10TensorInfoIT_T1_EESF_NSC_IKS6_SE_EElS8_S8_SE_T6_.has_indirect_call, 0
	.section	.AMDGPU.csdata,"",@progbits
; Kernel info:
; codeLenInByte = 2048
; TotalNumSgprs: 53
; NumVgprs: 24
; ScratchSize: 0
; MemoryBound: 0
; FloatMode: 240
; IeeeMode: 1
; LDSByteSize: 0 bytes/workgroup (compile time only)
; SGPRBlocks: 0
; VGPRBlocks: 1
; NumSGPRsForWavesPerEU: 53
; NumVGPRsForWavesPerEU: 24
; NamedBarCnt: 0
; Occupancy: 16
; WaveLimiterHint : 1
; COMPUTE_PGM_RSRC2:SCRATCH_EN: 0
; COMPUTE_PGM_RSRC2:USER_SGPR: 2
; COMPUTE_PGM_RSRC2:TRAP_HANDLER: 0
; COMPUTE_PGM_RSRC2:TGID_X_EN: 1
; COMPUTE_PGM_RSRC2:TGID_Y_EN: 0
; COMPUTE_PGM_RSRC2:TGID_Z_EN: 0
; COMPUTE_PGM_RSRC2:TIDIG_COMP_CNT: 0
	.section	.text._ZN2at4cuda17kernelHistogram1DIfalLi1ELi2ELin1ELNS0_23CUDAHistogramMemoryTypeE0EZNS0_21CUDA_tensor_histogramIfaLb1EEEbNS_6TensorES4_S4_lNS_14AccumulateTypeIT0_Lb1EE4typeES8_NS0_13TensorArgTypeES9_S9_EUllE_EEvNS0_6detail10TensorInfoIT_T1_EESF_NSC_IKS6_SE_EElS8_S8_SE_T6_,"axG",@progbits,_ZN2at4cuda17kernelHistogram1DIfalLi1ELi2ELin1ELNS0_23CUDAHistogramMemoryTypeE0EZNS0_21CUDA_tensor_histogramIfaLb1EEEbNS_6TensorES4_S4_lNS_14AccumulateTypeIT0_Lb1EE4typeES8_NS0_13TensorArgTypeES9_S9_EUllE_EEvNS0_6detail10TensorInfoIT_T1_EESF_NSC_IKS6_SE_EElS8_S8_SE_T6_,comdat
	.protected	_ZN2at4cuda17kernelHistogram1DIfalLi1ELi2ELin1ELNS0_23CUDAHistogramMemoryTypeE0EZNS0_21CUDA_tensor_histogramIfaLb1EEEbNS_6TensorES4_S4_lNS_14AccumulateTypeIT0_Lb1EE4typeES8_NS0_13TensorArgTypeES9_S9_EUllE_EEvNS0_6detail10TensorInfoIT_T1_EESF_NSC_IKS6_SE_EElS8_S8_SE_T6_ ; -- Begin function _ZN2at4cuda17kernelHistogram1DIfalLi1ELi2ELin1ELNS0_23CUDAHistogramMemoryTypeE0EZNS0_21CUDA_tensor_histogramIfaLb1EEEbNS_6TensorES4_S4_lNS_14AccumulateTypeIT0_Lb1EE4typeES8_NS0_13TensorArgTypeES9_S9_EUllE_EEvNS0_6detail10TensorInfoIT_T1_EESF_NSC_IKS6_SE_EElS8_S8_SE_T6_
	.globl	_ZN2at4cuda17kernelHistogram1DIfalLi1ELi2ELin1ELNS0_23CUDAHistogramMemoryTypeE0EZNS0_21CUDA_tensor_histogramIfaLb1EEEbNS_6TensorES4_S4_lNS_14AccumulateTypeIT0_Lb1EE4typeES8_NS0_13TensorArgTypeES9_S9_EUllE_EEvNS0_6detail10TensorInfoIT_T1_EESF_NSC_IKS6_SE_EElS8_S8_SE_T6_
	.p2align	8
	.type	_ZN2at4cuda17kernelHistogram1DIfalLi1ELi2ELin1ELNS0_23CUDAHistogramMemoryTypeE0EZNS0_21CUDA_tensor_histogramIfaLb1EEEbNS_6TensorES4_S4_lNS_14AccumulateTypeIT0_Lb1EE4typeES8_NS0_13TensorArgTypeES9_S9_EUllE_EEvNS0_6detail10TensorInfoIT_T1_EESF_NSC_IKS6_SE_EElS8_S8_SE_T6_,@function
_ZN2at4cuda17kernelHistogram1DIfalLi1ELi2ELin1ELNS0_23CUDAHistogramMemoryTypeE0EZNS0_21CUDA_tensor_histogramIfaLb1EEEbNS_6TensorES4_S4_lNS_14AccumulateTypeIT0_Lb1EE4typeES8_NS0_13TensorArgTypeES9_S9_EUllE_EEvNS0_6detail10TensorInfoIT_T1_EESF_NSC_IKS6_SE_EElS8_S8_SE_T6_: ; @_ZN2at4cuda17kernelHistogram1DIfalLi1ELi2ELin1ELNS0_23CUDAHistogramMemoryTypeE0EZNS0_21CUDA_tensor_histogramIfaLb1EEEbNS_6TensorES4_S4_lNS_14AccumulateTypeIT0_Lb1EE4typeES8_NS0_13TensorArgTypeES9_S9_EUllE_EEvNS0_6detail10TensorInfoIT_T1_EESF_NSC_IKS6_SE_EElS8_S8_SE_T6_
; %bb.0:
	s_clause 0x2
	s_load_b128 s[12:15], s[0:1], 0x0
	s_load_b64 s[16:17], s[0:1], 0x500
	s_load_b256 s[4:11], s[0:1], 0x4e0
	v_mov_b32_e32 v1, 0
	s_add_nc_u64 s[26:27], s[0:1], 0x6a0
	s_mov_b32 s3, exec_lo
                                        ; implicit-def: $sgpr18
	s_wait_kmcnt 0x0
	s_delay_alu instid0(VALU_DEP_1)
	v_cmp_gt_i64_e64 s2, s[14:15], v[0:1]
	v_cmpx_le_i64_e64 s[14:15], v[0:1]
	s_xor_b32 s3, exec_lo, s3
; %bb.1:
	s_load_b32 s18, s[26:27], 0xc
; %bb.2:
	s_or_saveexec_b32 s3, s3
	s_wait_kmcnt 0x0
	v_mov_b32_e32 v4, s18
	s_xor_b32 exec_lo, exec_lo, s3
	s_cbranch_execz .LBB12_12
; %bb.3:
	v_dual_mov_b32 v5, 0 :: v_dual_add_nc_u32 v4, 1, v0
	s_load_b32 s20, s[26:27], 0xc
	s_mov_b32 s22, -1
	s_delay_alu instid0(VALU_DEP_1) | instskip(SKIP_2) | instid1(SALU_CYCLE_1)
	v_max_i64 v[2:3], s[14:15], v[4:5]
	s_wait_kmcnt 0x0
	s_and_b32 s18, s20, 0xffff
	s_cmp_eq_u32 s18, 1
	s_cselect_b32 s19, -1, 0
	s_delay_alu instid0(VALU_DEP_1) | instskip(SKIP_1) | instid1(VALU_DEP_2)
	v_sub_nc_u64_e32 v[6:7], v[2:3], v[0:1]
	v_mov_b64_e32 v[2:3], v[0:1]
	v_cmp_lt_u64_e32 vcc_lo, 1, v[6:7]
	s_and_b32 s21, vcc_lo, s19
	s_delay_alu instid0(SALU_CYCLE_1)
	s_and_saveexec_b32 s19, s21
	s_cbranch_execz .LBB12_7
; %bb.4:
	v_dual_mov_b32 v3, v7 :: v_dual_bitop2_b32 v2, -2, v6 bitop3:0x40
	v_lshl_add_u32 v4, v0, 2, 0
	s_mov_b32 s21, 0
	s_delay_alu instid0(VALU_DEP_2)
	v_mov_b64_e32 v[8:9], v[2:3]
.LBB12_5:                               ; =>This Inner Loop Header: Depth=1
	s_delay_alu instid0(VALU_DEP_1) | instskip(SKIP_4) | instid1(SALU_CYCLE_1)
	v_add_nc_u64_e32 v[8:9], -2, v[8:9]
	ds_store_2addr_b32 v4, v5, v5 offset1:1
	v_add_nc_u32_e32 v4, 8, v4
	v_cmp_eq_u64_e32 vcc_lo, 0, v[8:9]
	s_or_b32 s21, vcc_lo, s21
	s_and_not1_b32 exec_lo, exec_lo, s21
	s_cbranch_execnz .LBB12_5
; %bb.6:
	s_or_b32 exec_lo, exec_lo, s21
	v_cmp_ne_u64_e32 vcc_lo, v[6:7], v[2:3]
	v_add_nc_u64_e32 v[2:3], v[2:3], v[0:1]
	s_or_not1_b32 s22, vcc_lo, exec_lo
.LBB12_7:
	s_or_b32 exec_lo, exec_lo, s19
	v_mov_b32_e32 v4, 1
	s_and_saveexec_b32 s21, s22
	s_cbranch_execz .LBB12_11
; %bb.8:
	s_delay_alu instid0(VALU_DEP_2)
	v_lshl_add_u32 v4, v2, 2, 0
	v_mov_b32_e32 v5, 0
	s_mov_b32 s19, 0
	s_lshl_b32 s23, s18, 2
	s_mov_b32 s22, s19
.LBB12_9:                               ; =>This Inner Loop Header: Depth=1
	v_add_nc_u64_e32 v[2:3], s[18:19], v[2:3]
	ds_store_b32 v4, v5
	v_add_nc_u32_e32 v4, s23, v4
	v_cmp_le_i64_e32 vcc_lo, s[14:15], v[2:3]
	s_or_b32 s22, vcc_lo, s22
	s_delay_alu instid0(SALU_CYCLE_1)
	s_and_not1_b32 exec_lo, exec_lo, s22
	s_cbranch_execnz .LBB12_9
; %bb.10:
	s_or_b32 exec_lo, exec_lo, s22
	v_mov_b32_e32 v4, s20
.LBB12_11:
	s_or_b32 exec_lo, exec_lo, s21
.LBB12_12:
	s_delay_alu instid0(SALU_CYCLE_1)
	s_or_b32 exec_lo, exec_lo, s3
	s_bfe_u32 s3, ttmp6, 0x4000c
	s_and_b32 s18, ttmp6, 15
	s_add_co_i32 s3, s3, 1
	s_getreg_b32 s19, hwreg(HW_REG_IB_STS2, 6, 4)
	s_mul_i32 s3, ttmp9, s3
	v_and_b32_e32 v2, 0xffff, v4
	s_add_co_i32 s18, s18, s3
	s_cmp_eq_u32 s19, 0
	v_mov_b32_e32 v6, 0
	s_cselect_b32 s3, ttmp9, s18
	s_mov_b32 s19, 0
	v_mad_u32 v4, s3, v2, v0
	s_mov_b32 s33, exec_lo
	v_mov_b32_e32 v5, v6
	s_wait_dscnt 0x0
	s_barrier_signal -1
	s_barrier_wait -1
	s_delay_alu instid0(VALU_DEP_1)
	v_cmpx_gt_i64_e64 s[10:11], v[4:5]
	s_cbranch_execz .LBB12_28
; %bb.13:
	s_load_b32 s3, s[0:1], 0x4d8
	s_load_b32 s18, s[26:27], 0x0
	s_clause 0x2
	s_load_b64 s[20:21], s[0:1], 0x5d0
	s_load_b64 s[22:23], s[0:1], 0x410
	;; [unrolled: 1-line block ×3, first 2 shown]
	s_add_nc_u64 s[30:31], s[0:1], 0x340
	v_mov_b32_e32 v9, v6
	s_wait_xcnt 0x0
	s_sub_nc_u64 s[26:27], s[8:9], s[6:7]
	s_mov_b64 s[28:29], 0xffffffff
	s_mov_b32 s46, 0
	s_wait_kmcnt 0x0
	s_cmp_gt_i32 s3, 1
	v_mul_lo_u32 v8, s18, v2
	s_cselect_b32 s44, -1, 0
	s_add_co_i32 s18, s3, -1
	s_add_co_i32 s45, s3, 1
	s_lshl_b64 s[34:35], s[18:19], 3
	s_delay_alu instid0(SALU_CYCLE_1)
	s_add_nc_u64 s[30:31], s[30:31], s[34:35]
	s_ashr_i32 s34, s27, 31
	s_add_nc_u64 s[30:31], s[30:31], 8
	s_branch .LBB12_16
.LBB12_14:                              ;   in Loop: Header=BB12_16 Depth=1
	s_or_b32 exec_lo, exec_lo, s3
	v_mul_u64_e32 v[10:11], s[20:21], v[4:5]
	s_delay_alu instid0(VALU_DEP_2) | instskip(NEXT) | instid1(VALU_DEP_1)
	v_ashrrev_i32_e32 v13, 31, v12
	v_cmp_eq_u64_e32 vcc_lo, s[4:5], v[12:13]
	v_subrev_co_ci_u32_e64 v7, null, 0, v12, vcc_lo
	s_delay_alu instid0(VALU_DEP_1)
	v_lshl_add_u32 v7, v7, 2, 0
	v_lshl_add_u64 v[10:11], v[10:11], 2, s[16:17]
	global_load_b32 v3, v[10:11], off
	s_wait_loadcnt 0x0
	ds_add_f32 v7, v3
.LBB12_15:                              ;   in Loop: Header=BB12_16 Depth=1
	s_wait_xcnt 0x0
	s_or_b32 exec_lo, exec_lo, s38
	v_add_nc_u64_e32 v[4:5], v[4:5], v[8:9]
	s_delay_alu instid0(VALU_DEP_1) | instskip(SKIP_1) | instid1(SALU_CYCLE_1)
	v_cmp_le_i64_e32 vcc_lo, s[10:11], v[4:5]
	s_or_b32 s46, vcc_lo, s46
	s_and_not1_b32 exec_lo, exec_lo, s46
	s_cbranch_execz .LBB12_28
.LBB12_16:                              ; =>This Loop Header: Depth=1
                                        ;     Child Loop BB12_17 Depth 2
	v_mov_b64_e32 v[10:11], 0
	v_mov_b64_e32 v[12:13], v[4:5]
	;; [unrolled: 1-line block ×3, first 2 shown]
	s_and_not1_b32 vcc_lo, exec_lo, s44
	s_mov_b64 s[36:37], s[30:31]
	s_mov_b32 s35, s45
	s_cbranch_vccnz .LBB12_23
.LBB12_17:                              ;   Parent Loop BB12_16 Depth=1
                                        ; =>  This Inner Loop Header: Depth=2
	s_load_b64 s[38:39], s[36:37], 0x0
                                        ; implicit-def: $vgpr14_vgpr15
	s_mov_b32 s3, exec_lo
	s_wait_kmcnt 0x0
	s_delay_alu instid0(VALU_DEP_1) | instskip(NEXT) | instid1(VALU_DEP_1)
	v_or_b32_e32 v7, s39, v13
	v_cmpx_ne_u64_e32 0, v[6:7]
	s_xor_b32 s47, exec_lo, s3
	s_cbranch_execz .LBB12_19
; %bb.18:                               ;   in Loop: Header=BB12_17 Depth=2
	s_ashr_i32 s40, s39, 31
	v_dual_mov_b32 v19, v6 :: v_dual_ashrrev_i32 v14, 31, v13
	s_mov_b32 s41, s40
	v_mov_b32_e32 v27, v6
	s_add_nc_u64 s[42:43], s[38:39], s[40:41]
	s_delay_alu instid0(VALU_DEP_2) | instskip(SKIP_1) | instid1(SALU_CYCLE_1)
	v_mov_b32_e32 v15, v14
	s_xor_b64 s[42:43], s[42:43], s[40:41]
	s_cvt_f32_u32 s3, s42
	s_cvt_f32_u32 s18, s43
	s_sub_nc_u64 s[50:51], 0, s[42:43]
	v_add_nc_u64_e32 v[16:17], v[12:13], v[14:15]
	v_mov_b32_e32 v23, v6
	s_fmamk_f32 s3, s18, 0x4f800000, s3
	s_delay_alu instid0(SALU_CYCLE_3) | instskip(NEXT) | instid1(VALU_DEP_2)
	v_s_rcp_f32 s3, s3
	v_xor_b32_e32 v18, v16, v14
	s_delay_alu instid0(VALU_DEP_3) | instskip(SKIP_1) | instid1(TRANS32_DEP_1)
	v_xor_b32_e32 v22, v17, v14
	v_xor_b32_e32 v14, s40, v14
	s_mul_f32 s3, s3, 0x5f7ffffc
	s_delay_alu instid0(SALU_CYCLE_3) | instskip(NEXT) | instid1(SALU_CYCLE_3)
	s_mul_f32 s18, s3, 0x2f800000
	s_trunc_f32 s18, s18
	s_delay_alu instid0(SALU_CYCLE_3) | instskip(SKIP_1) | instid1(SALU_CYCLE_2)
	s_fmamk_f32 s3, s18, 0xcf800000, s3
	s_cvt_u32_f32 s49, s18
	s_cvt_u32_f32 s48, s3
	s_delay_alu instid0(SALU_CYCLE_3) | instskip(NEXT) | instid1(SALU_CYCLE_1)
	s_mul_u64 s[52:53], s[50:51], s[48:49]
	s_mul_hi_u32 s55, s48, s53
	s_mul_i32 s54, s48, s53
	s_mul_hi_u32 s18, s48, s52
	s_mul_i32 s41, s49, s52
	s_add_nc_u64 s[54:55], s[18:19], s[54:55]
	s_mul_hi_u32 s3, s49, s52
	s_mul_hi_u32 s56, s49, s53
	s_add_co_u32 s18, s54, s41
	s_add_co_ci_u32 s18, s55, s3
	s_mul_i32 s52, s49, s53
	s_add_co_ci_u32 s53, s56, 0
	s_delay_alu instid0(SALU_CYCLE_1) | instskip(NEXT) | instid1(SALU_CYCLE_1)
	s_add_nc_u64 s[52:53], s[18:19], s[52:53]
	s_add_co_u32 s48, s48, s52
	s_cselect_b32 s3, -1, 0
	s_delay_alu instid0(SALU_CYCLE_1) | instskip(SKIP_1) | instid1(SALU_CYCLE_1)
	s_cmp_lg_u32 s3, 0
	s_add_co_ci_u32 s49, s49, s53
	s_mul_u64 s[50:51], s[50:51], s[48:49]
	s_delay_alu instid0(SALU_CYCLE_1)
	s_mul_hi_u32 s53, s48, s51
	s_mul_i32 s52, s48, s51
	s_mul_hi_u32 s18, s48, s50
	s_mul_i32 s41, s49, s50
	s_add_nc_u64 s[52:53], s[18:19], s[52:53]
	s_mul_hi_u32 s3, s49, s50
	s_mul_hi_u32 s54, s49, s51
	s_add_co_u32 s18, s52, s41
	s_add_co_ci_u32 s18, s53, s3
	s_mul_i32 s50, s49, s51
	s_add_co_ci_u32 s51, s54, 0
	s_delay_alu instid0(SALU_CYCLE_1) | instskip(NEXT) | instid1(SALU_CYCLE_1)
	s_add_nc_u64 s[50:51], s[18:19], s[50:51]
	s_add_co_u32 s48, s48, s50
	s_cselect_b32 s3, -1, 0
	v_mul_hi_u32 v26, v18, s48
	s_cmp_lg_u32 s3, 0
	s_add_co_ci_u32 s18, s49, s51
	s_and_b64 s[50:51], s[48:49], s[28:29]
	v_mul_u64_e32 v[20:21], s[18:19], v[18:19]
	v_mul_u64_e32 v[16:17], s[50:51], v[22:23]
	;; [unrolled: 1-line block ×3, first 2 shown]
	s_delay_alu instid0(VALU_DEP_3) | instskip(NEXT) | instid1(VALU_DEP_1)
	v_add_nc_u64_e32 v[20:21], v[26:27], v[20:21]
	v_add_co_u32 v3, vcc_lo, v20, v16
	s_delay_alu instid0(VALU_DEP_2) | instskip(NEXT) | instid1(VALU_DEP_4)
	v_add_co_ci_u32_e32 v26, vcc_lo, v21, v17, vcc_lo
	v_add_co_ci_u32_e32 v25, vcc_lo, 0, v25, vcc_lo
	s_delay_alu instid0(VALU_DEP_1) | instskip(NEXT) | instid1(VALU_DEP_1)
	v_add_nc_u64_e32 v[16:17], v[26:27], v[24:25]
	v_mul_u64_e32 v[20:21], s[42:43], v[16:17]
	s_delay_alu instid0(VALU_DEP_1) | instskip(NEXT) | instid1(VALU_DEP_2)
	v_sub_nc_u32_e32 v3, v22, v21
	v_sub_co_u32 v7, vcc_lo, v18, v20
	s_delay_alu instid0(VALU_DEP_1) | instskip(NEXT) | instid1(VALU_DEP_3)
	v_sub_co_ci_u32_e64 v22, null, v22, v21, vcc_lo
	v_subrev_co_ci_u32_e64 v3, null, s43, v3, vcc_lo
	s_delay_alu instid0(VALU_DEP_3) | instskip(SKIP_1) | instid1(VALU_DEP_3)
	v_sub_co_u32 v15, s3, v7, s42
	v_add_nc_u64_e32 v[20:21], 1, v[16:17]
	v_subrev_co_ci_u32_e64 v3, null, 0, v3, s3
	s_delay_alu instid0(VALU_DEP_3) | instskip(SKIP_1) | instid1(VALU_DEP_3)
	v_cmp_le_u32_e32 vcc_lo, s42, v15
	v_cndmask_b32_e64 v15, 0, -1, vcc_lo
	v_cmp_le_u32_e32 vcc_lo, s43, v3
	v_cndmask_b32_e64 v18, 0, -1, vcc_lo
	;; [unrolled: 2-line block ×4, first 2 shown]
	v_cmp_eq_u32_e32 vcc_lo, s43, v3
	v_cndmask_b32_e32 v3, v18, v15, vcc_lo
	v_cmp_eq_u32_e32 vcc_lo, s43, v22
	v_add_nc_u64_e32 v[18:19], 2, v[16:17]
	v_dual_mov_b32 v15, v14 :: v_dual_cndmask_b32 v7, v23, v7, vcc_lo
	s_delay_alu instid0(VALU_DEP_4) | instskip(NEXT) | instid1(VALU_DEP_2)
	v_cmp_ne_u32_e32 vcc_lo, 0, v3
	v_cmp_ne_u32_e64 s3, 0, v7
	s_delay_alu instid0(VALU_DEP_4) | instskip(NEXT) | instid1(VALU_DEP_1)
	v_dual_cndmask_b32 v3, v21, v19, vcc_lo :: v_dual_cndmask_b32 v7, v20, v18, vcc_lo
	v_cndmask_b32_e64 v7, v16, v7, s3
	s_delay_alu instid0(VALU_DEP_1) | instskip(NEXT) | instid1(VALU_DEP_1)
	v_dual_cndmask_b32 v3, v17, v3, s3 :: v_dual_bitop2_b32 v16, v7, v14 bitop3:0x14
	v_xor_b32_e32 v17, v3, v14
	s_delay_alu instid0(VALU_DEP_1)
	v_sub_nc_u64_e32 v[14:15], v[16:17], v[14:15]
.LBB12_19:                              ;   in Loop: Header=BB12_17 Depth=2
	s_and_not1_saveexec_b32 s3, s47
	s_cbranch_execz .LBB12_21
; %bb.20:                               ;   in Loop: Header=BB12_17 Depth=2
	v_cvt_f32_u32_e32 v3, s38
	s_sub_co_i32 s18, 0, s38
	s_delay_alu instid0(VALU_DEP_1) | instskip(SKIP_1) | instid1(TRANS32_DEP_1)
	v_rcp_iflag_f32_e32 v3, v3
	v_nop
	v_mul_f32_e32 v3, 0x4f7ffffe, v3
	s_delay_alu instid0(VALU_DEP_1) | instskip(NEXT) | instid1(VALU_DEP_1)
	v_cvt_u32_f32_e32 v3, v3
	v_mul_lo_u32 v7, s18, v3
	s_delay_alu instid0(VALU_DEP_1) | instskip(NEXT) | instid1(VALU_DEP_1)
	v_mul_hi_u32 v7, v3, v7
	v_add_nc_u32_e32 v3, v3, v7
	s_delay_alu instid0(VALU_DEP_1) | instskip(NEXT) | instid1(VALU_DEP_1)
	v_mul_hi_u32 v3, v12, v3
	v_mul_lo_u32 v7, v3, s38
	v_add_nc_u32_e32 v14, 1, v3
	s_delay_alu instid0(VALU_DEP_2) | instskip(NEXT) | instid1(VALU_DEP_1)
	v_sub_nc_u32_e32 v7, v12, v7
	v_subrev_nc_u32_e32 v15, s38, v7
	v_cmp_le_u32_e32 vcc_lo, s38, v7
	s_delay_alu instid0(VALU_DEP_2) | instskip(SKIP_1) | instid1(VALU_DEP_2)
	v_dual_cndmask_b32 v7, v7, v15, vcc_lo :: v_dual_mov_b32 v15, v6
	v_cndmask_b32_e32 v3, v3, v14, vcc_lo
	v_cmp_le_u32_e32 vcc_lo, s38, v7
	s_delay_alu instid0(VALU_DEP_2) | instskip(NEXT) | instid1(VALU_DEP_1)
	v_add_nc_u32_e32 v14, 1, v3
	v_cndmask_b32_e32 v14, v3, v14, vcc_lo
.LBB12_21:                              ;   in Loop: Header=BB12_17 Depth=2
	s_or_b32 exec_lo, exec_lo, s3
	s_delay_alu instid0(VALU_DEP_1)
	v_mul_u64_e32 v[16:17], s[38:39], v[14:15]
	s_load_b64 s[38:39], s[36:37], 0xc8
	s_add_co_i32 s35, s35, -1
	s_wait_xcnt 0x0
	s_add_nc_u64 s[36:37], s[36:37], -8
	s_cmp_gt_u32 s35, 2
	s_delay_alu instid0(VALU_DEP_1) | instskip(SKIP_1) | instid1(VALU_DEP_1)
	v_sub_nc_u64_e32 v[12:13], v[12:13], v[16:17]
	s_wait_kmcnt 0x0
	v_mad_nc_u64_u32 v[10:11], s38, v12, v[10:11]
	s_delay_alu instid0(VALU_DEP_1) | instskip(NEXT) | instid1(VALU_DEP_1)
	v_mad_u32 v3, s39, v12, v11
	v_mad_u32 v11, s38, v13, v3
	s_cbranch_scc0 .LBB12_23
; %bb.22:                               ;   in Loop: Header=BB12_17 Depth=2
	v_mov_b64_e32 v[12:13], v[14:15]
	s_branch .LBB12_17
.LBB12_23:                              ;   in Loop: Header=BB12_16 Depth=1
	s_delay_alu instid0(VALU_DEP_1) | instskip(NEXT) | instid1(VALU_DEP_1)
	v_mad_nc_u64_u32 v[12:13], s22, v14, s[24:25]
	v_mad_u32 v3, s23, v14, v13
	s_delay_alu instid0(VALU_DEP_1) | instskip(NEXT) | instid1(VALU_DEP_1)
	v_mad_u32 v13, s22, v15, v3
	v_add_nc_u64_e32 v[10:11], v[12:13], v[10:11]
	global_load_i8 v3, v[10:11], off
	s_wait_loadcnt 0x0
	s_wait_xcnt 0x0
	v_bfe_i32 v10, v3, 0, 16
	s_delay_alu instid0(VALU_DEP_1) | instskip(NEXT) | instid1(VALU_DEP_1)
	v_ashrrev_i32_e32 v11, 31, v10
	v_cmp_le_i64_e32 vcc_lo, s[6:7], v[10:11]
	v_cmp_ge_i64_e64 s3, s[8:9], v[10:11]
	s_and_b32 s3, vcc_lo, s3
	s_delay_alu instid0(SALU_CYCLE_1)
	s_and_saveexec_b32 s38, s3
	s_cbranch_execz .LBB12_15
; %bb.24:                               ;   in Loop: Header=BB12_16 Depth=1
	v_sub_nc_u64_e64 v[10:11], v[10:11], s[6:7]
                                        ; implicit-def: $vgpr12_vgpr13
	s_mov_b32 s3, exec_lo
	s_delay_alu instid0(VALU_DEP_1) | instskip(NEXT) | instid1(VALU_DEP_1)
	v_mul_u64_e32 v[10:11], s[4:5], v[10:11]
	v_or_b32_e32 v7, s27, v11
	s_delay_alu instid0(VALU_DEP_1)
	v_cmpx_ne_u64_e32 0, v[6:7]
	s_xor_b32 s39, exec_lo, s3
	s_cbranch_execz .LBB12_26
; %bb.25:                               ;   in Loop: Header=BB12_16 Depth=1
	s_mov_b32 s35, s34
	v_dual_mov_b32 v15, v6 :: v_dual_ashrrev_i32 v12, 31, v11
	s_add_nc_u64 s[36:37], s[26:27], s[34:35]
	v_mov_b32_e32 v23, v6
	s_xor_b64 s[36:37], s[36:37], s[34:35]
	s_delay_alu instid0(VALU_DEP_2) | instskip(SKIP_3) | instid1(VALU_DEP_1)
	v_mov_b32_e32 v13, v12
	s_cvt_f32_u32 s3, s36
	s_cvt_f32_u32 s18, s37
	s_sub_nc_u64 s[42:43], 0, s[36:37]
	v_add_nc_u64_e32 v[10:11], v[10:11], v[12:13]
	s_delay_alu instid0(SALU_CYCLE_1) | instskip(SKIP_1) | instid1(SALU_CYCLE_2)
	s_fmamk_f32 s3, s18, 0x4f800000, s3
	v_mov_b32_e32 v19, v6
	v_s_rcp_f32 s3, s3
	s_delay_alu instid0(VALU_DEP_2) | instskip(NEXT) | instid1(VALU_DEP_3)
	v_xor_b32_e32 v14, v10, v12
	v_xor_b32_e32 v18, v11, v12
	;; [unrolled: 1-line block ×3, first 2 shown]
	s_delay_alu instid0(TRANS32_DEP_1) | instskip(NEXT) | instid1(SALU_CYCLE_3)
	s_mul_f32 s3, s3, 0x5f7ffffc
	s_mul_f32 s18, s3, 0x2f800000
	s_delay_alu instid0(SALU_CYCLE_3) | instskip(NEXT) | instid1(SALU_CYCLE_3)
	s_trunc_f32 s18, s18
	s_fmamk_f32 s3, s18, 0xcf800000, s3
	s_cvt_u32_f32 s41, s18
	s_delay_alu instid0(SALU_CYCLE_2) | instskip(NEXT) | instid1(SALU_CYCLE_3)
	s_cvt_u32_f32 s40, s3
	s_mul_u64 s[48:49], s[42:43], s[40:41]
	s_delay_alu instid0(SALU_CYCLE_1)
	s_mul_hi_u32 s51, s40, s49
	s_mul_i32 s50, s40, s49
	s_mul_hi_u32 s18, s40, s48
	s_mul_i32 s35, s41, s48
	s_add_nc_u64 s[50:51], s[18:19], s[50:51]
	s_mul_hi_u32 s3, s41, s48
	s_mul_hi_u32 s47, s41, s49
	s_add_co_u32 s18, s50, s35
	s_add_co_ci_u32 s18, s51, s3
	s_mul_i32 s48, s41, s49
	s_add_co_ci_u32 s49, s47, 0
	s_delay_alu instid0(SALU_CYCLE_1) | instskip(NEXT) | instid1(SALU_CYCLE_1)
	s_add_nc_u64 s[48:49], s[18:19], s[48:49]
	s_add_co_u32 s40, s40, s48
	s_cselect_b32 s3, -1, 0
	s_delay_alu instid0(SALU_CYCLE_1) | instskip(SKIP_1) | instid1(SALU_CYCLE_1)
	s_cmp_lg_u32 s3, 0
	s_add_co_ci_u32 s41, s41, s49
	s_mul_u64 s[42:43], s[42:43], s[40:41]
	s_delay_alu instid0(SALU_CYCLE_1)
	s_mul_hi_u32 s49, s40, s43
	s_mul_i32 s48, s40, s43
	s_mul_hi_u32 s18, s40, s42
	s_mul_i32 s35, s41, s42
	s_add_nc_u64 s[48:49], s[18:19], s[48:49]
	s_mul_hi_u32 s3, s41, s42
	s_mul_hi_u32 s47, s41, s43
	s_add_co_u32 s18, s48, s35
	s_add_co_ci_u32 s18, s49, s3
	s_mul_i32 s42, s41, s43
	s_add_co_ci_u32 s43, s47, 0
	s_delay_alu instid0(SALU_CYCLE_1) | instskip(NEXT) | instid1(SALU_CYCLE_1)
	s_add_nc_u64 s[42:43], s[18:19], s[42:43]
	s_add_co_u32 s40, s40, s42
	s_cselect_b32 s3, -1, 0
	v_mul_hi_u32 v22, v14, s40
	s_cmp_lg_u32 s3, 0
	s_add_co_ci_u32 s18, s41, s43
	s_and_b64 s[42:43], s[40:41], s[28:29]
	v_mul_u64_e32 v[16:17], s[18:19], v[14:15]
	v_mul_u64_e32 v[10:11], s[42:43], v[18:19]
	;; [unrolled: 1-line block ×3, first 2 shown]
	s_delay_alu instid0(VALU_DEP_3) | instskip(NEXT) | instid1(VALU_DEP_1)
	v_add_nc_u64_e32 v[16:17], v[22:23], v[16:17]
	v_add_co_u32 v3, vcc_lo, v16, v10
	s_delay_alu instid0(VALU_DEP_2) | instskip(NEXT) | instid1(VALU_DEP_4)
	v_add_co_ci_u32_e32 v22, vcc_lo, v17, v11, vcc_lo
	v_add_co_ci_u32_e32 v21, vcc_lo, 0, v21, vcc_lo
	s_delay_alu instid0(VALU_DEP_1) | instskip(NEXT) | instid1(VALU_DEP_1)
	v_add_nc_u64_e32 v[10:11], v[22:23], v[20:21]
	v_mul_u64_e32 v[16:17], s[36:37], v[10:11]
	s_delay_alu instid0(VALU_DEP_1) | instskip(NEXT) | instid1(VALU_DEP_2)
	v_sub_nc_u32_e32 v3, v18, v17
	v_sub_co_u32 v7, vcc_lo, v14, v16
	s_delay_alu instid0(VALU_DEP_1) | instskip(NEXT) | instid1(VALU_DEP_3)
	v_sub_co_ci_u32_e64 v18, null, v18, v17, vcc_lo
	v_subrev_co_ci_u32_e64 v3, null, s37, v3, vcc_lo
	s_delay_alu instid0(VALU_DEP_3) | instskip(SKIP_1) | instid1(VALU_DEP_3)
	v_sub_co_u32 v13, s3, v7, s36
	v_add_nc_u64_e32 v[16:17], 1, v[10:11]
	v_subrev_co_ci_u32_e64 v3, null, 0, v3, s3
	s_delay_alu instid0(VALU_DEP_3) | instskip(SKIP_1) | instid1(VALU_DEP_3)
	v_cmp_le_u32_e32 vcc_lo, s36, v13
	v_cndmask_b32_e64 v13, 0, -1, vcc_lo
	v_cmp_le_u32_e32 vcc_lo, s37, v3
	v_cndmask_b32_e64 v14, 0, -1, vcc_lo
	;; [unrolled: 2-line block ×4, first 2 shown]
	v_cmp_eq_u32_e32 vcc_lo, s37, v3
	v_cndmask_b32_e32 v3, v14, v13, vcc_lo
	v_cmp_eq_u32_e32 vcc_lo, s37, v18
	v_add_nc_u64_e32 v[14:15], 2, v[10:11]
	v_dual_mov_b32 v13, v12 :: v_dual_cndmask_b32 v7, v19, v7, vcc_lo
	s_delay_alu instid0(VALU_DEP_4) | instskip(NEXT) | instid1(VALU_DEP_2)
	v_cmp_ne_u32_e32 vcc_lo, 0, v3
	v_cmp_ne_u32_e64 s3, 0, v7
	s_delay_alu instid0(VALU_DEP_4) | instskip(NEXT) | instid1(VALU_DEP_1)
	v_dual_cndmask_b32 v3, v17, v15, vcc_lo :: v_dual_cndmask_b32 v7, v16, v14, vcc_lo
	v_cndmask_b32_e64 v3, v11, v3, s3
	s_delay_alu instid0(VALU_DEP_1) | instskip(NEXT) | instid1(VALU_DEP_1)
	v_dual_cndmask_b32 v7, v10, v7, s3 :: v_dual_bitop2_b32 v11, v3, v12 bitop3:0x14
	v_xor_b32_e32 v10, v7, v12
	s_delay_alu instid0(VALU_DEP_1)
	v_sub_nc_u64_e32 v[12:13], v[10:11], v[12:13]
                                        ; implicit-def: $vgpr10_vgpr11
.LBB12_26:                              ;   in Loop: Header=BB12_16 Depth=1
	s_and_not1_saveexec_b32 s3, s39
	s_cbranch_execz .LBB12_14
; %bb.27:                               ;   in Loop: Header=BB12_16 Depth=1
	v_cvt_f32_u32_e32 v3, s26
	s_sub_co_i32 s18, 0, s26
	s_delay_alu instid0(VALU_DEP_1) | instskip(SKIP_1) | instid1(TRANS32_DEP_1)
	v_rcp_iflag_f32_e32 v3, v3
	v_nop
	v_mul_f32_e32 v3, 0x4f7ffffe, v3
	s_delay_alu instid0(VALU_DEP_1) | instskip(NEXT) | instid1(VALU_DEP_1)
	v_cvt_u32_f32_e32 v3, v3
	v_mul_lo_u32 v7, s18, v3
	s_delay_alu instid0(VALU_DEP_1) | instskip(NEXT) | instid1(VALU_DEP_1)
	v_mul_hi_u32 v7, v3, v7
	v_add_nc_u32_e32 v3, v3, v7
	s_delay_alu instid0(VALU_DEP_1) | instskip(NEXT) | instid1(VALU_DEP_1)
	v_mul_hi_u32 v3, v10, v3
	v_mul_lo_u32 v7, v3, s26
	s_delay_alu instid0(VALU_DEP_1) | instskip(SKIP_1) | instid1(VALU_DEP_2)
	v_sub_nc_u32_e32 v7, v10, v7
	v_add_nc_u32_e32 v10, 1, v3
	v_subrev_nc_u32_e32 v11, s26, v7
	v_cmp_le_u32_e32 vcc_lo, s26, v7
	s_delay_alu instid0(VALU_DEP_2) | instskip(NEXT) | instid1(VALU_DEP_4)
	v_cndmask_b32_e32 v7, v7, v11, vcc_lo
	v_cndmask_b32_e32 v3, v3, v10, vcc_lo
	s_delay_alu instid0(VALU_DEP_2) | instskip(NEXT) | instid1(VALU_DEP_2)
	v_cmp_le_u32_e32 vcc_lo, s26, v7
	v_add_nc_u32_e32 v10, 1, v3
	s_delay_alu instid0(VALU_DEP_1)
	v_cndmask_b32_e32 v12, v3, v10, vcc_lo
	s_branch .LBB12_14
.LBB12_28:
	s_or_b32 exec_lo, exec_lo, s33
	s_load_b64 s[0:1], s[0:1], 0xd0
; %bb.29:
	s_wait_dscnt 0x0
	s_barrier_signal -1
	s_barrier_wait -1
	s_and_saveexec_b32 s3, s2
	s_cbranch_execz .LBB12_32
; %bb.30:
	v_dual_mov_b32 v3, 0 :: v_dual_lshlrev_b32 v9, 2, v2
	s_wait_kmcnt 0x0
	v_mul_u64_e32 v[4:5], s[0:1], v[0:1]
	v_lshl_add_u32 v8, v0, 2, 0
	s_delay_alu instid0(VALU_DEP_3) | instskip(SKIP_1) | instid1(VALU_DEP_3)
	v_mul_u64_e32 v[6:7], s[0:1], v[2:3]
	s_mov_b32 s0, 0
	v_lshl_add_u64 v[4:5], v[4:5], 2, s[12:13]
	s_delay_alu instid0(VALU_DEP_2)
	v_lshlrev_b64_e32 v[6:7], 2, v[6:7]
.LBB12_31:                              ; =>This Inner Loop Header: Depth=1
	ds_load_b32 v10, v8
	v_add_nc_u64_e32 v[0:1], v[0:1], v[2:3]
	v_add_nc_u32_e32 v8, v8, v9
	s_delay_alu instid0(VALU_DEP_2)
	v_cmp_le_i64_e32 vcc_lo, s[14:15], v[0:1]
	s_or_b32 s0, vcc_lo, s0
	s_wait_dscnt 0x0
	global_atomic_add_f32 v[4:5], v10, off scope:SCOPE_DEV
	s_wait_xcnt 0x0
	v_add_nc_u64_e32 v[4:5], v[4:5], v[6:7]
	s_and_not1_b32 exec_lo, exec_lo, s0
	s_cbranch_execnz .LBB12_31
.LBB12_32:
	s_endpgm
	.section	.rodata,"a",@progbits
	.p2align	6, 0x0
	.amdhsa_kernel _ZN2at4cuda17kernelHistogram1DIfalLi1ELi2ELin1ELNS0_23CUDAHistogramMemoryTypeE0EZNS0_21CUDA_tensor_histogramIfaLb1EEEbNS_6TensorES4_S4_lNS_14AccumulateTypeIT0_Lb1EE4typeES8_NS0_13TensorArgTypeES9_S9_EUllE_EEvNS0_6detail10TensorInfoIT_T1_EESF_NSC_IKS6_SE_EElS8_S8_SE_T6_
		.amdhsa_group_segment_fixed_size 0
		.amdhsa_private_segment_fixed_size 0
		.amdhsa_kernarg_size 1952
		.amdhsa_user_sgpr_count 2
		.amdhsa_user_sgpr_dispatch_ptr 0
		.amdhsa_user_sgpr_queue_ptr 0
		.amdhsa_user_sgpr_kernarg_segment_ptr 1
		.amdhsa_user_sgpr_dispatch_id 0
		.amdhsa_user_sgpr_kernarg_preload_length 0
		.amdhsa_user_sgpr_kernarg_preload_offset 0
		.amdhsa_user_sgpr_private_segment_size 0
		.amdhsa_wavefront_size32 1
		.amdhsa_uses_dynamic_stack 0
		.amdhsa_enable_private_segment 0
		.amdhsa_system_sgpr_workgroup_id_x 1
		.amdhsa_system_sgpr_workgroup_id_y 0
		.amdhsa_system_sgpr_workgroup_id_z 0
		.amdhsa_system_sgpr_workgroup_info 0
		.amdhsa_system_vgpr_workitem_id 0
		.amdhsa_next_free_vgpr 28
		.amdhsa_next_free_sgpr 57
		.amdhsa_named_barrier_count 0
		.amdhsa_reserve_vcc 1
		.amdhsa_float_round_mode_32 0
		.amdhsa_float_round_mode_16_64 0
		.amdhsa_float_denorm_mode_32 3
		.amdhsa_float_denorm_mode_16_64 3
		.amdhsa_fp16_overflow 0
		.amdhsa_memory_ordered 1
		.amdhsa_forward_progress 1
		.amdhsa_inst_pref_size 20
		.amdhsa_round_robin_scheduling 0
		.amdhsa_exception_fp_ieee_invalid_op 0
		.amdhsa_exception_fp_denorm_src 0
		.amdhsa_exception_fp_ieee_div_zero 0
		.amdhsa_exception_fp_ieee_overflow 0
		.amdhsa_exception_fp_ieee_underflow 0
		.amdhsa_exception_fp_ieee_inexact 0
		.amdhsa_exception_int_div_zero 0
	.end_amdhsa_kernel
	.section	.text._ZN2at4cuda17kernelHistogram1DIfalLi1ELi2ELin1ELNS0_23CUDAHistogramMemoryTypeE0EZNS0_21CUDA_tensor_histogramIfaLb1EEEbNS_6TensorES4_S4_lNS_14AccumulateTypeIT0_Lb1EE4typeES8_NS0_13TensorArgTypeES9_S9_EUllE_EEvNS0_6detail10TensorInfoIT_T1_EESF_NSC_IKS6_SE_EElS8_S8_SE_T6_,"axG",@progbits,_ZN2at4cuda17kernelHistogram1DIfalLi1ELi2ELin1ELNS0_23CUDAHistogramMemoryTypeE0EZNS0_21CUDA_tensor_histogramIfaLb1EEEbNS_6TensorES4_S4_lNS_14AccumulateTypeIT0_Lb1EE4typeES8_NS0_13TensorArgTypeES9_S9_EUllE_EEvNS0_6detail10TensorInfoIT_T1_EESF_NSC_IKS6_SE_EElS8_S8_SE_T6_,comdat
.Lfunc_end12:
	.size	_ZN2at4cuda17kernelHistogram1DIfalLi1ELi2ELin1ELNS0_23CUDAHistogramMemoryTypeE0EZNS0_21CUDA_tensor_histogramIfaLb1EEEbNS_6TensorES4_S4_lNS_14AccumulateTypeIT0_Lb1EE4typeES8_NS0_13TensorArgTypeES9_S9_EUllE_EEvNS0_6detail10TensorInfoIT_T1_EESF_NSC_IKS6_SE_EElS8_S8_SE_T6_, .Lfunc_end12-_ZN2at4cuda17kernelHistogram1DIfalLi1ELi2ELin1ELNS0_23CUDAHistogramMemoryTypeE0EZNS0_21CUDA_tensor_histogramIfaLb1EEEbNS_6TensorES4_S4_lNS_14AccumulateTypeIT0_Lb1EE4typeES8_NS0_13TensorArgTypeES9_S9_EUllE_EEvNS0_6detail10TensorInfoIT_T1_EESF_NSC_IKS6_SE_EElS8_S8_SE_T6_
                                        ; -- End function
	.set _ZN2at4cuda17kernelHistogram1DIfalLi1ELi2ELin1ELNS0_23CUDAHistogramMemoryTypeE0EZNS0_21CUDA_tensor_histogramIfaLb1EEEbNS_6TensorES4_S4_lNS_14AccumulateTypeIT0_Lb1EE4typeES8_NS0_13TensorArgTypeES9_S9_EUllE_EEvNS0_6detail10TensorInfoIT_T1_EESF_NSC_IKS6_SE_EElS8_S8_SE_T6_.num_vgpr, 28
	.set _ZN2at4cuda17kernelHistogram1DIfalLi1ELi2ELin1ELNS0_23CUDAHistogramMemoryTypeE0EZNS0_21CUDA_tensor_histogramIfaLb1EEEbNS_6TensorES4_S4_lNS_14AccumulateTypeIT0_Lb1EE4typeES8_NS0_13TensorArgTypeES9_S9_EUllE_EEvNS0_6detail10TensorInfoIT_T1_EESF_NSC_IKS6_SE_EElS8_S8_SE_T6_.num_agpr, 0
	.set _ZN2at4cuda17kernelHistogram1DIfalLi1ELi2ELin1ELNS0_23CUDAHistogramMemoryTypeE0EZNS0_21CUDA_tensor_histogramIfaLb1EEEbNS_6TensorES4_S4_lNS_14AccumulateTypeIT0_Lb1EE4typeES8_NS0_13TensorArgTypeES9_S9_EUllE_EEvNS0_6detail10TensorInfoIT_T1_EESF_NSC_IKS6_SE_EElS8_S8_SE_T6_.numbered_sgpr, 57
	.set _ZN2at4cuda17kernelHistogram1DIfalLi1ELi2ELin1ELNS0_23CUDAHistogramMemoryTypeE0EZNS0_21CUDA_tensor_histogramIfaLb1EEEbNS_6TensorES4_S4_lNS_14AccumulateTypeIT0_Lb1EE4typeES8_NS0_13TensorArgTypeES9_S9_EUllE_EEvNS0_6detail10TensorInfoIT_T1_EESF_NSC_IKS6_SE_EElS8_S8_SE_T6_.num_named_barrier, 0
	.set _ZN2at4cuda17kernelHistogram1DIfalLi1ELi2ELin1ELNS0_23CUDAHistogramMemoryTypeE0EZNS0_21CUDA_tensor_histogramIfaLb1EEEbNS_6TensorES4_S4_lNS_14AccumulateTypeIT0_Lb1EE4typeES8_NS0_13TensorArgTypeES9_S9_EUllE_EEvNS0_6detail10TensorInfoIT_T1_EESF_NSC_IKS6_SE_EElS8_S8_SE_T6_.private_seg_size, 0
	.set _ZN2at4cuda17kernelHistogram1DIfalLi1ELi2ELin1ELNS0_23CUDAHistogramMemoryTypeE0EZNS0_21CUDA_tensor_histogramIfaLb1EEEbNS_6TensorES4_S4_lNS_14AccumulateTypeIT0_Lb1EE4typeES8_NS0_13TensorArgTypeES9_S9_EUllE_EEvNS0_6detail10TensorInfoIT_T1_EESF_NSC_IKS6_SE_EElS8_S8_SE_T6_.uses_vcc, 1
	.set _ZN2at4cuda17kernelHistogram1DIfalLi1ELi2ELin1ELNS0_23CUDAHistogramMemoryTypeE0EZNS0_21CUDA_tensor_histogramIfaLb1EEEbNS_6TensorES4_S4_lNS_14AccumulateTypeIT0_Lb1EE4typeES8_NS0_13TensorArgTypeES9_S9_EUllE_EEvNS0_6detail10TensorInfoIT_T1_EESF_NSC_IKS6_SE_EElS8_S8_SE_T6_.uses_flat_scratch, 0
	.set _ZN2at4cuda17kernelHistogram1DIfalLi1ELi2ELin1ELNS0_23CUDAHistogramMemoryTypeE0EZNS0_21CUDA_tensor_histogramIfaLb1EEEbNS_6TensorES4_S4_lNS_14AccumulateTypeIT0_Lb1EE4typeES8_NS0_13TensorArgTypeES9_S9_EUllE_EEvNS0_6detail10TensorInfoIT_T1_EESF_NSC_IKS6_SE_EElS8_S8_SE_T6_.has_dyn_sized_stack, 0
	.set _ZN2at4cuda17kernelHistogram1DIfalLi1ELi2ELin1ELNS0_23CUDAHistogramMemoryTypeE0EZNS0_21CUDA_tensor_histogramIfaLb1EEEbNS_6TensorES4_S4_lNS_14AccumulateTypeIT0_Lb1EE4typeES8_NS0_13TensorArgTypeES9_S9_EUllE_EEvNS0_6detail10TensorInfoIT_T1_EESF_NSC_IKS6_SE_EElS8_S8_SE_T6_.has_recursion, 0
	.set _ZN2at4cuda17kernelHistogram1DIfalLi1ELi2ELin1ELNS0_23CUDAHistogramMemoryTypeE0EZNS0_21CUDA_tensor_histogramIfaLb1EEEbNS_6TensorES4_S4_lNS_14AccumulateTypeIT0_Lb1EE4typeES8_NS0_13TensorArgTypeES9_S9_EUllE_EEvNS0_6detail10TensorInfoIT_T1_EESF_NSC_IKS6_SE_EElS8_S8_SE_T6_.has_indirect_call, 0
	.section	.AMDGPU.csdata,"",@progbits
; Kernel info:
; codeLenInByte = 2556
; TotalNumSgprs: 59
; NumVgprs: 28
; ScratchSize: 0
; MemoryBound: 0
; FloatMode: 240
; IeeeMode: 1
; LDSByteSize: 0 bytes/workgroup (compile time only)
; SGPRBlocks: 0
; VGPRBlocks: 1
; NumSGPRsForWavesPerEU: 59
; NumVGPRsForWavesPerEU: 28
; NamedBarCnt: 0
; Occupancy: 16
; WaveLimiterHint : 1
; COMPUTE_PGM_RSRC2:SCRATCH_EN: 0
; COMPUTE_PGM_RSRC2:USER_SGPR: 2
; COMPUTE_PGM_RSRC2:TRAP_HANDLER: 0
; COMPUTE_PGM_RSRC2:TGID_X_EN: 1
; COMPUTE_PGM_RSRC2:TGID_Y_EN: 0
; COMPUTE_PGM_RSRC2:TGID_Z_EN: 0
; COMPUTE_PGM_RSRC2:TIDIG_COMP_CNT: 0
	.section	.text._ZN2at4cuda17kernelHistogram1DIfalLi1ELi2ELin1ELNS0_23CUDAHistogramMemoryTypeE1EZNS0_21CUDA_tensor_histogramIfaLb1EEEbNS_6TensorES4_S4_lNS_14AccumulateTypeIT0_Lb1EE4typeES8_NS0_13TensorArgTypeES9_S9_EUllE_EEvNS0_6detail10TensorInfoIT_T1_EESF_NSC_IKS6_SE_EElS8_S8_SE_T6_,"axG",@progbits,_ZN2at4cuda17kernelHistogram1DIfalLi1ELi2ELin1ELNS0_23CUDAHistogramMemoryTypeE1EZNS0_21CUDA_tensor_histogramIfaLb1EEEbNS_6TensorES4_S4_lNS_14AccumulateTypeIT0_Lb1EE4typeES8_NS0_13TensorArgTypeES9_S9_EUllE_EEvNS0_6detail10TensorInfoIT_T1_EESF_NSC_IKS6_SE_EElS8_S8_SE_T6_,comdat
	.protected	_ZN2at4cuda17kernelHistogram1DIfalLi1ELi2ELin1ELNS0_23CUDAHistogramMemoryTypeE1EZNS0_21CUDA_tensor_histogramIfaLb1EEEbNS_6TensorES4_S4_lNS_14AccumulateTypeIT0_Lb1EE4typeES8_NS0_13TensorArgTypeES9_S9_EUllE_EEvNS0_6detail10TensorInfoIT_T1_EESF_NSC_IKS6_SE_EElS8_S8_SE_T6_ ; -- Begin function _ZN2at4cuda17kernelHistogram1DIfalLi1ELi2ELin1ELNS0_23CUDAHistogramMemoryTypeE1EZNS0_21CUDA_tensor_histogramIfaLb1EEEbNS_6TensorES4_S4_lNS_14AccumulateTypeIT0_Lb1EE4typeES8_NS0_13TensorArgTypeES9_S9_EUllE_EEvNS0_6detail10TensorInfoIT_T1_EESF_NSC_IKS6_SE_EElS8_S8_SE_T6_
	.globl	_ZN2at4cuda17kernelHistogram1DIfalLi1ELi2ELin1ELNS0_23CUDAHistogramMemoryTypeE1EZNS0_21CUDA_tensor_histogramIfaLb1EEEbNS_6TensorES4_S4_lNS_14AccumulateTypeIT0_Lb1EE4typeES8_NS0_13TensorArgTypeES9_S9_EUllE_EEvNS0_6detail10TensorInfoIT_T1_EESF_NSC_IKS6_SE_EElS8_S8_SE_T6_
	.p2align	8
	.type	_ZN2at4cuda17kernelHistogram1DIfalLi1ELi2ELin1ELNS0_23CUDAHistogramMemoryTypeE1EZNS0_21CUDA_tensor_histogramIfaLb1EEEbNS_6TensorES4_S4_lNS_14AccumulateTypeIT0_Lb1EE4typeES8_NS0_13TensorArgTypeES9_S9_EUllE_EEvNS0_6detail10TensorInfoIT_T1_EESF_NSC_IKS6_SE_EElS8_S8_SE_T6_,@function
_ZN2at4cuda17kernelHistogram1DIfalLi1ELi2ELin1ELNS0_23CUDAHistogramMemoryTypeE1EZNS0_21CUDA_tensor_histogramIfaLb1EEEbNS_6TensorES4_S4_lNS_14AccumulateTypeIT0_Lb1EE4typeES8_NS0_13TensorArgTypeES9_S9_EUllE_EEvNS0_6detail10TensorInfoIT_T1_EESF_NSC_IKS6_SE_EElS8_S8_SE_T6_: ; @_ZN2at4cuda17kernelHistogram1DIfalLi1ELi2ELin1ELNS0_23CUDAHistogramMemoryTypeE1EZNS0_21CUDA_tensor_histogramIfaLb1EEEbNS_6TensorES4_S4_lNS_14AccumulateTypeIT0_Lb1EE4typeES8_NS0_13TensorArgTypeES9_S9_EUllE_EEvNS0_6detail10TensorInfoIT_T1_EESF_NSC_IKS6_SE_EElS8_S8_SE_T6_
; %bb.0:
	s_load_b32 s2, s[0:1], 0x6ac
	s_bfe_u32 s12, ttmp6, 0x4000c
	s_load_b256 s[4:11], s[0:1], 0x4e0
	s_add_co_i32 s12, s12, 1
	s_and_b32 s3, ttmp6, 15
	s_mul_i32 s12, ttmp9, s12
	s_getreg_b32 s13, hwreg(HW_REG_IB_STS2, 6, 4)
	s_add_co_i32 s3, s3, s12
	v_mov_b32_e32 v2, 0
	s_mov_b32 s12, exec_lo
	s_delay_alu instid0(VALU_DEP_1) | instskip(SKIP_4) | instid1(SALU_CYCLE_1)
	v_mov_b32_e32 v1, v2
	s_wait_kmcnt 0x0
	s_and_b32 s2, s2, 0xffff
	s_cmp_eq_u32 s13, 0
	s_cselect_b32 s3, ttmp9, s3
	v_mad_u32 v0, s3, s2, v0
	s_mov_b32 s3, 0
	s_delay_alu instid0(VALU_DEP_1)
	v_cmpx_gt_i64_e64 s[10:11], v[0:1]
	s_cbranch_execz .LBB13_16
; %bb.1:
	s_clause 0x1
	s_load_b64 s[12:13], s[0:1], 0x5d0
	s_load_b32 s33, s[0:1], 0x4d8
	s_add_nc_u64 s[24:25], s[0:1], 0x6a0
	s_load_b32 s26, s[24:25], 0x0
	s_clause 0x4
	s_load_b64 s[14:15], s[0:1], 0x500
	s_load_b64 s[16:17], s[0:1], 0x0
	;; [unrolled: 1-line block ×5, first 2 shown]
	s_add_nc_u64 s[30:31], s[0:1], 0x340
	s_wait_xcnt 0x0
	s_sub_nc_u64 s[24:25], s[8:9], s[6:7]
	s_mov_b32 s27, s3
	s_mov_b64 s[28:29], 0xffffffff
	s_mov_b32 s44, 0
	s_wait_kmcnt 0x0
	s_mul_i32 s26, s26, s2
	s_cmp_gt_i32 s33, 1
	s_cselect_b32 s1, -1, 0
	s_add_co_i32 s2, s33, -1
	s_add_co_i32 s33, s33, 1
	s_lshl_b64 s[34:35], s[2:3], 3
	s_delay_alu instid0(SALU_CYCLE_1)
	s_add_nc_u64 s[34:35], s[30:31], s[34:35]
	s_ashr_i32 s30, s25, 31
	s_add_nc_u64 s[34:35], s[34:35], 8
	s_branch .LBB13_4
.LBB13_2:                               ;   in Loop: Header=BB13_4 Depth=1
	s_or_b32 exec_lo, exec_lo, s0
	v_mul_u64_e32 v[4:5], s[12:13], v[0:1]
	s_delay_alu instid0(VALU_DEP_2) | instskip(NEXT) | instid1(VALU_DEP_2)
	v_ashrrev_i32_e32 v7, 31, v6
	v_lshl_add_u64 v[4:5], v[4:5], 2, s[14:15]
	global_load_b32 v3, v[4:5], off
	s_wait_xcnt 0x0
	v_mov_b32_e32 v5, s3
	v_cmp_eq_u64_e32 vcc_lo, s[4:5], v[6:7]
	v_cndmask_b32_e64 v4, 0, 1, vcc_lo
	s_delay_alu instid0(VALU_DEP_1) | instskip(NEXT) | instid1(VALU_DEP_1)
	v_sub_nc_u64_e32 v[4:5], v[6:7], v[4:5]
	v_mul_u64_e32 v[4:5], s[18:19], v[4:5]
	s_delay_alu instid0(VALU_DEP_1)
	v_lshl_add_u64 v[4:5], v[4:5], 2, s[16:17]
	s_wait_loadcnt 0x0
	global_atomic_add_f32 v[4:5], v3, off scope:SCOPE_DEV
.LBB13_3:                               ;   in Loop: Header=BB13_4 Depth=1
	s_wait_xcnt 0x0
	s_or_b32 exec_lo, exec_lo, s38
	v_add_nc_u64_e32 v[0:1], s[26:27], v[0:1]
	s_delay_alu instid0(VALU_DEP_1) | instskip(SKIP_1) | instid1(SALU_CYCLE_1)
	v_cmp_le_i64_e32 vcc_lo, s[10:11], v[0:1]
	s_or_b32 s44, vcc_lo, s44
	s_and_not1_b32 exec_lo, exec_lo, s44
	s_cbranch_execz .LBB13_16
.LBB13_4:                               ; =>This Loop Header: Depth=1
                                        ;     Child Loop BB13_5 Depth 2
	v_mov_b64_e32 v[4:5], 0
	v_mov_b64_e32 v[6:7], v[0:1]
	;; [unrolled: 1-line block ×3, first 2 shown]
	s_and_not1_b32 vcc_lo, exec_lo, s1
	s_mov_b64 s[36:37], s[34:35]
	s_mov_b32 s31, s33
	s_cbranch_vccnz .LBB13_11
.LBB13_5:                               ;   Parent Loop BB13_4 Depth=1
                                        ; =>  This Inner Loop Header: Depth=2
	s_load_b64 s[38:39], s[36:37], 0x0
                                        ; implicit-def: $vgpr8_vgpr9
	s_mov_b32 s0, exec_lo
	s_wait_kmcnt 0x0
	s_delay_alu instid0(VALU_DEP_1) | instskip(NEXT) | instid1(VALU_DEP_1)
	v_or_b32_e32 v3, s39, v7
	v_cmpx_ne_u64_e32 0, v[2:3]
	s_xor_b32 s45, exec_lo, s0
	s_cbranch_execz .LBB13_7
; %bb.6:                                ;   in Loop: Header=BB13_5 Depth=2
	s_ashr_i32 s40, s39, 31
	v_dual_mov_b32 v13, v2 :: v_dual_ashrrev_i32 v8, 31, v7
	s_mov_b32 s41, s40
	s_delay_alu instid0(SALU_CYCLE_1) | instskip(NEXT) | instid1(VALU_DEP_1)
	s_add_nc_u64 s[42:43], s[38:39], s[40:41]
	v_mov_b32_e32 v9, v8
	s_xor_b64 s[42:43], s[42:43], s[40:41]
	s_delay_alu instid0(SALU_CYCLE_1)
	s_cvt_f32_u32 s0, s42
	s_cvt_f32_u32 s2, s43
	s_sub_nc_u64 s[48:49], 0, s[42:43]
	v_add_nc_u64_e32 v[10:11], v[6:7], v[8:9]
	v_mov_b32_e32 v17, v2
	s_fmamk_f32 s0, s2, 0x4f800000, s0
	s_delay_alu instid0(SALU_CYCLE_3) | instskip(NEXT) | instid1(VALU_DEP_2)
	v_s_rcp_f32 s0, s0
	v_xor_b32_e32 v12, v10, v8
	s_delay_alu instid0(VALU_DEP_3) | instskip(SKIP_1) | instid1(TRANS32_DEP_1)
	v_dual_mov_b32 v21, v2 :: v_dual_bitop2_b32 v16, v11, v8 bitop3:0x14
	v_xor_b32_e32 v8, s40, v8
	s_mul_f32 s0, s0, 0x5f7ffffc
	s_delay_alu instid0(SALU_CYCLE_3) | instskip(NEXT) | instid1(SALU_CYCLE_3)
	s_mul_f32 s2, s0, 0x2f800000
	s_trunc_f32 s2, s2
	s_delay_alu instid0(SALU_CYCLE_3) | instskip(SKIP_1) | instid1(SALU_CYCLE_2)
	s_fmamk_f32 s0, s2, 0xcf800000, s0
	s_cvt_u32_f32 s47, s2
	s_cvt_u32_f32 s46, s0
	s_delay_alu instid0(SALU_CYCLE_3) | instskip(NEXT) | instid1(SALU_CYCLE_1)
	s_mul_u64 s[50:51], s[48:49], s[46:47]
	s_mul_hi_u32 s53, s46, s51
	s_mul_i32 s52, s46, s51
	s_mul_hi_u32 s2, s46, s50
	s_mul_i32 s41, s47, s50
	s_add_nc_u64 s[52:53], s[2:3], s[52:53]
	s_mul_hi_u32 s0, s47, s50
	s_mul_hi_u32 s54, s47, s51
	s_add_co_u32 s2, s52, s41
	s_add_co_ci_u32 s2, s53, s0
	s_mul_i32 s50, s47, s51
	s_add_co_ci_u32 s51, s54, 0
	s_delay_alu instid0(SALU_CYCLE_1) | instskip(NEXT) | instid1(SALU_CYCLE_1)
	s_add_nc_u64 s[50:51], s[2:3], s[50:51]
	s_add_co_u32 s46, s46, s50
	s_cselect_b32 s0, -1, 0
	s_delay_alu instid0(SALU_CYCLE_1) | instskip(SKIP_1) | instid1(SALU_CYCLE_1)
	s_cmp_lg_u32 s0, 0
	s_add_co_ci_u32 s47, s47, s51
	s_mul_u64 s[48:49], s[48:49], s[46:47]
	s_delay_alu instid0(SALU_CYCLE_1)
	s_mul_hi_u32 s51, s46, s49
	s_mul_i32 s50, s46, s49
	s_mul_hi_u32 s2, s46, s48
	s_mul_i32 s41, s47, s48
	s_add_nc_u64 s[50:51], s[2:3], s[50:51]
	s_mul_hi_u32 s0, s47, s48
	s_mul_hi_u32 s52, s47, s49
	s_add_co_u32 s2, s50, s41
	s_add_co_ci_u32 s2, s51, s0
	s_mul_i32 s48, s47, s49
	s_add_co_ci_u32 s49, s52, 0
	s_delay_alu instid0(SALU_CYCLE_1) | instskip(NEXT) | instid1(SALU_CYCLE_1)
	s_add_nc_u64 s[48:49], s[2:3], s[48:49]
	s_add_co_u32 s0, s46, s48
	s_cselect_b32 s2, -1, 0
	v_mul_hi_u32 v20, v12, s0
	s_cmp_lg_u32 s2, 0
	s_add_co_ci_u32 s2, s47, s49
	s_and_b64 s[46:47], s[0:1], s[28:29]
	v_mul_u64_e32 v[14:15], s[2:3], v[12:13]
	v_mul_u64_e32 v[10:11], s[46:47], v[16:17]
	;; [unrolled: 1-line block ×3, first 2 shown]
	s_delay_alu instid0(VALU_DEP_3) | instskip(NEXT) | instid1(VALU_DEP_1)
	v_add_nc_u64_e32 v[14:15], v[20:21], v[14:15]
	v_add_co_u32 v3, vcc_lo, v14, v10
	s_delay_alu instid0(VALU_DEP_2) | instskip(NEXT) | instid1(VALU_DEP_4)
	v_add_co_ci_u32_e32 v20, vcc_lo, v15, v11, vcc_lo
	v_add_co_ci_u32_e32 v19, vcc_lo, 0, v19, vcc_lo
	s_delay_alu instid0(VALU_DEP_1) | instskip(NEXT) | instid1(VALU_DEP_1)
	v_add_nc_u64_e32 v[10:11], v[20:21], v[18:19]
	v_mul_u64_e32 v[14:15], s[42:43], v[10:11]
	s_delay_alu instid0(VALU_DEP_1) | instskip(NEXT) | instid1(VALU_DEP_2)
	v_sub_nc_u32_e32 v3, v16, v15
	v_sub_co_u32 v9, vcc_lo, v12, v14
	s_delay_alu instid0(VALU_DEP_1) | instskip(NEXT) | instid1(VALU_DEP_3)
	v_sub_co_ci_u32_e64 v16, null, v16, v15, vcc_lo
	v_subrev_co_ci_u32_e64 v3, null, s43, v3, vcc_lo
	s_delay_alu instid0(VALU_DEP_3) | instskip(SKIP_1) | instid1(VALU_DEP_3)
	v_sub_co_u32 v12, s0, v9, s42
	v_add_nc_u64_e32 v[14:15], 1, v[10:11]
	v_subrev_co_ci_u32_e64 v3, null, 0, v3, s0
	s_delay_alu instid0(VALU_DEP_3) | instskip(SKIP_1) | instid1(VALU_DEP_3)
	v_cmp_le_u32_e32 vcc_lo, s42, v12
	v_cndmask_b32_e64 v12, 0, -1, vcc_lo
	v_cmp_le_u32_e32 vcc_lo, s43, v3
	v_cndmask_b32_e64 v13, 0, -1, vcc_lo
	;; [unrolled: 2-line block ×4, first 2 shown]
	v_cmp_eq_u32_e32 vcc_lo, s43, v3
	v_cndmask_b32_e32 v3, v13, v12, vcc_lo
	v_cmp_eq_u32_e32 vcc_lo, s43, v16
	v_add_nc_u64_e32 v[12:13], 2, v[10:11]
	v_cndmask_b32_e32 v9, v17, v9, vcc_lo
	s_delay_alu instid0(VALU_DEP_4) | instskip(NEXT) | instid1(VALU_DEP_2)
	v_cmp_ne_u32_e32 vcc_lo, 0, v3
	v_cmp_ne_u32_e64 s0, 0, v9
	s_delay_alu instid0(VALU_DEP_4) | instskip(NEXT) | instid1(VALU_DEP_1)
	v_dual_cndmask_b32 v3, v15, v13, vcc_lo :: v_dual_cndmask_b32 v9, v14, v12, vcc_lo
	v_dual_cndmask_b32 v10, v10, v9, s0 :: v_dual_mov_b32 v9, v8
	s_delay_alu instid0(VALU_DEP_1) | instskip(NEXT) | instid1(VALU_DEP_1)
	v_dual_cndmask_b32 v3, v11, v3, s0 :: v_dual_bitop2_b32 v10, v10, v8 bitop3:0x14
	v_xor_b32_e32 v11, v3, v8
	s_delay_alu instid0(VALU_DEP_1)
	v_sub_nc_u64_e32 v[8:9], v[10:11], v[8:9]
.LBB13_7:                               ;   in Loop: Header=BB13_5 Depth=2
	s_and_not1_saveexec_b32 s0, s45
	s_cbranch_execz .LBB13_9
; %bb.8:                                ;   in Loop: Header=BB13_5 Depth=2
	v_cvt_f32_u32_e32 v3, s38
	s_sub_co_i32 s2, 0, s38
	s_delay_alu instid0(VALU_DEP_1) | instskip(SKIP_1) | instid1(TRANS32_DEP_1)
	v_rcp_iflag_f32_e32 v3, v3
	v_nop
	v_mul_f32_e32 v3, 0x4f7ffffe, v3
	s_delay_alu instid0(VALU_DEP_1) | instskip(NEXT) | instid1(VALU_DEP_1)
	v_cvt_u32_f32_e32 v3, v3
	v_mul_lo_u32 v8, s2, v3
	s_delay_alu instid0(VALU_DEP_1) | instskip(NEXT) | instid1(VALU_DEP_1)
	v_mul_hi_u32 v8, v3, v8
	v_add_nc_u32_e32 v3, v3, v8
	s_delay_alu instid0(VALU_DEP_1) | instskip(NEXT) | instid1(VALU_DEP_1)
	v_mul_hi_u32 v3, v6, v3
	v_mul_lo_u32 v8, v3, s38
	s_delay_alu instid0(VALU_DEP_1) | instskip(NEXT) | instid1(VALU_DEP_1)
	v_dual_add_nc_u32 v9, 1, v3 :: v_dual_sub_nc_u32 v8, v6, v8
	v_subrev_nc_u32_e32 v10, s38, v8
	v_cmp_le_u32_e32 vcc_lo, s38, v8
	s_delay_alu instid0(VALU_DEP_2) | instskip(NEXT) | instid1(VALU_DEP_1)
	v_dual_cndmask_b32 v8, v8, v10 :: v_dual_cndmask_b32 v3, v3, v9
	v_cmp_le_u32_e32 vcc_lo, s38, v8
	s_delay_alu instid0(VALU_DEP_2) | instskip(NEXT) | instid1(VALU_DEP_1)
	v_add_nc_u32_e32 v9, 1, v3
	v_dual_cndmask_b32 v8, v3, v9 :: v_dual_mov_b32 v9, v2
.LBB13_9:                               ;   in Loop: Header=BB13_5 Depth=2
	s_or_b32 exec_lo, exec_lo, s0
	s_delay_alu instid0(VALU_DEP_1)
	v_mul_u64_e32 v[10:11], s[38:39], v[8:9]
	s_load_b64 s[38:39], s[36:37], 0xc8
	s_add_co_i32 s31, s31, -1
	s_wait_xcnt 0x0
	s_add_nc_u64 s[36:37], s[36:37], -8
	s_cmp_gt_u32 s31, 2
	s_delay_alu instid0(VALU_DEP_1) | instskip(SKIP_1) | instid1(VALU_DEP_1)
	v_sub_nc_u64_e32 v[6:7], v[6:7], v[10:11]
	s_wait_kmcnt 0x0
	v_mad_nc_u64_u32 v[4:5], s38, v6, v[4:5]
	s_delay_alu instid0(VALU_DEP_1) | instskip(NEXT) | instid1(VALU_DEP_1)
	v_mad_u32 v3, s39, v6, v5
	v_mad_u32 v5, s38, v7, v3
	s_cbranch_scc0 .LBB13_11
; %bb.10:                               ;   in Loop: Header=BB13_5 Depth=2
	v_mov_b64_e32 v[6:7], v[8:9]
	s_branch .LBB13_5
.LBB13_11:                              ;   in Loop: Header=BB13_4 Depth=1
	s_delay_alu instid0(VALU_DEP_1) | instskip(NEXT) | instid1(VALU_DEP_1)
	v_mad_nc_u64_u32 v[6:7], s20, v8, s[22:23]
	v_mad_u32 v3, s21, v8, v7
	s_delay_alu instid0(VALU_DEP_1) | instskip(NEXT) | instid1(VALU_DEP_1)
	v_mad_u32 v7, s20, v9, v3
	v_add_nc_u64_e32 v[4:5], v[6:7], v[4:5]
	global_load_i8 v3, v[4:5], off
	s_wait_loadcnt 0x0
	s_wait_xcnt 0x0
	v_bfe_i32 v4, v3, 0, 16
	s_delay_alu instid0(VALU_DEP_1) | instskip(NEXT) | instid1(VALU_DEP_1)
	v_ashrrev_i32_e32 v5, 31, v4
	v_cmp_le_i64_e32 vcc_lo, s[6:7], v[4:5]
	v_cmp_ge_i64_e64 s0, s[8:9], v[4:5]
	s_and_b32 s0, vcc_lo, s0
	s_delay_alu instid0(SALU_CYCLE_1)
	s_and_saveexec_b32 s38, s0
	s_cbranch_execz .LBB13_3
; %bb.12:                               ;   in Loop: Header=BB13_4 Depth=1
	v_sub_nc_u64_e64 v[4:5], v[4:5], s[6:7]
                                        ; implicit-def: $vgpr6_vgpr7
	s_mov_b32 s0, exec_lo
	s_delay_alu instid0(VALU_DEP_1) | instskip(NEXT) | instid1(VALU_DEP_1)
	v_mul_u64_e32 v[4:5], s[4:5], v[4:5]
	v_or_b32_e32 v3, s25, v5
	s_delay_alu instid0(VALU_DEP_1)
	v_cmpx_ne_u64_e32 0, v[2:3]
	s_xor_b32 s39, exec_lo, s0
	s_cbranch_execz .LBB13_14
; %bb.13:                               ;   in Loop: Header=BB13_4 Depth=1
	s_mov_b32 s31, s30
	v_dual_mov_b32 v9, v2 :: v_dual_ashrrev_i32 v6, 31, v5
	s_add_nc_u64 s[36:37], s[24:25], s[30:31]
	s_delay_alu instid0(SALU_CYCLE_1) | instskip(NEXT) | instid1(VALU_DEP_1)
	s_xor_b64 s[36:37], s[36:37], s[30:31]
	v_mov_b32_e32 v7, v6
	s_cvt_f32_u32 s0, s36
	s_cvt_f32_u32 s2, s37
	s_sub_nc_u64 s[42:43], 0, s[36:37]
	s_delay_alu instid0(VALU_DEP_1) | instskip(NEXT) | instid1(SALU_CYCLE_1)
	v_add_nc_u64_e32 v[4:5], v[4:5], v[6:7]
	s_fmamk_f32 s0, s2, 0x4f800000, s0
	v_mov_b32_e32 v13, v2
	s_delay_alu instid0(SALU_CYCLE_2) | instskip(NEXT) | instid1(VALU_DEP_2)
	v_s_rcp_f32 s0, s0
	v_xor_b32_e32 v8, v4, v6
	s_delay_alu instid0(VALU_DEP_3) | instskip(NEXT) | instid1(TRANS32_DEP_1)
	v_dual_mov_b32 v17, v2 :: v_dual_bitop2_b32 v12, v5, v6 bitop3:0x14
	s_mul_f32 s0, s0, 0x5f7ffffc
	s_delay_alu instid0(SALU_CYCLE_3) | instskip(NEXT) | instid1(SALU_CYCLE_3)
	s_mul_f32 s2, s0, 0x2f800000
	s_trunc_f32 s2, s2
	s_delay_alu instid0(SALU_CYCLE_3) | instskip(SKIP_1) | instid1(SALU_CYCLE_2)
	s_fmamk_f32 s0, s2, 0xcf800000, s0
	s_cvt_u32_f32 s41, s2
	s_cvt_u32_f32 s40, s0
	s_delay_alu instid0(SALU_CYCLE_3) | instskip(NEXT) | instid1(SALU_CYCLE_1)
	s_mul_u64 s[46:47], s[42:43], s[40:41]
	s_mul_hi_u32 s49, s40, s47
	s_mul_i32 s48, s40, s47
	s_mul_hi_u32 s2, s40, s46
	s_mul_i32 s31, s41, s46
	s_add_nc_u64 s[48:49], s[2:3], s[48:49]
	s_mul_hi_u32 s0, s41, s46
	s_mul_hi_u32 s45, s41, s47
	s_add_co_u32 s2, s48, s31
	s_add_co_ci_u32 s2, s49, s0
	s_mul_i32 s46, s41, s47
	s_add_co_ci_u32 s47, s45, 0
	s_delay_alu instid0(SALU_CYCLE_1) | instskip(NEXT) | instid1(SALU_CYCLE_1)
	s_add_nc_u64 s[46:47], s[2:3], s[46:47]
	s_add_co_u32 s40, s40, s46
	s_cselect_b32 s0, -1, 0
	s_delay_alu instid0(SALU_CYCLE_1) | instskip(SKIP_1) | instid1(SALU_CYCLE_1)
	s_cmp_lg_u32 s0, 0
	s_add_co_ci_u32 s41, s41, s47
	s_mul_u64 s[42:43], s[42:43], s[40:41]
	s_delay_alu instid0(SALU_CYCLE_1)
	s_mul_hi_u32 s47, s40, s43
	s_mul_i32 s46, s40, s43
	s_mul_hi_u32 s2, s40, s42
	s_mul_i32 s31, s41, s42
	s_add_nc_u64 s[46:47], s[2:3], s[46:47]
	s_mul_hi_u32 s0, s41, s42
	s_mul_hi_u32 s45, s41, s43
	s_add_co_u32 s2, s46, s31
	s_add_co_ci_u32 s2, s47, s0
	s_mul_i32 s42, s41, s43
	s_add_co_ci_u32 s43, s45, 0
	s_delay_alu instid0(SALU_CYCLE_1) | instskip(NEXT) | instid1(SALU_CYCLE_1)
	s_add_nc_u64 s[42:43], s[2:3], s[42:43]
	s_add_co_u32 s0, s40, s42
	s_cselect_b32 s2, -1, 0
	v_mul_hi_u32 v16, v8, s0
	s_cmp_lg_u32 s2, 0
	s_add_co_ci_u32 s2, s41, s43
	s_and_b64 s[40:41], s[0:1], s[28:29]
	v_mul_u64_e32 v[10:11], s[2:3], v[8:9]
	v_mul_u64_e32 v[4:5], s[40:41], v[12:13]
	;; [unrolled: 1-line block ×3, first 2 shown]
	s_delay_alu instid0(VALU_DEP_3) | instskip(NEXT) | instid1(VALU_DEP_1)
	v_add_nc_u64_e32 v[10:11], v[16:17], v[10:11]
	v_add_co_u32 v3, vcc_lo, v10, v4
	s_delay_alu instid0(VALU_DEP_2) | instskip(NEXT) | instid1(VALU_DEP_4)
	v_add_co_ci_u32_e32 v16, vcc_lo, v11, v5, vcc_lo
	v_add_co_ci_u32_e32 v15, vcc_lo, 0, v15, vcc_lo
	s_delay_alu instid0(VALU_DEP_1) | instskip(NEXT) | instid1(VALU_DEP_1)
	v_add_nc_u64_e32 v[4:5], v[16:17], v[14:15]
	v_mul_u64_e32 v[10:11], s[36:37], v[4:5]
	s_delay_alu instid0(VALU_DEP_1) | instskip(NEXT) | instid1(VALU_DEP_2)
	v_sub_nc_u32_e32 v3, v12, v11
	v_sub_co_u32 v7, vcc_lo, v8, v10
	s_delay_alu instid0(VALU_DEP_1) | instskip(NEXT) | instid1(VALU_DEP_3)
	v_sub_co_ci_u32_e64 v12, null, v12, v11, vcc_lo
	v_subrev_co_ci_u32_e64 v3, null, s37, v3, vcc_lo
	s_delay_alu instid0(VALU_DEP_3) | instskip(SKIP_1) | instid1(VALU_DEP_3)
	v_sub_co_u32 v8, s0, v7, s36
	v_add_nc_u64_e32 v[10:11], 1, v[4:5]
	v_subrev_co_ci_u32_e64 v3, null, 0, v3, s0
	s_delay_alu instid0(VALU_DEP_3) | instskip(SKIP_1) | instid1(VALU_DEP_3)
	v_cmp_le_u32_e32 vcc_lo, s36, v8
	v_cndmask_b32_e64 v8, 0, -1, vcc_lo
	v_cmp_le_u32_e32 vcc_lo, s37, v3
	v_cndmask_b32_e64 v9, 0, -1, vcc_lo
	;; [unrolled: 2-line block ×4, first 2 shown]
	v_cmp_eq_u32_e32 vcc_lo, s37, v3
	v_cndmask_b32_e32 v3, v9, v8, vcc_lo
	v_cmp_eq_u32_e32 vcc_lo, s37, v12
	v_add_nc_u64_e32 v[8:9], 2, v[4:5]
	v_cndmask_b32_e32 v7, v13, v7, vcc_lo
	s_delay_alu instid0(VALU_DEP_4) | instskip(NEXT) | instid1(VALU_DEP_3)
	v_cmp_ne_u32_e32 vcc_lo, 0, v3
	v_cndmask_b32_e32 v3, v11, v9, vcc_lo
	s_delay_alu instid0(VALU_DEP_3) | instskip(SKIP_1) | instid1(VALU_DEP_2)
	v_cmp_ne_u32_e64 s0, 0, v7
	v_dual_cndmask_b32 v7, v10, v8, vcc_lo :: v_dual_bitop2_b32 v6, s30, v6 bitop3:0x14
	v_cndmask_b32_e64 v3, v5, v3, s0
	s_delay_alu instid0(VALU_DEP_2) | instskip(NEXT) | instid1(VALU_DEP_2)
	v_dual_cndmask_b32 v4, v4, v7, s0 :: v_dual_mov_b32 v7, v6
	v_xor_b32_e32 v5, v3, v6
	s_delay_alu instid0(VALU_DEP_2) | instskip(NEXT) | instid1(VALU_DEP_1)
	v_xor_b32_e32 v4, v4, v6
	v_sub_nc_u64_e32 v[6:7], v[4:5], v[6:7]
                                        ; implicit-def: $vgpr4_vgpr5
.LBB13_14:                              ;   in Loop: Header=BB13_4 Depth=1
	s_and_not1_saveexec_b32 s0, s39
	s_cbranch_execz .LBB13_2
; %bb.15:                               ;   in Loop: Header=BB13_4 Depth=1
	v_cvt_f32_u32_e32 v3, s24
	s_sub_co_i32 s2, 0, s24
	s_delay_alu instid0(VALU_DEP_1) | instskip(SKIP_1) | instid1(TRANS32_DEP_1)
	v_rcp_iflag_f32_e32 v3, v3
	v_nop
	v_mul_f32_e32 v3, 0x4f7ffffe, v3
	s_delay_alu instid0(VALU_DEP_1) | instskip(NEXT) | instid1(VALU_DEP_1)
	v_cvt_u32_f32_e32 v3, v3
	v_mul_lo_u32 v5, s2, v3
	s_delay_alu instid0(VALU_DEP_1) | instskip(NEXT) | instid1(VALU_DEP_1)
	v_mul_hi_u32 v5, v3, v5
	v_add_nc_u32_e32 v3, v3, v5
	s_delay_alu instid0(VALU_DEP_1) | instskip(NEXT) | instid1(VALU_DEP_1)
	v_mul_hi_u32 v3, v4, v3
	v_mul_lo_u32 v5, v3, s24
	s_delay_alu instid0(VALU_DEP_1) | instskip(NEXT) | instid1(VALU_DEP_1)
	v_dual_sub_nc_u32 v4, v4, v5 :: v_dual_add_nc_u32 v5, 1, v3
	v_subrev_nc_u32_e32 v6, s24, v4
	v_cmp_le_u32_e32 vcc_lo, s24, v4
	s_delay_alu instid0(VALU_DEP_2) | instskip(NEXT) | instid1(VALU_DEP_1)
	v_dual_cndmask_b32 v4, v4, v6 :: v_dual_cndmask_b32 v3, v3, v5
	v_cmp_le_u32_e32 vcc_lo, s24, v4
	s_delay_alu instid0(VALU_DEP_2) | instskip(NEXT) | instid1(VALU_DEP_1)
	v_add_nc_u32_e32 v5, 1, v3
	v_cndmask_b32_e32 v6, v3, v5, vcc_lo
	s_branch .LBB13_2
.LBB13_16:
	s_endpgm
	.section	.rodata,"a",@progbits
	.p2align	6, 0x0
	.amdhsa_kernel _ZN2at4cuda17kernelHistogram1DIfalLi1ELi2ELin1ELNS0_23CUDAHistogramMemoryTypeE1EZNS0_21CUDA_tensor_histogramIfaLb1EEEbNS_6TensorES4_S4_lNS_14AccumulateTypeIT0_Lb1EE4typeES8_NS0_13TensorArgTypeES9_S9_EUllE_EEvNS0_6detail10TensorInfoIT_T1_EESF_NSC_IKS6_SE_EElS8_S8_SE_T6_
		.amdhsa_group_segment_fixed_size 0
		.amdhsa_private_segment_fixed_size 0
		.amdhsa_kernarg_size 1952
		.amdhsa_user_sgpr_count 2
		.amdhsa_user_sgpr_dispatch_ptr 0
		.amdhsa_user_sgpr_queue_ptr 0
		.amdhsa_user_sgpr_kernarg_segment_ptr 1
		.amdhsa_user_sgpr_dispatch_id 0
		.amdhsa_user_sgpr_kernarg_preload_length 0
		.amdhsa_user_sgpr_kernarg_preload_offset 0
		.amdhsa_user_sgpr_private_segment_size 0
		.amdhsa_wavefront_size32 1
		.amdhsa_uses_dynamic_stack 0
		.amdhsa_enable_private_segment 0
		.amdhsa_system_sgpr_workgroup_id_x 1
		.amdhsa_system_sgpr_workgroup_id_y 0
		.amdhsa_system_sgpr_workgroup_id_z 0
		.amdhsa_system_sgpr_workgroup_info 0
		.amdhsa_system_vgpr_workitem_id 0
		.amdhsa_next_free_vgpr 22
		.amdhsa_next_free_sgpr 55
		.amdhsa_named_barrier_count 0
		.amdhsa_reserve_vcc 1
		.amdhsa_float_round_mode_32 0
		.amdhsa_float_round_mode_16_64 0
		.amdhsa_float_denorm_mode_32 3
		.amdhsa_float_denorm_mode_16_64 3
		.amdhsa_fp16_overflow 0
		.amdhsa_memory_ordered 1
		.amdhsa_forward_progress 1
		.amdhsa_inst_pref_size 17
		.amdhsa_round_robin_scheduling 0
		.amdhsa_exception_fp_ieee_invalid_op 0
		.amdhsa_exception_fp_denorm_src 0
		.amdhsa_exception_fp_ieee_div_zero 0
		.amdhsa_exception_fp_ieee_overflow 0
		.amdhsa_exception_fp_ieee_underflow 0
		.amdhsa_exception_fp_ieee_inexact 0
		.amdhsa_exception_int_div_zero 0
	.end_amdhsa_kernel
	.section	.text._ZN2at4cuda17kernelHistogram1DIfalLi1ELi2ELin1ELNS0_23CUDAHistogramMemoryTypeE1EZNS0_21CUDA_tensor_histogramIfaLb1EEEbNS_6TensorES4_S4_lNS_14AccumulateTypeIT0_Lb1EE4typeES8_NS0_13TensorArgTypeES9_S9_EUllE_EEvNS0_6detail10TensorInfoIT_T1_EESF_NSC_IKS6_SE_EElS8_S8_SE_T6_,"axG",@progbits,_ZN2at4cuda17kernelHistogram1DIfalLi1ELi2ELin1ELNS0_23CUDAHistogramMemoryTypeE1EZNS0_21CUDA_tensor_histogramIfaLb1EEEbNS_6TensorES4_S4_lNS_14AccumulateTypeIT0_Lb1EE4typeES8_NS0_13TensorArgTypeES9_S9_EUllE_EEvNS0_6detail10TensorInfoIT_T1_EESF_NSC_IKS6_SE_EElS8_S8_SE_T6_,comdat
.Lfunc_end13:
	.size	_ZN2at4cuda17kernelHistogram1DIfalLi1ELi2ELin1ELNS0_23CUDAHistogramMemoryTypeE1EZNS0_21CUDA_tensor_histogramIfaLb1EEEbNS_6TensorES4_S4_lNS_14AccumulateTypeIT0_Lb1EE4typeES8_NS0_13TensorArgTypeES9_S9_EUllE_EEvNS0_6detail10TensorInfoIT_T1_EESF_NSC_IKS6_SE_EElS8_S8_SE_T6_, .Lfunc_end13-_ZN2at4cuda17kernelHistogram1DIfalLi1ELi2ELin1ELNS0_23CUDAHistogramMemoryTypeE1EZNS0_21CUDA_tensor_histogramIfaLb1EEEbNS_6TensorES4_S4_lNS_14AccumulateTypeIT0_Lb1EE4typeES8_NS0_13TensorArgTypeES9_S9_EUllE_EEvNS0_6detail10TensorInfoIT_T1_EESF_NSC_IKS6_SE_EElS8_S8_SE_T6_
                                        ; -- End function
	.set _ZN2at4cuda17kernelHistogram1DIfalLi1ELi2ELin1ELNS0_23CUDAHistogramMemoryTypeE1EZNS0_21CUDA_tensor_histogramIfaLb1EEEbNS_6TensorES4_S4_lNS_14AccumulateTypeIT0_Lb1EE4typeES8_NS0_13TensorArgTypeES9_S9_EUllE_EEvNS0_6detail10TensorInfoIT_T1_EESF_NSC_IKS6_SE_EElS8_S8_SE_T6_.num_vgpr, 22
	.set _ZN2at4cuda17kernelHistogram1DIfalLi1ELi2ELin1ELNS0_23CUDAHistogramMemoryTypeE1EZNS0_21CUDA_tensor_histogramIfaLb1EEEbNS_6TensorES4_S4_lNS_14AccumulateTypeIT0_Lb1EE4typeES8_NS0_13TensorArgTypeES9_S9_EUllE_EEvNS0_6detail10TensorInfoIT_T1_EESF_NSC_IKS6_SE_EElS8_S8_SE_T6_.num_agpr, 0
	.set _ZN2at4cuda17kernelHistogram1DIfalLi1ELi2ELin1ELNS0_23CUDAHistogramMemoryTypeE1EZNS0_21CUDA_tensor_histogramIfaLb1EEEbNS_6TensorES4_S4_lNS_14AccumulateTypeIT0_Lb1EE4typeES8_NS0_13TensorArgTypeES9_S9_EUllE_EEvNS0_6detail10TensorInfoIT_T1_EESF_NSC_IKS6_SE_EElS8_S8_SE_T6_.numbered_sgpr, 55
	.set _ZN2at4cuda17kernelHistogram1DIfalLi1ELi2ELin1ELNS0_23CUDAHistogramMemoryTypeE1EZNS0_21CUDA_tensor_histogramIfaLb1EEEbNS_6TensorES4_S4_lNS_14AccumulateTypeIT0_Lb1EE4typeES8_NS0_13TensorArgTypeES9_S9_EUllE_EEvNS0_6detail10TensorInfoIT_T1_EESF_NSC_IKS6_SE_EElS8_S8_SE_T6_.num_named_barrier, 0
	.set _ZN2at4cuda17kernelHistogram1DIfalLi1ELi2ELin1ELNS0_23CUDAHistogramMemoryTypeE1EZNS0_21CUDA_tensor_histogramIfaLb1EEEbNS_6TensorES4_S4_lNS_14AccumulateTypeIT0_Lb1EE4typeES8_NS0_13TensorArgTypeES9_S9_EUllE_EEvNS0_6detail10TensorInfoIT_T1_EESF_NSC_IKS6_SE_EElS8_S8_SE_T6_.private_seg_size, 0
	.set _ZN2at4cuda17kernelHistogram1DIfalLi1ELi2ELin1ELNS0_23CUDAHistogramMemoryTypeE1EZNS0_21CUDA_tensor_histogramIfaLb1EEEbNS_6TensorES4_S4_lNS_14AccumulateTypeIT0_Lb1EE4typeES8_NS0_13TensorArgTypeES9_S9_EUllE_EEvNS0_6detail10TensorInfoIT_T1_EESF_NSC_IKS6_SE_EElS8_S8_SE_T6_.uses_vcc, 1
	.set _ZN2at4cuda17kernelHistogram1DIfalLi1ELi2ELin1ELNS0_23CUDAHistogramMemoryTypeE1EZNS0_21CUDA_tensor_histogramIfaLb1EEEbNS_6TensorES4_S4_lNS_14AccumulateTypeIT0_Lb1EE4typeES8_NS0_13TensorArgTypeES9_S9_EUllE_EEvNS0_6detail10TensorInfoIT_T1_EESF_NSC_IKS6_SE_EElS8_S8_SE_T6_.uses_flat_scratch, 0
	.set _ZN2at4cuda17kernelHistogram1DIfalLi1ELi2ELin1ELNS0_23CUDAHistogramMemoryTypeE1EZNS0_21CUDA_tensor_histogramIfaLb1EEEbNS_6TensorES4_S4_lNS_14AccumulateTypeIT0_Lb1EE4typeES8_NS0_13TensorArgTypeES9_S9_EUllE_EEvNS0_6detail10TensorInfoIT_T1_EESF_NSC_IKS6_SE_EElS8_S8_SE_T6_.has_dyn_sized_stack, 0
	.set _ZN2at4cuda17kernelHistogram1DIfalLi1ELi2ELin1ELNS0_23CUDAHistogramMemoryTypeE1EZNS0_21CUDA_tensor_histogramIfaLb1EEEbNS_6TensorES4_S4_lNS_14AccumulateTypeIT0_Lb1EE4typeES8_NS0_13TensorArgTypeES9_S9_EUllE_EEvNS0_6detail10TensorInfoIT_T1_EESF_NSC_IKS6_SE_EElS8_S8_SE_T6_.has_recursion, 0
	.set _ZN2at4cuda17kernelHistogram1DIfalLi1ELi2ELin1ELNS0_23CUDAHistogramMemoryTypeE1EZNS0_21CUDA_tensor_histogramIfaLb1EEEbNS_6TensorES4_S4_lNS_14AccumulateTypeIT0_Lb1EE4typeES8_NS0_13TensorArgTypeES9_S9_EUllE_EEvNS0_6detail10TensorInfoIT_T1_EESF_NSC_IKS6_SE_EElS8_S8_SE_T6_.has_indirect_call, 0
	.section	.AMDGPU.csdata,"",@progbits
; Kernel info:
; codeLenInByte = 2112
; TotalNumSgprs: 57
; NumVgprs: 22
; ScratchSize: 0
; MemoryBound: 0
; FloatMode: 240
; IeeeMode: 1
; LDSByteSize: 0 bytes/workgroup (compile time only)
; SGPRBlocks: 0
; VGPRBlocks: 1
; NumSGPRsForWavesPerEU: 57
; NumVGPRsForWavesPerEU: 22
; NamedBarCnt: 0
; Occupancy: 16
; WaveLimiterHint : 1
; COMPUTE_PGM_RSRC2:SCRATCH_EN: 0
; COMPUTE_PGM_RSRC2:USER_SGPR: 2
; COMPUTE_PGM_RSRC2:TRAP_HANDLER: 0
; COMPUTE_PGM_RSRC2:TGID_X_EN: 1
; COMPUTE_PGM_RSRC2:TGID_Y_EN: 0
; COMPUTE_PGM_RSRC2:TGID_Z_EN: 0
; COMPUTE_PGM_RSRC2:TIDIG_COMP_CNT: 0
	.section	.text._ZN2at4cuda17kernelHistogram1DIfalLi1ELi2ELin1ELNS0_23CUDAHistogramMemoryTypeE0EZNS0_21CUDA_tensor_histogramIfaLb1EEEbNS_6TensorES4_S4_lNS_14AccumulateTypeIT0_Lb1EE4typeES8_NS0_13TensorArgTypeES9_S9_EUllE0_EEvNS0_6detail10TensorInfoIT_T1_EESF_NSC_IKS6_SE_EElS8_S8_SE_T6_,"axG",@progbits,_ZN2at4cuda17kernelHistogram1DIfalLi1ELi2ELin1ELNS0_23CUDAHistogramMemoryTypeE0EZNS0_21CUDA_tensor_histogramIfaLb1EEEbNS_6TensorES4_S4_lNS_14AccumulateTypeIT0_Lb1EE4typeES8_NS0_13TensorArgTypeES9_S9_EUllE0_EEvNS0_6detail10TensorInfoIT_T1_EESF_NSC_IKS6_SE_EElS8_S8_SE_T6_,comdat
	.protected	_ZN2at4cuda17kernelHistogram1DIfalLi1ELi2ELin1ELNS0_23CUDAHistogramMemoryTypeE0EZNS0_21CUDA_tensor_histogramIfaLb1EEEbNS_6TensorES4_S4_lNS_14AccumulateTypeIT0_Lb1EE4typeES8_NS0_13TensorArgTypeES9_S9_EUllE0_EEvNS0_6detail10TensorInfoIT_T1_EESF_NSC_IKS6_SE_EElS8_S8_SE_T6_ ; -- Begin function _ZN2at4cuda17kernelHistogram1DIfalLi1ELi2ELin1ELNS0_23CUDAHistogramMemoryTypeE0EZNS0_21CUDA_tensor_histogramIfaLb1EEEbNS_6TensorES4_S4_lNS_14AccumulateTypeIT0_Lb1EE4typeES8_NS0_13TensorArgTypeES9_S9_EUllE0_EEvNS0_6detail10TensorInfoIT_T1_EESF_NSC_IKS6_SE_EElS8_S8_SE_T6_
	.globl	_ZN2at4cuda17kernelHistogram1DIfalLi1ELi2ELin1ELNS0_23CUDAHistogramMemoryTypeE0EZNS0_21CUDA_tensor_histogramIfaLb1EEEbNS_6TensorES4_S4_lNS_14AccumulateTypeIT0_Lb1EE4typeES8_NS0_13TensorArgTypeES9_S9_EUllE0_EEvNS0_6detail10TensorInfoIT_T1_EESF_NSC_IKS6_SE_EElS8_S8_SE_T6_
	.p2align	8
	.type	_ZN2at4cuda17kernelHistogram1DIfalLi1ELi2ELin1ELNS0_23CUDAHistogramMemoryTypeE0EZNS0_21CUDA_tensor_histogramIfaLb1EEEbNS_6TensorES4_S4_lNS_14AccumulateTypeIT0_Lb1EE4typeES8_NS0_13TensorArgTypeES9_S9_EUllE0_EEvNS0_6detail10TensorInfoIT_T1_EESF_NSC_IKS6_SE_EElS8_S8_SE_T6_,@function
_ZN2at4cuda17kernelHistogram1DIfalLi1ELi2ELin1ELNS0_23CUDAHistogramMemoryTypeE0EZNS0_21CUDA_tensor_histogramIfaLb1EEEbNS_6TensorES4_S4_lNS_14AccumulateTypeIT0_Lb1EE4typeES8_NS0_13TensorArgTypeES9_S9_EUllE0_EEvNS0_6detail10TensorInfoIT_T1_EESF_NSC_IKS6_SE_EElS8_S8_SE_T6_: ; @_ZN2at4cuda17kernelHistogram1DIfalLi1ELi2ELin1ELNS0_23CUDAHistogramMemoryTypeE0EZNS0_21CUDA_tensor_histogramIfaLb1EEEbNS_6TensorES4_S4_lNS_14AccumulateTypeIT0_Lb1EE4typeES8_NS0_13TensorArgTypeES9_S9_EUllE0_EEvNS0_6detail10TensorInfoIT_T1_EESF_NSC_IKS6_SE_EElS8_S8_SE_T6_
; %bb.0:
	s_load_b128 s[12:15], s[0:1], 0x0
	v_mov_b32_e32 v1, 0
	s_add_nc_u64 s[22:23], s[0:1], 0x508
	s_mov_b32 s3, exec_lo
                                        ; implicit-def: $sgpr4
	s_wait_kmcnt 0x0
	s_delay_alu instid0(VALU_DEP_1)
	v_cmp_gt_i64_e64 s2, s[14:15], v[0:1]
	v_cmpx_le_i64_e64 s[14:15], v[0:1]
	s_xor_b32 s3, exec_lo, s3
; %bb.1:
	s_load_b32 s4, s[22:23], 0xc
; %bb.2:
	s_or_saveexec_b32 s3, s3
	s_wait_kmcnt 0x0
	v_mov_b32_e32 v4, s4
	s_xor_b32 exec_lo, exec_lo, s3
	s_cbranch_execz .LBB14_12
; %bb.3:
	v_dual_mov_b32 v5, 0 :: v_dual_add_nc_u32 v4, 1, v0
	s_load_b32 s6, s[22:23], 0xc
	s_mov_b32 s8, -1
	s_delay_alu instid0(VALU_DEP_1) | instskip(SKIP_2) | instid1(SALU_CYCLE_1)
	v_max_i64 v[2:3], s[14:15], v[4:5]
	s_wait_kmcnt 0x0
	s_and_b32 s4, s6, 0xffff
	s_cmp_eq_u32 s4, 1
	s_cselect_b32 s5, -1, 0
	s_delay_alu instid0(VALU_DEP_1) | instskip(SKIP_1) | instid1(VALU_DEP_2)
	v_sub_nc_u64_e32 v[6:7], v[2:3], v[0:1]
	v_mov_b64_e32 v[2:3], v[0:1]
	v_cmp_lt_u64_e32 vcc_lo, 1, v[6:7]
	s_and_b32 s7, vcc_lo, s5
	s_delay_alu instid0(SALU_CYCLE_1)
	s_and_saveexec_b32 s5, s7
	s_cbranch_execz .LBB14_7
; %bb.4:
	v_dual_mov_b32 v3, v7 :: v_dual_bitop2_b32 v2, -2, v6 bitop3:0x40
	v_lshl_add_u32 v4, v0, 2, 0
	s_mov_b32 s7, 0
	s_delay_alu instid0(VALU_DEP_2)
	v_mov_b64_e32 v[8:9], v[2:3]
.LBB14_5:                               ; =>This Inner Loop Header: Depth=1
	s_delay_alu instid0(VALU_DEP_1) | instskip(SKIP_4) | instid1(SALU_CYCLE_1)
	v_add_nc_u64_e32 v[8:9], -2, v[8:9]
	ds_store_2addr_b32 v4, v5, v5 offset1:1
	v_add_nc_u32_e32 v4, 8, v4
	v_cmp_eq_u64_e32 vcc_lo, 0, v[8:9]
	s_or_b32 s7, vcc_lo, s7
	s_and_not1_b32 exec_lo, exec_lo, s7
	s_cbranch_execnz .LBB14_5
; %bb.6:
	s_or_b32 exec_lo, exec_lo, s7
	v_cmp_ne_u64_e32 vcc_lo, v[6:7], v[2:3]
	v_add_nc_u64_e32 v[2:3], v[2:3], v[0:1]
	s_or_not1_b32 s8, vcc_lo, exec_lo
.LBB14_7:
	s_or_b32 exec_lo, exec_lo, s5
	v_mov_b32_e32 v4, 1
	s_and_saveexec_b32 s7, s8
	s_cbranch_execz .LBB14_11
; %bb.8:
	s_delay_alu instid0(VALU_DEP_2)
	v_lshl_add_u32 v4, v2, 2, 0
	v_mov_b32_e32 v5, 0
	s_mov_b32 s5, 0
	s_lshl_b32 s9, s4, 2
	s_mov_b32 s8, s5
.LBB14_9:                               ; =>This Inner Loop Header: Depth=1
	v_add_nc_u64_e32 v[2:3], s[4:5], v[2:3]
	ds_store_b32 v4, v5
	v_add_nc_u32_e32 v4, s9, v4
	v_cmp_le_i64_e32 vcc_lo, s[14:15], v[2:3]
	s_or_b32 s8, vcc_lo, s8
	s_delay_alu instid0(SALU_CYCLE_1)
	s_and_not1_b32 exec_lo, exec_lo, s8
	s_cbranch_execnz .LBB14_9
; %bb.10:
	s_or_b32 exec_lo, exec_lo, s8
	v_mov_b32_e32 v4, s6
.LBB14_11:
	s_or_b32 exec_lo, exec_lo, s7
.LBB14_12:
	s_delay_alu instid0(SALU_CYCLE_1)
	s_or_b32 exec_lo, exec_lo, s3
	s_bfe_u32 s3, ttmp6, 0x4000c
	s_load_b256 s[4:11], s[0:1], 0x4e0
	s_add_co_i32 s3, s3, 1
	s_and_b32 s16, ttmp6, 15
	s_mul_i32 s3, ttmp9, s3
	s_getreg_b32 s17, hwreg(HW_REG_IB_STS2, 6, 4)
	v_and_b32_e32 v2, 0xffff, v4
	s_add_co_i32 s16, s16, s3
	s_cmp_eq_u32 s17, 0
	v_mov_b32_e32 v6, 0
	s_cselect_b32 s3, ttmp9, s16
	s_mov_b32 s17, 0
	v_mad_u32 v4, s3, v2, v0
	s_mov_b32 s33, exec_lo
	v_mov_b32_e32 v5, v6
	s_wait_dscnt 0x0
	s_barrier_signal -1
	s_barrier_wait -1
	s_wait_kmcnt 0x0
	s_delay_alu instid0(VALU_DEP_2)
	v_cmpx_gt_i64_e64 s[10:11], v[4:5]
	s_cbranch_execz .LBB14_28
; %bb.13:
	s_load_b32 s3, s[0:1], 0x4d8
	s_load_b32 s16, s[22:23], 0x0
	s_clause 0x1
	s_load_b64 s[18:19], s[0:1], 0x410
	s_load_b64 s[20:21], s[0:1], 0x340
	s_add_nc_u64 s[26:27], s[0:1], 0x340
	v_dual_mov_b32 v9, v6 :: v_dual_mov_b32 v3, 1.0
	s_wait_xcnt 0x0
	s_sub_nc_u64 s[22:23], s[8:9], s[6:7]
	s_mov_b64 s[24:25], 0xffffffff
	s_mov_b32 s42, 0
	s_wait_kmcnt 0x0
	s_cmp_gt_i32 s3, 1
	v_mul_lo_u32 v8, s16, v2
	s_cselect_b32 s40, -1, 0
	s_add_co_i32 s16, s3, -1
	s_add_co_i32 s41, s3, 1
	s_lshl_b64 s[28:29], s[16:17], 3
	s_delay_alu instid0(SALU_CYCLE_1)
	s_add_nc_u64 s[26:27], s[26:27], s[28:29]
	s_ashr_i32 s28, s23, 31
	s_add_nc_u64 s[26:27], s[26:27], 8
	s_branch .LBB14_16
.LBB14_14:                              ;   in Loop: Header=BB14_16 Depth=1
	s_or_b32 exec_lo, exec_lo, s3
	s_delay_alu instid0(VALU_DEP_1) | instskip(NEXT) | instid1(VALU_DEP_1)
	v_ashrrev_i32_e32 v13, 31, v12
	v_cmp_eq_u64_e32 vcc_lo, s[4:5], v[12:13]
	v_subrev_co_ci_u32_e64 v7, null, 0, v12, vcc_lo
	s_delay_alu instid0(VALU_DEP_1)
	v_lshl_add_u32 v7, v7, 2, 0
	ds_add_f32 v7, v3
.LBB14_15:                              ;   in Loop: Header=BB14_16 Depth=1
	s_or_b32 exec_lo, exec_lo, s34
	v_add_nc_u64_e32 v[4:5], v[4:5], v[8:9]
	s_delay_alu instid0(VALU_DEP_1) | instskip(SKIP_1) | instid1(SALU_CYCLE_1)
	v_cmp_le_i64_e32 vcc_lo, s[10:11], v[4:5]
	s_or_b32 s42, vcc_lo, s42
	s_and_not1_b32 exec_lo, exec_lo, s42
	s_cbranch_execz .LBB14_28
.LBB14_16:                              ; =>This Loop Header: Depth=1
                                        ;     Child Loop BB14_17 Depth 2
	v_mov_b64_e32 v[10:11], 0
	v_mov_b64_e32 v[12:13], v[4:5]
	;; [unrolled: 1-line block ×3, first 2 shown]
	s_and_not1_b32 vcc_lo, exec_lo, s40
	s_mov_b64 s[30:31], s[26:27]
	s_mov_b32 s29, s41
	s_cbranch_vccnz .LBB14_23
.LBB14_17:                              ;   Parent Loop BB14_16 Depth=1
                                        ; =>  This Inner Loop Header: Depth=2
	s_load_b64 s[34:35], s[30:31], 0x0
                                        ; implicit-def: $vgpr14_vgpr15
	s_mov_b32 s3, exec_lo
	s_wait_kmcnt 0x0
	s_delay_alu instid0(VALU_DEP_1) | instskip(NEXT) | instid1(VALU_DEP_1)
	v_or_b32_e32 v7, s35, v13
	v_cmpx_ne_u64_e32 0, v[6:7]
	s_xor_b32 s43, exec_lo, s3
	s_cbranch_execz .LBB14_19
; %bb.18:                               ;   in Loop: Header=BB14_17 Depth=2
	s_ashr_i32 s36, s35, 31
	v_dual_mov_b32 v19, v6 :: v_dual_ashrrev_i32 v14, 31, v13
	s_mov_b32 s37, s36
	v_mov_b32_e32 v27, v6
	s_add_nc_u64 s[38:39], s[34:35], s[36:37]
	s_delay_alu instid0(VALU_DEP_2) | instskip(SKIP_1) | instid1(SALU_CYCLE_1)
	v_mov_b32_e32 v15, v14
	s_xor_b64 s[38:39], s[38:39], s[36:37]
	s_cvt_f32_u32 s3, s38
	s_cvt_f32_u32 s16, s39
	s_sub_nc_u64 s[46:47], 0, s[38:39]
	v_add_nc_u64_e32 v[16:17], v[12:13], v[14:15]
	v_mov_b32_e32 v23, v6
	s_fmamk_f32 s3, s16, 0x4f800000, s3
	s_delay_alu instid0(SALU_CYCLE_3) | instskip(NEXT) | instid1(VALU_DEP_2)
	v_s_rcp_f32 s3, s3
	v_xor_b32_e32 v18, v16, v14
	s_delay_alu instid0(VALU_DEP_3) | instskip(NEXT) | instid1(TRANS32_DEP_1)
	v_xor_b32_e32 v22, v17, v14
	s_mul_f32 s3, s3, 0x5f7ffffc
	s_delay_alu instid0(SALU_CYCLE_3) | instskip(NEXT) | instid1(SALU_CYCLE_3)
	s_mul_f32 s16, s3, 0x2f800000
	s_trunc_f32 s16, s16
	s_delay_alu instid0(SALU_CYCLE_3) | instskip(SKIP_1) | instid1(SALU_CYCLE_2)
	s_fmamk_f32 s3, s16, 0xcf800000, s3
	s_cvt_u32_f32 s45, s16
	s_cvt_u32_f32 s44, s3
	s_delay_alu instid0(SALU_CYCLE_3) | instskip(NEXT) | instid1(SALU_CYCLE_1)
	s_mul_u64 s[48:49], s[46:47], s[44:45]
	s_mul_hi_u32 s51, s44, s49
	s_mul_i32 s50, s44, s49
	s_mul_hi_u32 s16, s44, s48
	s_mul_i32 s37, s45, s48
	s_add_nc_u64 s[50:51], s[16:17], s[50:51]
	s_mul_hi_u32 s3, s45, s48
	s_mul_hi_u32 s52, s45, s49
	s_add_co_u32 s16, s50, s37
	s_add_co_ci_u32 s16, s51, s3
	s_mul_i32 s48, s45, s49
	s_add_co_ci_u32 s49, s52, 0
	s_delay_alu instid0(SALU_CYCLE_1) | instskip(NEXT) | instid1(SALU_CYCLE_1)
	s_add_nc_u64 s[48:49], s[16:17], s[48:49]
	s_add_co_u32 s44, s44, s48
	s_cselect_b32 s3, -1, 0
	s_delay_alu instid0(SALU_CYCLE_1) | instskip(SKIP_1) | instid1(SALU_CYCLE_1)
	s_cmp_lg_u32 s3, 0
	s_add_co_ci_u32 s45, s45, s49
	s_mul_u64 s[46:47], s[46:47], s[44:45]
	s_delay_alu instid0(SALU_CYCLE_1)
	s_mul_hi_u32 s49, s44, s47
	s_mul_i32 s48, s44, s47
	s_mul_hi_u32 s16, s44, s46
	s_mul_i32 s37, s45, s46
	s_add_nc_u64 s[48:49], s[16:17], s[48:49]
	s_mul_hi_u32 s3, s45, s46
	s_mul_hi_u32 s50, s45, s47
	s_add_co_u32 s16, s48, s37
	s_add_co_ci_u32 s16, s49, s3
	s_mul_i32 s46, s45, s47
	s_add_co_ci_u32 s47, s50, 0
	s_delay_alu instid0(SALU_CYCLE_1) | instskip(NEXT) | instid1(SALU_CYCLE_1)
	s_add_nc_u64 s[46:47], s[16:17], s[46:47]
	s_add_co_u32 s44, s44, s46
	s_cselect_b32 s3, -1, 0
	v_mul_hi_u32 v26, v18, s44
	s_cmp_lg_u32 s3, 0
	s_add_co_ci_u32 s16, s45, s47
	s_and_b64 s[46:47], s[44:45], s[24:25]
	v_mul_u64_e32 v[20:21], s[16:17], v[18:19]
	v_mul_u64_e32 v[16:17], s[46:47], v[22:23]
	;; [unrolled: 1-line block ×3, first 2 shown]
	s_delay_alu instid0(VALU_DEP_3) | instskip(NEXT) | instid1(VALU_DEP_1)
	v_add_nc_u64_e32 v[20:21], v[26:27], v[20:21]
	v_add_co_u32 v7, vcc_lo, v20, v16
	s_delay_alu instid0(VALU_DEP_2) | instskip(NEXT) | instid1(VALU_DEP_4)
	v_add_co_ci_u32_e32 v26, vcc_lo, v21, v17, vcc_lo
	v_add_co_ci_u32_e32 v25, vcc_lo, 0, v25, vcc_lo
	s_delay_alu instid0(VALU_DEP_1) | instskip(NEXT) | instid1(VALU_DEP_1)
	v_add_nc_u64_e32 v[16:17], v[26:27], v[24:25]
	v_mul_u64_e32 v[20:21], s[38:39], v[16:17]
	s_delay_alu instid0(VALU_DEP_1) | instskip(NEXT) | instid1(VALU_DEP_2)
	v_sub_nc_u32_e32 v7, v22, v21
	v_sub_co_u32 v15, vcc_lo, v18, v20
	s_delay_alu instid0(VALU_DEP_1) | instskip(NEXT) | instid1(VALU_DEP_3)
	v_sub_co_ci_u32_e64 v22, null, v22, v21, vcc_lo
	v_subrev_co_ci_u32_e64 v7, null, s39, v7, vcc_lo
	s_delay_alu instid0(VALU_DEP_3) | instskip(SKIP_1) | instid1(VALU_DEP_3)
	v_sub_co_u32 v18, s3, v15, s38
	v_add_nc_u64_e32 v[20:21], 1, v[16:17]
	v_subrev_co_ci_u32_e64 v7, null, 0, v7, s3
	s_delay_alu instid0(VALU_DEP_3) | instskip(SKIP_1) | instid1(VALU_DEP_3)
	v_cmp_le_u32_e32 vcc_lo, s38, v18
	v_cndmask_b32_e64 v18, 0, -1, vcc_lo
	v_cmp_le_u32_e32 vcc_lo, s39, v7
	v_cndmask_b32_e64 v19, 0, -1, vcc_lo
	;; [unrolled: 2-line block ×4, first 2 shown]
	v_cmp_eq_u32_e32 vcc_lo, s39, v7
	v_cndmask_b32_e32 v7, v19, v18, vcc_lo
	v_cmp_eq_u32_e32 vcc_lo, s39, v22
	v_add_nc_u64_e32 v[18:19], 2, v[16:17]
	v_cndmask_b32_e32 v15, v23, v15, vcc_lo
	s_delay_alu instid0(VALU_DEP_4) | instskip(NEXT) | instid1(VALU_DEP_2)
	v_cmp_ne_u32_e32 vcc_lo, 0, v7
	v_cmp_ne_u32_e64 s3, 0, v15
	s_delay_alu instid0(VALU_DEP_4) | instskip(NEXT) | instid1(VALU_DEP_1)
	v_dual_cndmask_b32 v7, v21, v19, vcc_lo :: v_dual_cndmask_b32 v15, v20, v18, vcc_lo
	v_dual_cndmask_b32 v7, v17, v7, s3 :: v_dual_bitop2_b32 v14, s36, v14 bitop3:0x14
	s_delay_alu instid0(VALU_DEP_1) | instskip(NEXT) | instid1(VALU_DEP_2)
	v_dual_cndmask_b32 v16, v16, v15, s3 :: v_dual_mov_b32 v15, v14
	v_xor_b32_e32 v17, v7, v14
	s_delay_alu instid0(VALU_DEP_2) | instskip(NEXT) | instid1(VALU_DEP_1)
	v_xor_b32_e32 v16, v16, v14
	v_sub_nc_u64_e32 v[14:15], v[16:17], v[14:15]
.LBB14_19:                              ;   in Loop: Header=BB14_17 Depth=2
	s_and_not1_saveexec_b32 s3, s43
	s_cbranch_execz .LBB14_21
; %bb.20:                               ;   in Loop: Header=BB14_17 Depth=2
	v_cvt_f32_u32_e32 v7, s34
	s_sub_co_i32 s16, 0, s34
	s_delay_alu instid0(VALU_DEP_1) | instskip(SKIP_1) | instid1(TRANS32_DEP_1)
	v_rcp_iflag_f32_e32 v7, v7
	v_nop
	v_mul_f32_e32 v7, 0x4f7ffffe, v7
	s_delay_alu instid0(VALU_DEP_1) | instskip(NEXT) | instid1(VALU_DEP_1)
	v_cvt_u32_f32_e32 v7, v7
	v_mul_lo_u32 v14, s16, v7
	s_delay_alu instid0(VALU_DEP_1) | instskip(NEXT) | instid1(VALU_DEP_1)
	v_mul_hi_u32 v14, v7, v14
	v_add_nc_u32_e32 v7, v7, v14
	s_delay_alu instid0(VALU_DEP_1) | instskip(NEXT) | instid1(VALU_DEP_1)
	v_mul_hi_u32 v7, v12, v7
	v_mul_lo_u32 v14, v7, s34
	s_delay_alu instid0(VALU_DEP_1) | instskip(NEXT) | instid1(VALU_DEP_1)
	v_dual_add_nc_u32 v15, 1, v7 :: v_dual_sub_nc_u32 v14, v12, v14
	v_subrev_nc_u32_e32 v16, s34, v14
	v_cmp_le_u32_e32 vcc_lo, s34, v14
	s_delay_alu instid0(VALU_DEP_2) | instskip(NEXT) | instid1(VALU_DEP_1)
	v_dual_cndmask_b32 v14, v14, v16 :: v_dual_cndmask_b32 v7, v7, v15
	v_cmp_le_u32_e32 vcc_lo, s34, v14
	s_delay_alu instid0(VALU_DEP_2) | instskip(NEXT) | instid1(VALU_DEP_1)
	v_add_nc_u32_e32 v15, 1, v7
	v_dual_cndmask_b32 v14, v7, v15 :: v_dual_mov_b32 v15, v6
.LBB14_21:                              ;   in Loop: Header=BB14_17 Depth=2
	s_or_b32 exec_lo, exec_lo, s3
	s_delay_alu instid0(VALU_DEP_1)
	v_mul_u64_e32 v[16:17], s[34:35], v[14:15]
	s_load_b64 s[34:35], s[30:31], 0xc8
	s_add_co_i32 s29, s29, -1
	s_wait_xcnt 0x0
	s_add_nc_u64 s[30:31], s[30:31], -8
	s_cmp_gt_u32 s29, 2
	s_delay_alu instid0(VALU_DEP_1) | instskip(SKIP_1) | instid1(VALU_DEP_1)
	v_sub_nc_u64_e32 v[12:13], v[12:13], v[16:17]
	s_wait_kmcnt 0x0
	v_mad_nc_u64_u32 v[10:11], s34, v12, v[10:11]
	s_delay_alu instid0(VALU_DEP_1) | instskip(NEXT) | instid1(VALU_DEP_1)
	v_mad_u32 v7, s35, v12, v11
	v_mad_u32 v11, s34, v13, v7
	s_cbranch_scc0 .LBB14_23
; %bb.22:                               ;   in Loop: Header=BB14_17 Depth=2
	v_mov_b64_e32 v[12:13], v[14:15]
	s_branch .LBB14_17
.LBB14_23:                              ;   in Loop: Header=BB14_16 Depth=1
	s_delay_alu instid0(VALU_DEP_1) | instskip(NEXT) | instid1(VALU_DEP_1)
	v_mad_nc_u64_u32 v[12:13], s18, v14, s[20:21]
	v_mad_u32 v7, s19, v14, v13
	s_delay_alu instid0(VALU_DEP_1) | instskip(NEXT) | instid1(VALU_DEP_1)
	v_mad_u32 v13, s18, v15, v7
	v_add_nc_u64_e32 v[10:11], v[12:13], v[10:11]
	global_load_i8 v7, v[10:11], off
	s_wait_loadcnt 0x0
	s_wait_xcnt 0x0
	v_bfe_i32 v10, v7, 0, 16
	s_delay_alu instid0(VALU_DEP_1) | instskip(NEXT) | instid1(VALU_DEP_1)
	v_ashrrev_i32_e32 v11, 31, v10
	v_cmp_le_i64_e32 vcc_lo, s[6:7], v[10:11]
	v_cmp_ge_i64_e64 s3, s[8:9], v[10:11]
	s_and_b32 s3, vcc_lo, s3
	s_delay_alu instid0(SALU_CYCLE_1)
	s_and_saveexec_b32 s34, s3
	s_cbranch_execz .LBB14_15
; %bb.24:                               ;   in Loop: Header=BB14_16 Depth=1
	v_sub_nc_u64_e64 v[10:11], v[10:11], s[6:7]
                                        ; implicit-def: $vgpr12_vgpr13
	s_mov_b32 s3, exec_lo
	s_delay_alu instid0(VALU_DEP_1) | instskip(NEXT) | instid1(VALU_DEP_1)
	v_mul_u64_e32 v[10:11], s[4:5], v[10:11]
	v_or_b32_e32 v7, s23, v11
	s_delay_alu instid0(VALU_DEP_1)
	v_cmpx_ne_u64_e32 0, v[6:7]
	s_xor_b32 s35, exec_lo, s3
	s_cbranch_execz .LBB14_26
; %bb.25:                               ;   in Loop: Header=BB14_16 Depth=1
	s_mov_b32 s29, s28
	v_dual_mov_b32 v15, v6 :: v_dual_ashrrev_i32 v12, 31, v11
	s_add_nc_u64 s[30:31], s[22:23], s[28:29]
	v_mov_b32_e32 v23, v6
	s_xor_b64 s[30:31], s[30:31], s[28:29]
	s_delay_alu instid0(VALU_DEP_2) | instskip(SKIP_3) | instid1(VALU_DEP_1)
	v_mov_b32_e32 v13, v12
	s_cvt_f32_u32 s3, s30
	s_cvt_f32_u32 s16, s31
	s_sub_nc_u64 s[38:39], 0, s[30:31]
	v_add_nc_u64_e32 v[10:11], v[10:11], v[12:13]
	s_delay_alu instid0(SALU_CYCLE_1) | instskip(SKIP_1) | instid1(SALU_CYCLE_2)
	s_fmamk_f32 s3, s16, 0x4f800000, s3
	v_mov_b32_e32 v19, v6
	v_s_rcp_f32 s3, s3
	s_delay_alu instid0(VALU_DEP_2) | instskip(NEXT) | instid1(VALU_DEP_3)
	v_xor_b32_e32 v14, v10, v12
	v_xor_b32_e32 v18, v11, v12
	s_delay_alu instid0(TRANS32_DEP_1) | instskip(NEXT) | instid1(SALU_CYCLE_3)
	s_mul_f32 s3, s3, 0x5f7ffffc
	s_mul_f32 s16, s3, 0x2f800000
	s_delay_alu instid0(SALU_CYCLE_3) | instskip(NEXT) | instid1(SALU_CYCLE_3)
	s_trunc_f32 s16, s16
	s_fmamk_f32 s3, s16, 0xcf800000, s3
	s_cvt_u32_f32 s37, s16
	s_delay_alu instid0(SALU_CYCLE_2) | instskip(NEXT) | instid1(SALU_CYCLE_3)
	s_cvt_u32_f32 s36, s3
	s_mul_u64 s[44:45], s[38:39], s[36:37]
	s_delay_alu instid0(SALU_CYCLE_1)
	s_mul_hi_u32 s47, s36, s45
	s_mul_i32 s46, s36, s45
	s_mul_hi_u32 s16, s36, s44
	s_mul_i32 s29, s37, s44
	s_add_nc_u64 s[46:47], s[16:17], s[46:47]
	s_mul_hi_u32 s3, s37, s44
	s_mul_hi_u32 s43, s37, s45
	s_add_co_u32 s16, s46, s29
	s_add_co_ci_u32 s16, s47, s3
	s_mul_i32 s44, s37, s45
	s_add_co_ci_u32 s45, s43, 0
	s_delay_alu instid0(SALU_CYCLE_1) | instskip(NEXT) | instid1(SALU_CYCLE_1)
	s_add_nc_u64 s[44:45], s[16:17], s[44:45]
	s_add_co_u32 s36, s36, s44
	s_cselect_b32 s3, -1, 0
	s_delay_alu instid0(SALU_CYCLE_1) | instskip(SKIP_1) | instid1(SALU_CYCLE_1)
	s_cmp_lg_u32 s3, 0
	s_add_co_ci_u32 s37, s37, s45
	s_mul_u64 s[38:39], s[38:39], s[36:37]
	s_delay_alu instid0(SALU_CYCLE_1)
	s_mul_hi_u32 s45, s36, s39
	s_mul_i32 s44, s36, s39
	s_mul_hi_u32 s16, s36, s38
	s_mul_i32 s29, s37, s38
	s_add_nc_u64 s[44:45], s[16:17], s[44:45]
	s_mul_hi_u32 s3, s37, s38
	s_mul_hi_u32 s43, s37, s39
	s_add_co_u32 s16, s44, s29
	s_add_co_ci_u32 s16, s45, s3
	s_mul_i32 s38, s37, s39
	s_add_co_ci_u32 s39, s43, 0
	s_delay_alu instid0(SALU_CYCLE_1) | instskip(NEXT) | instid1(SALU_CYCLE_1)
	s_add_nc_u64 s[38:39], s[16:17], s[38:39]
	s_add_co_u32 s36, s36, s38
	s_cselect_b32 s3, -1, 0
	v_mul_hi_u32 v22, v14, s36
	s_cmp_lg_u32 s3, 0
	s_add_co_ci_u32 s16, s37, s39
	s_and_b64 s[38:39], s[36:37], s[24:25]
	v_mul_u64_e32 v[16:17], s[16:17], v[14:15]
	v_mul_u64_e32 v[10:11], s[38:39], v[18:19]
	;; [unrolled: 1-line block ×3, first 2 shown]
	s_delay_alu instid0(VALU_DEP_3) | instskip(NEXT) | instid1(VALU_DEP_1)
	v_add_nc_u64_e32 v[16:17], v[22:23], v[16:17]
	v_add_co_u32 v7, vcc_lo, v16, v10
	s_delay_alu instid0(VALU_DEP_2) | instskip(NEXT) | instid1(VALU_DEP_4)
	v_add_co_ci_u32_e32 v22, vcc_lo, v17, v11, vcc_lo
	v_add_co_ci_u32_e32 v21, vcc_lo, 0, v21, vcc_lo
	s_delay_alu instid0(VALU_DEP_1) | instskip(NEXT) | instid1(VALU_DEP_1)
	v_add_nc_u64_e32 v[10:11], v[22:23], v[20:21]
	v_mul_u64_e32 v[16:17], s[30:31], v[10:11]
	s_delay_alu instid0(VALU_DEP_1) | instskip(NEXT) | instid1(VALU_DEP_2)
	v_sub_nc_u32_e32 v7, v18, v17
	v_sub_co_u32 v13, vcc_lo, v14, v16
	s_delay_alu instid0(VALU_DEP_1) | instskip(NEXT) | instid1(VALU_DEP_3)
	v_sub_co_ci_u32_e64 v18, null, v18, v17, vcc_lo
	v_subrev_co_ci_u32_e64 v7, null, s31, v7, vcc_lo
	s_delay_alu instid0(VALU_DEP_3) | instskip(SKIP_1) | instid1(VALU_DEP_3)
	v_sub_co_u32 v14, s3, v13, s30
	v_add_nc_u64_e32 v[16:17], 1, v[10:11]
	v_subrev_co_ci_u32_e64 v7, null, 0, v7, s3
	s_delay_alu instid0(VALU_DEP_3) | instskip(SKIP_1) | instid1(VALU_DEP_3)
	v_cmp_le_u32_e32 vcc_lo, s30, v14
	v_cndmask_b32_e64 v14, 0, -1, vcc_lo
	v_cmp_le_u32_e32 vcc_lo, s31, v7
	v_cndmask_b32_e64 v15, 0, -1, vcc_lo
	;; [unrolled: 2-line block ×4, first 2 shown]
	v_cmp_eq_u32_e32 vcc_lo, s31, v7
	v_cndmask_b32_e32 v7, v15, v14, vcc_lo
	v_cmp_eq_u32_e32 vcc_lo, s31, v18
	v_add_nc_u64_e32 v[14:15], 2, v[10:11]
	v_cndmask_b32_e32 v13, v19, v13, vcc_lo
	s_delay_alu instid0(VALU_DEP_4) | instskip(NEXT) | instid1(VALU_DEP_3)
	v_cmp_ne_u32_e32 vcc_lo, 0, v7
	v_cndmask_b32_e32 v7, v17, v15, vcc_lo
	s_delay_alu instid0(VALU_DEP_3) | instskip(SKIP_1) | instid1(VALU_DEP_1)
	v_cmp_ne_u32_e64 s3, 0, v13
	v_dual_cndmask_b32 v13, v16, v14, vcc_lo :: v_dual_bitop2_b32 v12, s28, v12 bitop3:0x14
	v_dual_cndmask_b32 v7, v11, v7, s3 :: v_dual_cndmask_b32 v10, v10, v13, s3
	s_delay_alu instid0(VALU_DEP_1) | instskip(NEXT) | instid1(VALU_DEP_2)
	v_dual_mov_b32 v13, v12 :: v_dual_bitop2_b32 v11, v7, v12 bitop3:0x14
	v_xor_b32_e32 v10, v10, v12
	s_delay_alu instid0(VALU_DEP_1)
	v_sub_nc_u64_e32 v[12:13], v[10:11], v[12:13]
                                        ; implicit-def: $vgpr10_vgpr11
.LBB14_26:                              ;   in Loop: Header=BB14_16 Depth=1
	s_and_not1_saveexec_b32 s3, s35
	s_cbranch_execz .LBB14_14
; %bb.27:                               ;   in Loop: Header=BB14_16 Depth=1
	v_cvt_f32_u32_e32 v7, s22
	s_sub_co_i32 s16, 0, s22
	s_delay_alu instid0(VALU_DEP_1) | instskip(SKIP_1) | instid1(TRANS32_DEP_1)
	v_rcp_iflag_f32_e32 v7, v7
	v_nop
	v_mul_f32_e32 v7, 0x4f7ffffe, v7
	s_delay_alu instid0(VALU_DEP_1) | instskip(NEXT) | instid1(VALU_DEP_1)
	v_cvt_u32_f32_e32 v7, v7
	v_mul_lo_u32 v11, s16, v7
	s_delay_alu instid0(VALU_DEP_1) | instskip(NEXT) | instid1(VALU_DEP_1)
	v_mul_hi_u32 v11, v7, v11
	v_add_nc_u32_e32 v7, v7, v11
	s_delay_alu instid0(VALU_DEP_1) | instskip(NEXT) | instid1(VALU_DEP_1)
	v_mul_hi_u32 v7, v10, v7
	v_mul_lo_u32 v11, v7, s22
	s_delay_alu instid0(VALU_DEP_1) | instskip(SKIP_1) | instid1(VALU_DEP_2)
	v_sub_nc_u32_e32 v10, v10, v11
	v_add_nc_u32_e32 v11, 1, v7
	v_subrev_nc_u32_e32 v12, s22, v10
	v_cmp_le_u32_e32 vcc_lo, s22, v10
	s_delay_alu instid0(VALU_DEP_2) | instskip(NEXT) | instid1(VALU_DEP_1)
	v_dual_cndmask_b32 v10, v10, v12 :: v_dual_cndmask_b32 v7, v7, v11
	v_cmp_le_u32_e32 vcc_lo, s22, v10
	s_delay_alu instid0(VALU_DEP_2) | instskip(NEXT) | instid1(VALU_DEP_1)
	v_add_nc_u32_e32 v11, 1, v7
	v_cndmask_b32_e32 v12, v7, v11, vcc_lo
	s_branch .LBB14_14
.LBB14_28:
	s_or_b32 exec_lo, exec_lo, s33
	s_load_b64 s[0:1], s[0:1], 0xd0
; %bb.29:
	s_wait_dscnt 0x0
	s_barrier_signal -1
	s_barrier_wait -1
	s_and_saveexec_b32 s3, s2
	s_cbranch_execz .LBB14_32
; %bb.30:
	v_dual_mov_b32 v3, 0 :: v_dual_lshlrev_b32 v9, 2, v2
	s_wait_kmcnt 0x0
	v_mul_u64_e32 v[4:5], s[0:1], v[0:1]
	v_lshl_add_u32 v8, v0, 2, 0
	s_delay_alu instid0(VALU_DEP_3) | instskip(SKIP_1) | instid1(VALU_DEP_3)
	v_mul_u64_e32 v[6:7], s[0:1], v[2:3]
	s_mov_b32 s0, 0
	v_lshl_add_u64 v[4:5], v[4:5], 2, s[12:13]
	s_delay_alu instid0(VALU_DEP_2)
	v_lshlrev_b64_e32 v[6:7], 2, v[6:7]
.LBB14_31:                              ; =>This Inner Loop Header: Depth=1
	ds_load_b32 v10, v8
	v_add_nc_u64_e32 v[0:1], v[0:1], v[2:3]
	v_add_nc_u32_e32 v8, v8, v9
	s_delay_alu instid0(VALU_DEP_2)
	v_cmp_le_i64_e32 vcc_lo, s[14:15], v[0:1]
	s_or_b32 s0, vcc_lo, s0
	s_wait_dscnt 0x0
	global_atomic_add_f32 v[4:5], v10, off scope:SCOPE_DEV
	s_wait_xcnt 0x0
	v_add_nc_u64_e32 v[4:5], v[4:5], v[6:7]
	s_and_not1_b32 exec_lo, exec_lo, s0
	s_cbranch_execnz .LBB14_31
.LBB14_32:
	s_endpgm
	.section	.rodata,"a",@progbits
	.p2align	6, 0x0
	.amdhsa_kernel _ZN2at4cuda17kernelHistogram1DIfalLi1ELi2ELin1ELNS0_23CUDAHistogramMemoryTypeE0EZNS0_21CUDA_tensor_histogramIfaLb1EEEbNS_6TensorES4_S4_lNS_14AccumulateTypeIT0_Lb1EE4typeES8_NS0_13TensorArgTypeES9_S9_EUllE0_EEvNS0_6detail10TensorInfoIT_T1_EESF_NSC_IKS6_SE_EElS8_S8_SE_T6_
		.amdhsa_group_segment_fixed_size 0
		.amdhsa_private_segment_fixed_size 0
		.amdhsa_kernarg_size 1544
		.amdhsa_user_sgpr_count 2
		.amdhsa_user_sgpr_dispatch_ptr 0
		.amdhsa_user_sgpr_queue_ptr 0
		.amdhsa_user_sgpr_kernarg_segment_ptr 1
		.amdhsa_user_sgpr_dispatch_id 0
		.amdhsa_user_sgpr_kernarg_preload_length 0
		.amdhsa_user_sgpr_kernarg_preload_offset 0
		.amdhsa_user_sgpr_private_segment_size 0
		.amdhsa_wavefront_size32 1
		.amdhsa_uses_dynamic_stack 0
		.amdhsa_enable_private_segment 0
		.amdhsa_system_sgpr_workgroup_id_x 1
		.amdhsa_system_sgpr_workgroup_id_y 0
		.amdhsa_system_sgpr_workgroup_id_z 0
		.amdhsa_system_sgpr_workgroup_info 0
		.amdhsa_system_vgpr_workitem_id 0
		.amdhsa_next_free_vgpr 28
		.amdhsa_next_free_sgpr 53
		.amdhsa_named_barrier_count 0
		.amdhsa_reserve_vcc 1
		.amdhsa_float_round_mode_32 0
		.amdhsa_float_round_mode_16_64 0
		.amdhsa_float_denorm_mode_32 3
		.amdhsa_float_denorm_mode_16_64 3
		.amdhsa_fp16_overflow 0
		.amdhsa_memory_ordered 1
		.amdhsa_forward_progress 1
		.amdhsa_inst_pref_size 20
		.amdhsa_round_robin_scheduling 0
		.amdhsa_exception_fp_ieee_invalid_op 0
		.amdhsa_exception_fp_denorm_src 0
		.amdhsa_exception_fp_ieee_div_zero 0
		.amdhsa_exception_fp_ieee_overflow 0
		.amdhsa_exception_fp_ieee_underflow 0
		.amdhsa_exception_fp_ieee_inexact 0
		.amdhsa_exception_int_div_zero 0
	.end_amdhsa_kernel
	.section	.text._ZN2at4cuda17kernelHistogram1DIfalLi1ELi2ELin1ELNS0_23CUDAHistogramMemoryTypeE0EZNS0_21CUDA_tensor_histogramIfaLb1EEEbNS_6TensorES4_S4_lNS_14AccumulateTypeIT0_Lb1EE4typeES8_NS0_13TensorArgTypeES9_S9_EUllE0_EEvNS0_6detail10TensorInfoIT_T1_EESF_NSC_IKS6_SE_EElS8_S8_SE_T6_,"axG",@progbits,_ZN2at4cuda17kernelHistogram1DIfalLi1ELi2ELin1ELNS0_23CUDAHistogramMemoryTypeE0EZNS0_21CUDA_tensor_histogramIfaLb1EEEbNS_6TensorES4_S4_lNS_14AccumulateTypeIT0_Lb1EE4typeES8_NS0_13TensorArgTypeES9_S9_EUllE0_EEvNS0_6detail10TensorInfoIT_T1_EESF_NSC_IKS6_SE_EElS8_S8_SE_T6_,comdat
.Lfunc_end14:
	.size	_ZN2at4cuda17kernelHistogram1DIfalLi1ELi2ELin1ELNS0_23CUDAHistogramMemoryTypeE0EZNS0_21CUDA_tensor_histogramIfaLb1EEEbNS_6TensorES4_S4_lNS_14AccumulateTypeIT0_Lb1EE4typeES8_NS0_13TensorArgTypeES9_S9_EUllE0_EEvNS0_6detail10TensorInfoIT_T1_EESF_NSC_IKS6_SE_EElS8_S8_SE_T6_, .Lfunc_end14-_ZN2at4cuda17kernelHistogram1DIfalLi1ELi2ELin1ELNS0_23CUDAHistogramMemoryTypeE0EZNS0_21CUDA_tensor_histogramIfaLb1EEEbNS_6TensorES4_S4_lNS_14AccumulateTypeIT0_Lb1EE4typeES8_NS0_13TensorArgTypeES9_S9_EUllE0_EEvNS0_6detail10TensorInfoIT_T1_EESF_NSC_IKS6_SE_EElS8_S8_SE_T6_
                                        ; -- End function
	.set _ZN2at4cuda17kernelHistogram1DIfalLi1ELi2ELin1ELNS0_23CUDAHistogramMemoryTypeE0EZNS0_21CUDA_tensor_histogramIfaLb1EEEbNS_6TensorES4_S4_lNS_14AccumulateTypeIT0_Lb1EE4typeES8_NS0_13TensorArgTypeES9_S9_EUllE0_EEvNS0_6detail10TensorInfoIT_T1_EESF_NSC_IKS6_SE_EElS8_S8_SE_T6_.num_vgpr, 28
	.set _ZN2at4cuda17kernelHistogram1DIfalLi1ELi2ELin1ELNS0_23CUDAHistogramMemoryTypeE0EZNS0_21CUDA_tensor_histogramIfaLb1EEEbNS_6TensorES4_S4_lNS_14AccumulateTypeIT0_Lb1EE4typeES8_NS0_13TensorArgTypeES9_S9_EUllE0_EEvNS0_6detail10TensorInfoIT_T1_EESF_NSC_IKS6_SE_EElS8_S8_SE_T6_.num_agpr, 0
	.set _ZN2at4cuda17kernelHistogram1DIfalLi1ELi2ELin1ELNS0_23CUDAHistogramMemoryTypeE0EZNS0_21CUDA_tensor_histogramIfaLb1EEEbNS_6TensorES4_S4_lNS_14AccumulateTypeIT0_Lb1EE4typeES8_NS0_13TensorArgTypeES9_S9_EUllE0_EEvNS0_6detail10TensorInfoIT_T1_EESF_NSC_IKS6_SE_EElS8_S8_SE_T6_.numbered_sgpr, 53
	.set _ZN2at4cuda17kernelHistogram1DIfalLi1ELi2ELin1ELNS0_23CUDAHistogramMemoryTypeE0EZNS0_21CUDA_tensor_histogramIfaLb1EEEbNS_6TensorES4_S4_lNS_14AccumulateTypeIT0_Lb1EE4typeES8_NS0_13TensorArgTypeES9_S9_EUllE0_EEvNS0_6detail10TensorInfoIT_T1_EESF_NSC_IKS6_SE_EElS8_S8_SE_T6_.num_named_barrier, 0
	.set _ZN2at4cuda17kernelHistogram1DIfalLi1ELi2ELin1ELNS0_23CUDAHistogramMemoryTypeE0EZNS0_21CUDA_tensor_histogramIfaLb1EEEbNS_6TensorES4_S4_lNS_14AccumulateTypeIT0_Lb1EE4typeES8_NS0_13TensorArgTypeES9_S9_EUllE0_EEvNS0_6detail10TensorInfoIT_T1_EESF_NSC_IKS6_SE_EElS8_S8_SE_T6_.private_seg_size, 0
	.set _ZN2at4cuda17kernelHistogram1DIfalLi1ELi2ELin1ELNS0_23CUDAHistogramMemoryTypeE0EZNS0_21CUDA_tensor_histogramIfaLb1EEEbNS_6TensorES4_S4_lNS_14AccumulateTypeIT0_Lb1EE4typeES8_NS0_13TensorArgTypeES9_S9_EUllE0_EEvNS0_6detail10TensorInfoIT_T1_EESF_NSC_IKS6_SE_EElS8_S8_SE_T6_.uses_vcc, 1
	.set _ZN2at4cuda17kernelHistogram1DIfalLi1ELi2ELin1ELNS0_23CUDAHistogramMemoryTypeE0EZNS0_21CUDA_tensor_histogramIfaLb1EEEbNS_6TensorES4_S4_lNS_14AccumulateTypeIT0_Lb1EE4typeES8_NS0_13TensorArgTypeES9_S9_EUllE0_EEvNS0_6detail10TensorInfoIT_T1_EESF_NSC_IKS6_SE_EElS8_S8_SE_T6_.uses_flat_scratch, 0
	.set _ZN2at4cuda17kernelHistogram1DIfalLi1ELi2ELin1ELNS0_23CUDAHistogramMemoryTypeE0EZNS0_21CUDA_tensor_histogramIfaLb1EEEbNS_6TensorES4_S4_lNS_14AccumulateTypeIT0_Lb1EE4typeES8_NS0_13TensorArgTypeES9_S9_EUllE0_EEvNS0_6detail10TensorInfoIT_T1_EESF_NSC_IKS6_SE_EElS8_S8_SE_T6_.has_dyn_sized_stack, 0
	.set _ZN2at4cuda17kernelHistogram1DIfalLi1ELi2ELin1ELNS0_23CUDAHistogramMemoryTypeE0EZNS0_21CUDA_tensor_histogramIfaLb1EEEbNS_6TensorES4_S4_lNS_14AccumulateTypeIT0_Lb1EE4typeES8_NS0_13TensorArgTypeES9_S9_EUllE0_EEvNS0_6detail10TensorInfoIT_T1_EESF_NSC_IKS6_SE_EElS8_S8_SE_T6_.has_recursion, 0
	.set _ZN2at4cuda17kernelHistogram1DIfalLi1ELi2ELin1ELNS0_23CUDAHistogramMemoryTypeE0EZNS0_21CUDA_tensor_histogramIfaLb1EEEbNS_6TensorES4_S4_lNS_14AccumulateTypeIT0_Lb1EE4typeES8_NS0_13TensorArgTypeES9_S9_EUllE0_EEvNS0_6detail10TensorInfoIT_T1_EESF_NSC_IKS6_SE_EElS8_S8_SE_T6_.has_indirect_call, 0
	.section	.AMDGPU.csdata,"",@progbits
; Kernel info:
; codeLenInByte = 2504
; TotalNumSgprs: 55
; NumVgprs: 28
; ScratchSize: 0
; MemoryBound: 0
; FloatMode: 240
; IeeeMode: 1
; LDSByteSize: 0 bytes/workgroup (compile time only)
; SGPRBlocks: 0
; VGPRBlocks: 1
; NumSGPRsForWavesPerEU: 55
; NumVGPRsForWavesPerEU: 28
; NamedBarCnt: 0
; Occupancy: 16
; WaveLimiterHint : 1
; COMPUTE_PGM_RSRC2:SCRATCH_EN: 0
; COMPUTE_PGM_RSRC2:USER_SGPR: 2
; COMPUTE_PGM_RSRC2:TRAP_HANDLER: 0
; COMPUTE_PGM_RSRC2:TGID_X_EN: 1
; COMPUTE_PGM_RSRC2:TGID_Y_EN: 0
; COMPUTE_PGM_RSRC2:TGID_Z_EN: 0
; COMPUTE_PGM_RSRC2:TIDIG_COMP_CNT: 0
	.section	.text._ZN2at4cuda17kernelHistogram1DIfalLi1ELi2ELin1ELNS0_23CUDAHistogramMemoryTypeE1EZNS0_21CUDA_tensor_histogramIfaLb1EEEbNS_6TensorES4_S4_lNS_14AccumulateTypeIT0_Lb1EE4typeES8_NS0_13TensorArgTypeES9_S9_EUllE0_EEvNS0_6detail10TensorInfoIT_T1_EESF_NSC_IKS6_SE_EElS8_S8_SE_T6_,"axG",@progbits,_ZN2at4cuda17kernelHistogram1DIfalLi1ELi2ELin1ELNS0_23CUDAHistogramMemoryTypeE1EZNS0_21CUDA_tensor_histogramIfaLb1EEEbNS_6TensorES4_S4_lNS_14AccumulateTypeIT0_Lb1EE4typeES8_NS0_13TensorArgTypeES9_S9_EUllE0_EEvNS0_6detail10TensorInfoIT_T1_EESF_NSC_IKS6_SE_EElS8_S8_SE_T6_,comdat
	.protected	_ZN2at4cuda17kernelHistogram1DIfalLi1ELi2ELin1ELNS0_23CUDAHistogramMemoryTypeE1EZNS0_21CUDA_tensor_histogramIfaLb1EEEbNS_6TensorES4_S4_lNS_14AccumulateTypeIT0_Lb1EE4typeES8_NS0_13TensorArgTypeES9_S9_EUllE0_EEvNS0_6detail10TensorInfoIT_T1_EESF_NSC_IKS6_SE_EElS8_S8_SE_T6_ ; -- Begin function _ZN2at4cuda17kernelHistogram1DIfalLi1ELi2ELin1ELNS0_23CUDAHistogramMemoryTypeE1EZNS0_21CUDA_tensor_histogramIfaLb1EEEbNS_6TensorES4_S4_lNS_14AccumulateTypeIT0_Lb1EE4typeES8_NS0_13TensorArgTypeES9_S9_EUllE0_EEvNS0_6detail10TensorInfoIT_T1_EESF_NSC_IKS6_SE_EElS8_S8_SE_T6_
	.globl	_ZN2at4cuda17kernelHistogram1DIfalLi1ELi2ELin1ELNS0_23CUDAHistogramMemoryTypeE1EZNS0_21CUDA_tensor_histogramIfaLb1EEEbNS_6TensorES4_S4_lNS_14AccumulateTypeIT0_Lb1EE4typeES8_NS0_13TensorArgTypeES9_S9_EUllE0_EEvNS0_6detail10TensorInfoIT_T1_EESF_NSC_IKS6_SE_EElS8_S8_SE_T6_
	.p2align	8
	.type	_ZN2at4cuda17kernelHistogram1DIfalLi1ELi2ELin1ELNS0_23CUDAHistogramMemoryTypeE1EZNS0_21CUDA_tensor_histogramIfaLb1EEEbNS_6TensorES4_S4_lNS_14AccumulateTypeIT0_Lb1EE4typeES8_NS0_13TensorArgTypeES9_S9_EUllE0_EEvNS0_6detail10TensorInfoIT_T1_EESF_NSC_IKS6_SE_EElS8_S8_SE_T6_,@function
_ZN2at4cuda17kernelHistogram1DIfalLi1ELi2ELin1ELNS0_23CUDAHistogramMemoryTypeE1EZNS0_21CUDA_tensor_histogramIfaLb1EEEbNS_6TensorES4_S4_lNS_14AccumulateTypeIT0_Lb1EE4typeES8_NS0_13TensorArgTypeES9_S9_EUllE0_EEvNS0_6detail10TensorInfoIT_T1_EESF_NSC_IKS6_SE_EElS8_S8_SE_T6_: ; @_ZN2at4cuda17kernelHistogram1DIfalLi1ELi2ELin1ELNS0_23CUDAHistogramMemoryTypeE1EZNS0_21CUDA_tensor_histogramIfaLb1EEEbNS_6TensorES4_S4_lNS_14AccumulateTypeIT0_Lb1EE4typeES8_NS0_13TensorArgTypeES9_S9_EUllE0_EEvNS0_6detail10TensorInfoIT_T1_EESF_NSC_IKS6_SE_EElS8_S8_SE_T6_
; %bb.0:
	s_load_b32 s2, s[0:1], 0x514
	s_bfe_u32 s12, ttmp6, 0x4000c
	s_load_b256 s[4:11], s[0:1], 0x4e0
	s_add_co_i32 s12, s12, 1
	s_and_b32 s3, ttmp6, 15
	s_mul_i32 s12, ttmp9, s12
	s_getreg_b32 s13, hwreg(HW_REG_IB_STS2, 6, 4)
	s_add_co_i32 s3, s3, s12
	v_mov_b32_e32 v2, 0
	s_mov_b32 s12, exec_lo
	s_delay_alu instid0(VALU_DEP_1) | instskip(SKIP_4) | instid1(SALU_CYCLE_1)
	v_mov_b32_e32 v1, v2
	s_wait_kmcnt 0x0
	s_and_b32 s2, s2, 0xffff
	s_cmp_eq_u32 s13, 0
	s_cselect_b32 s3, ttmp9, s3
	v_mad_u32 v0, s3, s2, v0
	s_mov_b32 s3, 0
	s_delay_alu instid0(VALU_DEP_1)
	v_cmpx_gt_i64_e64 s[10:11], v[0:1]
	s_cbranch_execz .LBB15_16
; %bb.1:
	s_load_b32 s28, s[0:1], 0x4d8
	s_add_nc_u64 s[20:21], s[0:1], 0x508
	s_load_b32 s22, s[20:21], 0x0
	s_clause 0x3
	s_load_b64 s[12:13], s[0:1], 0x0
	s_load_b64 s[14:15], s[0:1], 0xd0
	;; [unrolled: 1-line block ×4, first 2 shown]
	s_add_nc_u64 s[26:27], s[0:1], 0x340
	v_mov_b32_e32 v10, 1.0
	s_wait_xcnt 0x0
	s_sub_nc_u64 s[20:21], s[8:9], s[6:7]
	s_mov_b32 s23, s3
	s_mov_b64 s[24:25], 0xffffffff
	s_mov_b32 s40, 0
	s_wait_kmcnt 0x0
	s_mul_i32 s22, s22, s2
	s_cmp_gt_i32 s28, 1
	s_cselect_b32 s1, -1, 0
	s_add_co_i32 s2, s28, -1
	s_add_co_i32 s33, s28, 1
	s_lshl_b64 s[28:29], s[2:3], 3
	s_delay_alu instid0(SALU_CYCLE_1)
	s_add_nc_u64 s[28:29], s[26:27], s[28:29]
	s_ashr_i32 s26, s21, 31
	s_add_nc_u64 s[28:29], s[28:29], 8
	s_branch .LBB15_4
.LBB15_2:                               ;   in Loop: Header=BB15_4 Depth=1
	s_or_b32 exec_lo, exec_lo, s0
	s_delay_alu instid0(VALU_DEP_1) | instskip(NEXT) | instid1(VALU_DEP_1)
	v_dual_ashrrev_i32 v7, 31, v6 :: v_dual_mov_b32 v5, s3
	v_cmp_eq_u64_e32 vcc_lo, s[4:5], v[6:7]
	v_cndmask_b32_e64 v4, 0, 1, vcc_lo
	s_delay_alu instid0(VALU_DEP_1) | instskip(NEXT) | instid1(VALU_DEP_1)
	v_sub_nc_u64_e32 v[4:5], v[6:7], v[4:5]
	v_mul_u64_e32 v[4:5], s[14:15], v[4:5]
	s_delay_alu instid0(VALU_DEP_1)
	v_lshl_add_u64 v[4:5], v[4:5], 2, s[12:13]
	global_atomic_add_f32 v[4:5], v10, off scope:SCOPE_DEV
.LBB15_3:                               ;   in Loop: Header=BB15_4 Depth=1
	s_wait_xcnt 0x0
	s_or_b32 exec_lo, exec_lo, s34
	v_add_nc_u64_e32 v[0:1], s[22:23], v[0:1]
	s_delay_alu instid0(VALU_DEP_1) | instskip(SKIP_1) | instid1(SALU_CYCLE_1)
	v_cmp_le_i64_e32 vcc_lo, s[10:11], v[0:1]
	s_or_b32 s40, vcc_lo, s40
	s_and_not1_b32 exec_lo, exec_lo, s40
	s_cbranch_execz .LBB15_16
.LBB15_4:                               ; =>This Loop Header: Depth=1
                                        ;     Child Loop BB15_5 Depth 2
	v_mov_b64_e32 v[4:5], 0
	v_mov_b64_e32 v[6:7], v[0:1]
	;; [unrolled: 1-line block ×3, first 2 shown]
	s_and_not1_b32 vcc_lo, exec_lo, s1
	s_mov_b64 s[30:31], s[28:29]
	s_mov_b32 s27, s33
	s_cbranch_vccnz .LBB15_11
.LBB15_5:                               ;   Parent Loop BB15_4 Depth=1
                                        ; =>  This Inner Loop Header: Depth=2
	s_load_b64 s[34:35], s[30:31], 0x0
                                        ; implicit-def: $vgpr8_vgpr9
	s_mov_b32 s0, exec_lo
	s_wait_kmcnt 0x0
	s_delay_alu instid0(VALU_DEP_1) | instskip(NEXT) | instid1(VALU_DEP_1)
	v_or_b32_e32 v3, s35, v7
	v_cmpx_ne_u64_e32 0, v[2:3]
	s_xor_b32 s41, exec_lo, s0
	s_cbranch_execz .LBB15_7
; %bb.6:                                ;   in Loop: Header=BB15_5 Depth=2
	s_ashr_i32 s36, s35, 31
	v_dual_mov_b32 v15, v2 :: v_dual_ashrrev_i32 v8, 31, v7
	s_mov_b32 s37, s36
	v_mov_b32_e32 v19, v2
	s_add_nc_u64 s[38:39], s[34:35], s[36:37]
	s_delay_alu instid0(VALU_DEP_2)
	v_mov_b32_e32 v9, v8
	s_xor_b64 s[38:39], s[38:39], s[36:37]
	v_mov_b32_e32 v23, v2
	s_cvt_f32_u32 s0, s38
	s_cvt_f32_u32 s2, s39
	s_sub_nc_u64 s[44:45], 0, s[38:39]
	v_add_nc_u64_e32 v[12:13], v[6:7], v[8:9]
	s_delay_alu instid0(SALU_CYCLE_1) | instskip(NEXT) | instid1(SALU_CYCLE_3)
	s_fmamk_f32 s0, s2, 0x4f800000, s0
	v_s_rcp_f32 s0, s0
	s_delay_alu instid0(VALU_DEP_1) | instskip(NEXT) | instid1(VALU_DEP_2)
	v_xor_b32_e32 v14, v12, v8
	v_xor_b32_e32 v18, v13, v8
	s_delay_alu instid0(TRANS32_DEP_1) | instskip(NEXT) | instid1(SALU_CYCLE_3)
	s_mul_f32 s0, s0, 0x5f7ffffc
	s_mul_f32 s2, s0, 0x2f800000
	s_delay_alu instid0(SALU_CYCLE_3) | instskip(NEXT) | instid1(SALU_CYCLE_3)
	s_trunc_f32 s2, s2
	s_fmamk_f32 s0, s2, 0xcf800000, s0
	s_cvt_u32_f32 s43, s2
	s_delay_alu instid0(SALU_CYCLE_2) | instskip(NEXT) | instid1(SALU_CYCLE_3)
	s_cvt_u32_f32 s42, s0
	s_mul_u64 s[46:47], s[44:45], s[42:43]
	s_delay_alu instid0(SALU_CYCLE_1)
	s_mul_hi_u32 s49, s42, s47
	s_mul_i32 s48, s42, s47
	s_mul_hi_u32 s2, s42, s46
	s_mul_i32 s37, s43, s46
	s_add_nc_u64 s[48:49], s[2:3], s[48:49]
	s_mul_hi_u32 s0, s43, s46
	s_mul_hi_u32 s50, s43, s47
	s_add_co_u32 s2, s48, s37
	s_add_co_ci_u32 s2, s49, s0
	s_mul_i32 s46, s43, s47
	s_add_co_ci_u32 s47, s50, 0
	s_delay_alu instid0(SALU_CYCLE_1) | instskip(NEXT) | instid1(SALU_CYCLE_1)
	s_add_nc_u64 s[46:47], s[2:3], s[46:47]
	s_add_co_u32 s42, s42, s46
	s_cselect_b32 s0, -1, 0
	s_delay_alu instid0(SALU_CYCLE_1) | instskip(SKIP_1) | instid1(SALU_CYCLE_1)
	s_cmp_lg_u32 s0, 0
	s_add_co_ci_u32 s43, s43, s47
	s_mul_u64 s[44:45], s[44:45], s[42:43]
	s_delay_alu instid0(SALU_CYCLE_1)
	s_mul_hi_u32 s47, s42, s45
	s_mul_i32 s46, s42, s45
	s_mul_hi_u32 s2, s42, s44
	s_mul_i32 s37, s43, s44
	s_add_nc_u64 s[46:47], s[2:3], s[46:47]
	s_mul_hi_u32 s0, s43, s44
	s_mul_hi_u32 s48, s43, s45
	s_add_co_u32 s2, s46, s37
	s_add_co_ci_u32 s2, s47, s0
	s_mul_i32 s44, s43, s45
	s_add_co_ci_u32 s45, s48, 0
	s_delay_alu instid0(SALU_CYCLE_1) | instskip(NEXT) | instid1(SALU_CYCLE_1)
	s_add_nc_u64 s[44:45], s[2:3], s[44:45]
	s_add_co_u32 s0, s42, s44
	s_cselect_b32 s2, -1, 0
	v_mul_hi_u32 v22, v14, s0
	s_cmp_lg_u32 s2, 0
	s_add_co_ci_u32 s2, s43, s45
	s_and_b64 s[42:43], s[0:1], s[24:25]
	v_mul_u64_e32 v[16:17], s[2:3], v[14:15]
	v_mul_u64_e32 v[12:13], s[42:43], v[18:19]
	;; [unrolled: 1-line block ×3, first 2 shown]
	s_delay_alu instid0(VALU_DEP_3) | instskip(NEXT) | instid1(VALU_DEP_1)
	v_add_nc_u64_e32 v[16:17], v[22:23], v[16:17]
	v_add_co_u32 v3, vcc_lo, v16, v12
	s_delay_alu instid0(VALU_DEP_2) | instskip(NEXT) | instid1(VALU_DEP_4)
	v_add_co_ci_u32_e32 v22, vcc_lo, v17, v13, vcc_lo
	v_add_co_ci_u32_e32 v21, vcc_lo, 0, v21, vcc_lo
	s_delay_alu instid0(VALU_DEP_1) | instskip(NEXT) | instid1(VALU_DEP_1)
	v_add_nc_u64_e32 v[12:13], v[22:23], v[20:21]
	v_mul_u64_e32 v[16:17], s[38:39], v[12:13]
	s_delay_alu instid0(VALU_DEP_1) | instskip(NEXT) | instid1(VALU_DEP_2)
	v_sub_nc_u32_e32 v3, v18, v17
	v_sub_co_u32 v9, vcc_lo, v14, v16
	s_delay_alu instid0(VALU_DEP_1) | instskip(NEXT) | instid1(VALU_DEP_3)
	v_sub_co_ci_u32_e64 v18, null, v18, v17, vcc_lo
	v_subrev_co_ci_u32_e64 v3, null, s39, v3, vcc_lo
	s_delay_alu instid0(VALU_DEP_3) | instskip(SKIP_1) | instid1(VALU_DEP_3)
	v_sub_co_u32 v11, s0, v9, s38
	v_add_nc_u64_e32 v[16:17], 1, v[12:13]
	v_subrev_co_ci_u32_e64 v3, null, 0, v3, s0
	s_delay_alu instid0(VALU_DEP_3) | instskip(SKIP_1) | instid1(VALU_DEP_3)
	v_cmp_le_u32_e32 vcc_lo, s38, v11
	v_cndmask_b32_e64 v11, 0, -1, vcc_lo
	v_cmp_le_u32_e32 vcc_lo, s39, v3
	v_cndmask_b32_e64 v14, 0, -1, vcc_lo
	;; [unrolled: 2-line block ×4, first 2 shown]
	v_cmp_eq_u32_e32 vcc_lo, s39, v3
	v_cndmask_b32_e32 v3, v14, v11, vcc_lo
	v_cmp_eq_u32_e32 vcc_lo, s39, v18
	v_add_nc_u64_e32 v[14:15], 2, v[12:13]
	v_cndmask_b32_e32 v9, v19, v9, vcc_lo
	s_delay_alu instid0(VALU_DEP_4) | instskip(NEXT) | instid1(VALU_DEP_3)
	v_cmp_ne_u32_e32 vcc_lo, 0, v3
	v_cndmask_b32_e32 v3, v17, v15, vcc_lo
	s_delay_alu instid0(VALU_DEP_3) | instskip(SKIP_1) | instid1(VALU_DEP_1)
	v_cmp_ne_u32_e64 s0, 0, v9
	v_dual_cndmask_b32 v9, v16, v14, vcc_lo :: v_dual_bitop2_b32 v8, s36, v8 bitop3:0x14
	v_dual_cndmask_b32 v3, v13, v3, s0 :: v_dual_cndmask_b32 v11, v12, v9, s0
	s_delay_alu instid0(VALU_DEP_1) | instskip(NEXT) | instid1(VALU_DEP_2)
	v_dual_mov_b32 v9, v8 :: v_dual_bitop2_b32 v13, v3, v8 bitop3:0x14
	v_xor_b32_e32 v12, v11, v8
	s_delay_alu instid0(VALU_DEP_1)
	v_sub_nc_u64_e32 v[8:9], v[12:13], v[8:9]
.LBB15_7:                               ;   in Loop: Header=BB15_5 Depth=2
	s_and_not1_saveexec_b32 s0, s41
	s_cbranch_execz .LBB15_9
; %bb.8:                                ;   in Loop: Header=BB15_5 Depth=2
	v_cvt_f32_u32_e32 v3, s34
	s_sub_co_i32 s2, 0, s34
	s_delay_alu instid0(VALU_DEP_1) | instskip(SKIP_1) | instid1(TRANS32_DEP_1)
	v_rcp_iflag_f32_e32 v3, v3
	v_nop
	v_mul_f32_e32 v3, 0x4f7ffffe, v3
	s_delay_alu instid0(VALU_DEP_1) | instskip(NEXT) | instid1(VALU_DEP_1)
	v_cvt_u32_f32_e32 v3, v3
	v_mul_lo_u32 v8, s2, v3
	s_delay_alu instid0(VALU_DEP_1) | instskip(NEXT) | instid1(VALU_DEP_1)
	v_mul_hi_u32 v8, v3, v8
	v_add_nc_u32_e32 v3, v3, v8
	s_delay_alu instid0(VALU_DEP_1) | instskip(NEXT) | instid1(VALU_DEP_1)
	v_mul_hi_u32 v3, v6, v3
	v_mul_lo_u32 v8, v3, s34
	s_delay_alu instid0(VALU_DEP_1) | instskip(NEXT) | instid1(VALU_DEP_1)
	v_dual_add_nc_u32 v9, 1, v3 :: v_dual_sub_nc_u32 v8, v6, v8
	v_subrev_nc_u32_e32 v11, s34, v8
	v_cmp_le_u32_e32 vcc_lo, s34, v8
	s_delay_alu instid0(VALU_DEP_2) | instskip(NEXT) | instid1(VALU_DEP_1)
	v_dual_cndmask_b32 v8, v8, v11 :: v_dual_cndmask_b32 v3, v3, v9
	v_cmp_le_u32_e32 vcc_lo, s34, v8
	s_delay_alu instid0(VALU_DEP_2) | instskip(NEXT) | instid1(VALU_DEP_1)
	v_add_nc_u32_e32 v9, 1, v3
	v_dual_cndmask_b32 v8, v3, v9 :: v_dual_mov_b32 v9, v2
.LBB15_9:                               ;   in Loop: Header=BB15_5 Depth=2
	s_or_b32 exec_lo, exec_lo, s0
	s_delay_alu instid0(VALU_DEP_1)
	v_mul_u64_e32 v[12:13], s[34:35], v[8:9]
	s_load_b64 s[34:35], s[30:31], 0xc8
	s_add_co_i32 s27, s27, -1
	s_wait_xcnt 0x0
	s_add_nc_u64 s[30:31], s[30:31], -8
	s_cmp_gt_u32 s27, 2
	s_delay_alu instid0(VALU_DEP_1) | instskip(SKIP_1) | instid1(VALU_DEP_1)
	v_sub_nc_u64_e32 v[6:7], v[6:7], v[12:13]
	s_wait_kmcnt 0x0
	v_mad_nc_u64_u32 v[4:5], s34, v6, v[4:5]
	s_delay_alu instid0(VALU_DEP_1) | instskip(NEXT) | instid1(VALU_DEP_1)
	v_mad_u32 v3, s35, v6, v5
	v_mad_u32 v5, s34, v7, v3
	s_cbranch_scc0 .LBB15_11
; %bb.10:                               ;   in Loop: Header=BB15_5 Depth=2
	v_mov_b64_e32 v[6:7], v[8:9]
	s_branch .LBB15_5
.LBB15_11:                              ;   in Loop: Header=BB15_4 Depth=1
	s_delay_alu instid0(VALU_DEP_1) | instskip(NEXT) | instid1(VALU_DEP_1)
	v_mad_nc_u64_u32 v[6:7], s16, v8, s[18:19]
	v_mad_u32 v3, s17, v8, v7
	s_delay_alu instid0(VALU_DEP_1) | instskip(NEXT) | instid1(VALU_DEP_1)
	v_mad_u32 v7, s16, v9, v3
	v_add_nc_u64_e32 v[4:5], v[6:7], v[4:5]
	global_load_i8 v3, v[4:5], off
	s_wait_loadcnt 0x0
	s_wait_xcnt 0x0
	v_bfe_i32 v4, v3, 0, 16
	s_delay_alu instid0(VALU_DEP_1) | instskip(NEXT) | instid1(VALU_DEP_1)
	v_ashrrev_i32_e32 v5, 31, v4
	v_cmp_le_i64_e32 vcc_lo, s[6:7], v[4:5]
	v_cmp_ge_i64_e64 s0, s[8:9], v[4:5]
	s_and_b32 s0, vcc_lo, s0
	s_delay_alu instid0(SALU_CYCLE_1)
	s_and_saveexec_b32 s34, s0
	s_cbranch_execz .LBB15_3
; %bb.12:                               ;   in Loop: Header=BB15_4 Depth=1
	v_sub_nc_u64_e64 v[4:5], v[4:5], s[6:7]
                                        ; implicit-def: $vgpr6_vgpr7
	s_mov_b32 s0, exec_lo
	s_delay_alu instid0(VALU_DEP_1) | instskip(NEXT) | instid1(VALU_DEP_1)
	v_mul_u64_e32 v[4:5], s[4:5], v[4:5]
	v_or_b32_e32 v3, s21, v5
	s_delay_alu instid0(VALU_DEP_1)
	v_cmpx_ne_u64_e32 0, v[2:3]
	s_xor_b32 s35, exec_lo, s0
	s_cbranch_execz .LBB15_14
; %bb.13:                               ;   in Loop: Header=BB15_4 Depth=1
	s_mov_b32 s27, s26
	v_dual_mov_b32 v9, v2 :: v_dual_ashrrev_i32 v6, 31, v5
	s_add_nc_u64 s[30:31], s[20:21], s[26:27]
	v_mov_b32_e32 v19, v2
	s_xor_b64 s[30:31], s[30:31], s[26:27]
	s_delay_alu instid0(VALU_DEP_2) | instskip(SKIP_3) | instid1(VALU_DEP_1)
	v_mov_b32_e32 v7, v6
	s_cvt_f32_u32 s0, s30
	s_cvt_f32_u32 s2, s31
	s_sub_nc_u64 s[38:39], 0, s[30:31]
	v_add_nc_u64_e32 v[4:5], v[4:5], v[6:7]
	s_delay_alu instid0(SALU_CYCLE_1) | instskip(SKIP_1) | instid1(SALU_CYCLE_2)
	s_fmamk_f32 s0, s2, 0x4f800000, s0
	v_mov_b32_e32 v15, v2
	v_s_rcp_f32 s0, s0
	s_delay_alu instid0(VALU_DEP_2) | instskip(NEXT) | instid1(VALU_DEP_3)
	v_xor_b32_e32 v8, v4, v6
	v_xor_b32_e32 v14, v5, v6
	s_delay_alu instid0(TRANS32_DEP_1) | instskip(NEXT) | instid1(SALU_CYCLE_3)
	s_mul_f32 s0, s0, 0x5f7ffffc
	s_mul_f32 s2, s0, 0x2f800000
	s_delay_alu instid0(SALU_CYCLE_3) | instskip(NEXT) | instid1(SALU_CYCLE_3)
	s_trunc_f32 s2, s2
	s_fmamk_f32 s0, s2, 0xcf800000, s0
	s_cvt_u32_f32 s37, s2
	s_delay_alu instid0(SALU_CYCLE_2) | instskip(NEXT) | instid1(SALU_CYCLE_3)
	s_cvt_u32_f32 s36, s0
	s_mul_u64 s[42:43], s[38:39], s[36:37]
	s_delay_alu instid0(SALU_CYCLE_1)
	s_mul_hi_u32 s45, s36, s43
	s_mul_i32 s44, s36, s43
	s_mul_hi_u32 s2, s36, s42
	s_mul_i32 s27, s37, s42
	s_add_nc_u64 s[44:45], s[2:3], s[44:45]
	s_mul_hi_u32 s0, s37, s42
	s_mul_hi_u32 s41, s37, s43
	s_add_co_u32 s2, s44, s27
	s_add_co_ci_u32 s2, s45, s0
	s_mul_i32 s42, s37, s43
	s_add_co_ci_u32 s43, s41, 0
	s_delay_alu instid0(SALU_CYCLE_1) | instskip(NEXT) | instid1(SALU_CYCLE_1)
	s_add_nc_u64 s[42:43], s[2:3], s[42:43]
	s_add_co_u32 s36, s36, s42
	s_cselect_b32 s0, -1, 0
	s_delay_alu instid0(SALU_CYCLE_1) | instskip(SKIP_1) | instid1(SALU_CYCLE_1)
	s_cmp_lg_u32 s0, 0
	s_add_co_ci_u32 s37, s37, s43
	s_mul_u64 s[38:39], s[38:39], s[36:37]
	s_delay_alu instid0(SALU_CYCLE_1)
	s_mul_hi_u32 s43, s36, s39
	s_mul_i32 s42, s36, s39
	s_mul_hi_u32 s2, s36, s38
	s_mul_i32 s27, s37, s38
	s_add_nc_u64 s[42:43], s[2:3], s[42:43]
	s_mul_hi_u32 s0, s37, s38
	s_mul_hi_u32 s41, s37, s39
	s_add_co_u32 s2, s42, s27
	s_add_co_ci_u32 s2, s43, s0
	s_mul_i32 s38, s37, s39
	s_add_co_ci_u32 s39, s41, 0
	s_delay_alu instid0(SALU_CYCLE_1) | instskip(NEXT) | instid1(SALU_CYCLE_1)
	s_add_nc_u64 s[38:39], s[2:3], s[38:39]
	s_add_co_u32 s0, s36, s38
	s_cselect_b32 s2, -1, 0
	v_mul_hi_u32 v18, v8, s0
	s_cmp_lg_u32 s2, 0
	s_add_co_ci_u32 s2, s37, s39
	s_and_b64 s[36:37], s[0:1], s[24:25]
	v_mul_u64_e32 v[12:13], s[2:3], v[8:9]
	v_mul_u64_e32 v[4:5], s[36:37], v[14:15]
	;; [unrolled: 1-line block ×3, first 2 shown]
	s_delay_alu instid0(VALU_DEP_3) | instskip(NEXT) | instid1(VALU_DEP_1)
	v_add_nc_u64_e32 v[12:13], v[18:19], v[12:13]
	v_add_co_u32 v3, vcc_lo, v12, v4
	s_delay_alu instid0(VALU_DEP_2) | instskip(NEXT) | instid1(VALU_DEP_4)
	v_add_co_ci_u32_e32 v18, vcc_lo, v13, v5, vcc_lo
	v_add_co_ci_u32_e32 v17, vcc_lo, 0, v17, vcc_lo
	s_delay_alu instid0(VALU_DEP_1) | instskip(NEXT) | instid1(VALU_DEP_1)
	v_add_nc_u64_e32 v[4:5], v[18:19], v[16:17]
	v_mul_u64_e32 v[12:13], s[30:31], v[4:5]
	s_delay_alu instid0(VALU_DEP_1) | instskip(NEXT) | instid1(VALU_DEP_2)
	v_sub_nc_u32_e32 v3, v14, v13
	v_sub_co_u32 v7, vcc_lo, v8, v12
	s_delay_alu instid0(VALU_DEP_1) | instskip(NEXT) | instid1(VALU_DEP_3)
	v_sub_co_ci_u32_e64 v11, null, v14, v13, vcc_lo
	v_subrev_co_ci_u32_e64 v3, null, s31, v3, vcc_lo
	s_delay_alu instid0(VALU_DEP_3) | instskip(SKIP_1) | instid1(VALU_DEP_3)
	v_sub_co_u32 v8, s0, v7, s30
	v_add_nc_u64_e32 v[12:13], 1, v[4:5]
	v_subrev_co_ci_u32_e64 v3, null, 0, v3, s0
	s_delay_alu instid0(VALU_DEP_3) | instskip(SKIP_1) | instid1(VALU_DEP_3)
	v_cmp_le_u32_e32 vcc_lo, s30, v8
	v_cndmask_b32_e64 v8, 0, -1, vcc_lo
	v_cmp_le_u32_e32 vcc_lo, s31, v3
	v_cndmask_b32_e64 v9, 0, -1, vcc_lo
	;; [unrolled: 2-line block ×4, first 2 shown]
	v_cmp_eq_u32_e32 vcc_lo, s31, v3
	v_cndmask_b32_e32 v3, v9, v8, vcc_lo
	v_cmp_eq_u32_e32 vcc_lo, s31, v11
	v_add_nc_u64_e32 v[8:9], 2, v[4:5]
	v_cndmask_b32_e32 v7, v14, v7, vcc_lo
	s_delay_alu instid0(VALU_DEP_4) | instskip(NEXT) | instid1(VALU_DEP_2)
	v_cmp_ne_u32_e32 vcc_lo, 0, v3
	v_cmp_ne_u32_e64 s0, 0, v7
	s_delay_alu instid0(VALU_DEP_4) | instskip(NEXT) | instid1(VALU_DEP_1)
	v_dual_cndmask_b32 v3, v13, v9, vcc_lo :: v_dual_cndmask_b32 v7, v12, v8, vcc_lo
	v_dual_cndmask_b32 v3, v5, v3, s0 :: v_dual_bitop2_b32 v6, s26, v6 bitop3:0x14
	s_delay_alu instid0(VALU_DEP_1) | instskip(NEXT) | instid1(VALU_DEP_2)
	v_dual_cndmask_b32 v4, v4, v7, s0 :: v_dual_mov_b32 v7, v6
	v_xor_b32_e32 v5, v3, v6
	s_delay_alu instid0(VALU_DEP_2) | instskip(NEXT) | instid1(VALU_DEP_1)
	v_xor_b32_e32 v4, v4, v6
	v_sub_nc_u64_e32 v[6:7], v[4:5], v[6:7]
                                        ; implicit-def: $vgpr4_vgpr5
.LBB15_14:                              ;   in Loop: Header=BB15_4 Depth=1
	s_and_not1_saveexec_b32 s0, s35
	s_cbranch_execz .LBB15_2
; %bb.15:                               ;   in Loop: Header=BB15_4 Depth=1
	v_cvt_f32_u32_e32 v3, s20
	s_sub_co_i32 s2, 0, s20
	s_delay_alu instid0(VALU_DEP_1) | instskip(SKIP_1) | instid1(TRANS32_DEP_1)
	v_rcp_iflag_f32_e32 v3, v3
	v_nop
	v_mul_f32_e32 v3, 0x4f7ffffe, v3
	s_delay_alu instid0(VALU_DEP_1) | instskip(NEXT) | instid1(VALU_DEP_1)
	v_cvt_u32_f32_e32 v3, v3
	v_mul_lo_u32 v5, s2, v3
	s_delay_alu instid0(VALU_DEP_1) | instskip(NEXT) | instid1(VALU_DEP_1)
	v_mul_hi_u32 v5, v3, v5
	v_add_nc_u32_e32 v3, v3, v5
	s_delay_alu instid0(VALU_DEP_1) | instskip(NEXT) | instid1(VALU_DEP_1)
	v_mul_hi_u32 v3, v4, v3
	v_mul_lo_u32 v5, v3, s20
	s_delay_alu instid0(VALU_DEP_1) | instskip(NEXT) | instid1(VALU_DEP_1)
	v_dual_sub_nc_u32 v4, v4, v5 :: v_dual_add_nc_u32 v5, 1, v3
	v_subrev_nc_u32_e32 v6, s20, v4
	v_cmp_le_u32_e32 vcc_lo, s20, v4
	s_delay_alu instid0(VALU_DEP_2) | instskip(NEXT) | instid1(VALU_DEP_1)
	v_dual_cndmask_b32 v4, v4, v6 :: v_dual_cndmask_b32 v3, v3, v5
	v_cmp_le_u32_e32 vcc_lo, s20, v4
	s_delay_alu instid0(VALU_DEP_2) | instskip(NEXT) | instid1(VALU_DEP_1)
	v_add_nc_u32_e32 v5, 1, v3
	v_cndmask_b32_e32 v6, v3, v5, vcc_lo
	s_branch .LBB15_2
.LBB15_16:
	s_endpgm
	.section	.rodata,"a",@progbits
	.p2align	6, 0x0
	.amdhsa_kernel _ZN2at4cuda17kernelHistogram1DIfalLi1ELi2ELin1ELNS0_23CUDAHistogramMemoryTypeE1EZNS0_21CUDA_tensor_histogramIfaLb1EEEbNS_6TensorES4_S4_lNS_14AccumulateTypeIT0_Lb1EE4typeES8_NS0_13TensorArgTypeES9_S9_EUllE0_EEvNS0_6detail10TensorInfoIT_T1_EESF_NSC_IKS6_SE_EElS8_S8_SE_T6_
		.amdhsa_group_segment_fixed_size 0
		.amdhsa_private_segment_fixed_size 0
		.amdhsa_kernarg_size 1544
		.amdhsa_user_sgpr_count 2
		.amdhsa_user_sgpr_dispatch_ptr 0
		.amdhsa_user_sgpr_queue_ptr 0
		.amdhsa_user_sgpr_kernarg_segment_ptr 1
		.amdhsa_user_sgpr_dispatch_id 0
		.amdhsa_user_sgpr_kernarg_preload_length 0
		.amdhsa_user_sgpr_kernarg_preload_offset 0
		.amdhsa_user_sgpr_private_segment_size 0
		.amdhsa_wavefront_size32 1
		.amdhsa_uses_dynamic_stack 0
		.amdhsa_enable_private_segment 0
		.amdhsa_system_sgpr_workgroup_id_x 1
		.amdhsa_system_sgpr_workgroup_id_y 0
		.amdhsa_system_sgpr_workgroup_id_z 0
		.amdhsa_system_sgpr_workgroup_info 0
		.amdhsa_system_vgpr_workitem_id 0
		.amdhsa_next_free_vgpr 24
		.amdhsa_next_free_sgpr 51
		.amdhsa_named_barrier_count 0
		.amdhsa_reserve_vcc 1
		.amdhsa_float_round_mode_32 0
		.amdhsa_float_round_mode_16_64 0
		.amdhsa_float_denorm_mode_32 3
		.amdhsa_float_denorm_mode_16_64 3
		.amdhsa_fp16_overflow 0
		.amdhsa_memory_ordered 1
		.amdhsa_forward_progress 1
		.amdhsa_inst_pref_size 17
		.amdhsa_round_robin_scheduling 0
		.amdhsa_exception_fp_ieee_invalid_op 0
		.amdhsa_exception_fp_denorm_src 0
		.amdhsa_exception_fp_ieee_div_zero 0
		.amdhsa_exception_fp_ieee_overflow 0
		.amdhsa_exception_fp_ieee_underflow 0
		.amdhsa_exception_fp_ieee_inexact 0
		.amdhsa_exception_int_div_zero 0
	.end_amdhsa_kernel
	.section	.text._ZN2at4cuda17kernelHistogram1DIfalLi1ELi2ELin1ELNS0_23CUDAHistogramMemoryTypeE1EZNS0_21CUDA_tensor_histogramIfaLb1EEEbNS_6TensorES4_S4_lNS_14AccumulateTypeIT0_Lb1EE4typeES8_NS0_13TensorArgTypeES9_S9_EUllE0_EEvNS0_6detail10TensorInfoIT_T1_EESF_NSC_IKS6_SE_EElS8_S8_SE_T6_,"axG",@progbits,_ZN2at4cuda17kernelHistogram1DIfalLi1ELi2ELin1ELNS0_23CUDAHistogramMemoryTypeE1EZNS0_21CUDA_tensor_histogramIfaLb1EEEbNS_6TensorES4_S4_lNS_14AccumulateTypeIT0_Lb1EE4typeES8_NS0_13TensorArgTypeES9_S9_EUllE0_EEvNS0_6detail10TensorInfoIT_T1_EESF_NSC_IKS6_SE_EElS8_S8_SE_T6_,comdat
.Lfunc_end15:
	.size	_ZN2at4cuda17kernelHistogram1DIfalLi1ELi2ELin1ELNS0_23CUDAHistogramMemoryTypeE1EZNS0_21CUDA_tensor_histogramIfaLb1EEEbNS_6TensorES4_S4_lNS_14AccumulateTypeIT0_Lb1EE4typeES8_NS0_13TensorArgTypeES9_S9_EUllE0_EEvNS0_6detail10TensorInfoIT_T1_EESF_NSC_IKS6_SE_EElS8_S8_SE_T6_, .Lfunc_end15-_ZN2at4cuda17kernelHistogram1DIfalLi1ELi2ELin1ELNS0_23CUDAHistogramMemoryTypeE1EZNS0_21CUDA_tensor_histogramIfaLb1EEEbNS_6TensorES4_S4_lNS_14AccumulateTypeIT0_Lb1EE4typeES8_NS0_13TensorArgTypeES9_S9_EUllE0_EEvNS0_6detail10TensorInfoIT_T1_EESF_NSC_IKS6_SE_EElS8_S8_SE_T6_
                                        ; -- End function
	.set _ZN2at4cuda17kernelHistogram1DIfalLi1ELi2ELin1ELNS0_23CUDAHistogramMemoryTypeE1EZNS0_21CUDA_tensor_histogramIfaLb1EEEbNS_6TensorES4_S4_lNS_14AccumulateTypeIT0_Lb1EE4typeES8_NS0_13TensorArgTypeES9_S9_EUllE0_EEvNS0_6detail10TensorInfoIT_T1_EESF_NSC_IKS6_SE_EElS8_S8_SE_T6_.num_vgpr, 24
	.set _ZN2at4cuda17kernelHistogram1DIfalLi1ELi2ELin1ELNS0_23CUDAHistogramMemoryTypeE1EZNS0_21CUDA_tensor_histogramIfaLb1EEEbNS_6TensorES4_S4_lNS_14AccumulateTypeIT0_Lb1EE4typeES8_NS0_13TensorArgTypeES9_S9_EUllE0_EEvNS0_6detail10TensorInfoIT_T1_EESF_NSC_IKS6_SE_EElS8_S8_SE_T6_.num_agpr, 0
	.set _ZN2at4cuda17kernelHistogram1DIfalLi1ELi2ELin1ELNS0_23CUDAHistogramMemoryTypeE1EZNS0_21CUDA_tensor_histogramIfaLb1EEEbNS_6TensorES4_S4_lNS_14AccumulateTypeIT0_Lb1EE4typeES8_NS0_13TensorArgTypeES9_S9_EUllE0_EEvNS0_6detail10TensorInfoIT_T1_EESF_NSC_IKS6_SE_EElS8_S8_SE_T6_.numbered_sgpr, 51
	.set _ZN2at4cuda17kernelHistogram1DIfalLi1ELi2ELin1ELNS0_23CUDAHistogramMemoryTypeE1EZNS0_21CUDA_tensor_histogramIfaLb1EEEbNS_6TensorES4_S4_lNS_14AccumulateTypeIT0_Lb1EE4typeES8_NS0_13TensorArgTypeES9_S9_EUllE0_EEvNS0_6detail10TensorInfoIT_T1_EESF_NSC_IKS6_SE_EElS8_S8_SE_T6_.num_named_barrier, 0
	.set _ZN2at4cuda17kernelHistogram1DIfalLi1ELi2ELin1ELNS0_23CUDAHistogramMemoryTypeE1EZNS0_21CUDA_tensor_histogramIfaLb1EEEbNS_6TensorES4_S4_lNS_14AccumulateTypeIT0_Lb1EE4typeES8_NS0_13TensorArgTypeES9_S9_EUllE0_EEvNS0_6detail10TensorInfoIT_T1_EESF_NSC_IKS6_SE_EElS8_S8_SE_T6_.private_seg_size, 0
	.set _ZN2at4cuda17kernelHistogram1DIfalLi1ELi2ELin1ELNS0_23CUDAHistogramMemoryTypeE1EZNS0_21CUDA_tensor_histogramIfaLb1EEEbNS_6TensorES4_S4_lNS_14AccumulateTypeIT0_Lb1EE4typeES8_NS0_13TensorArgTypeES9_S9_EUllE0_EEvNS0_6detail10TensorInfoIT_T1_EESF_NSC_IKS6_SE_EElS8_S8_SE_T6_.uses_vcc, 1
	.set _ZN2at4cuda17kernelHistogram1DIfalLi1ELi2ELin1ELNS0_23CUDAHistogramMemoryTypeE1EZNS0_21CUDA_tensor_histogramIfaLb1EEEbNS_6TensorES4_S4_lNS_14AccumulateTypeIT0_Lb1EE4typeES8_NS0_13TensorArgTypeES9_S9_EUllE0_EEvNS0_6detail10TensorInfoIT_T1_EESF_NSC_IKS6_SE_EElS8_S8_SE_T6_.uses_flat_scratch, 0
	.set _ZN2at4cuda17kernelHistogram1DIfalLi1ELi2ELin1ELNS0_23CUDAHistogramMemoryTypeE1EZNS0_21CUDA_tensor_histogramIfaLb1EEEbNS_6TensorES4_S4_lNS_14AccumulateTypeIT0_Lb1EE4typeES8_NS0_13TensorArgTypeES9_S9_EUllE0_EEvNS0_6detail10TensorInfoIT_T1_EESF_NSC_IKS6_SE_EElS8_S8_SE_T6_.has_dyn_sized_stack, 0
	.set _ZN2at4cuda17kernelHistogram1DIfalLi1ELi2ELin1ELNS0_23CUDAHistogramMemoryTypeE1EZNS0_21CUDA_tensor_histogramIfaLb1EEEbNS_6TensorES4_S4_lNS_14AccumulateTypeIT0_Lb1EE4typeES8_NS0_13TensorArgTypeES9_S9_EUllE0_EEvNS0_6detail10TensorInfoIT_T1_EESF_NSC_IKS6_SE_EElS8_S8_SE_T6_.has_recursion, 0
	.set _ZN2at4cuda17kernelHistogram1DIfalLi1ELi2ELin1ELNS0_23CUDAHistogramMemoryTypeE1EZNS0_21CUDA_tensor_histogramIfaLb1EEEbNS_6TensorES4_S4_lNS_14AccumulateTypeIT0_Lb1EE4typeES8_NS0_13TensorArgTypeES9_S9_EUllE0_EEvNS0_6detail10TensorInfoIT_T1_EESF_NSC_IKS6_SE_EElS8_S8_SE_T6_.has_indirect_call, 0
	.section	.AMDGPU.csdata,"",@progbits
; Kernel info:
; codeLenInByte = 2060
; TotalNumSgprs: 53
; NumVgprs: 24
; ScratchSize: 0
; MemoryBound: 0
; FloatMode: 240
; IeeeMode: 1
; LDSByteSize: 0 bytes/workgroup (compile time only)
; SGPRBlocks: 0
; VGPRBlocks: 1
; NumSGPRsForWavesPerEU: 53
; NumVGPRsForWavesPerEU: 24
; NamedBarCnt: 0
; Occupancy: 16
; WaveLimiterHint : 1
; COMPUTE_PGM_RSRC2:SCRATCH_EN: 0
; COMPUTE_PGM_RSRC2:USER_SGPR: 2
; COMPUTE_PGM_RSRC2:TRAP_HANDLER: 0
; COMPUTE_PGM_RSRC2:TGID_X_EN: 1
; COMPUTE_PGM_RSRC2:TGID_Y_EN: 0
; COMPUTE_PGM_RSRC2:TGID_Z_EN: 0
; COMPUTE_PGM_RSRC2:TIDIG_COMP_CNT: 0
	.section	.text._ZN2at4cuda17kernelHistogram1DIlalLi1ELi2ELin1ELNS0_23CUDAHistogramMemoryTypeE0EZNS0_21CUDA_tensor_histogramIlaLb0EEEbNS_6TensorES4_S4_lNS_14AccumulateTypeIT0_Lb1EE4typeES8_NS0_13TensorArgTypeES9_S9_EUllE_EEvNS0_6detail10TensorInfoIT_T1_EESF_NSC_IKS6_SE_EElS8_S8_SE_T6_,"axG",@progbits,_ZN2at4cuda17kernelHistogram1DIlalLi1ELi2ELin1ELNS0_23CUDAHistogramMemoryTypeE0EZNS0_21CUDA_tensor_histogramIlaLb0EEEbNS_6TensorES4_S4_lNS_14AccumulateTypeIT0_Lb1EE4typeES8_NS0_13TensorArgTypeES9_S9_EUllE_EEvNS0_6detail10TensorInfoIT_T1_EESF_NSC_IKS6_SE_EElS8_S8_SE_T6_,comdat
	.protected	_ZN2at4cuda17kernelHistogram1DIlalLi1ELi2ELin1ELNS0_23CUDAHistogramMemoryTypeE0EZNS0_21CUDA_tensor_histogramIlaLb0EEEbNS_6TensorES4_S4_lNS_14AccumulateTypeIT0_Lb1EE4typeES8_NS0_13TensorArgTypeES9_S9_EUllE_EEvNS0_6detail10TensorInfoIT_T1_EESF_NSC_IKS6_SE_EElS8_S8_SE_T6_ ; -- Begin function _ZN2at4cuda17kernelHistogram1DIlalLi1ELi2ELin1ELNS0_23CUDAHistogramMemoryTypeE0EZNS0_21CUDA_tensor_histogramIlaLb0EEEbNS_6TensorES4_S4_lNS_14AccumulateTypeIT0_Lb1EE4typeES8_NS0_13TensorArgTypeES9_S9_EUllE_EEvNS0_6detail10TensorInfoIT_T1_EESF_NSC_IKS6_SE_EElS8_S8_SE_T6_
	.globl	_ZN2at4cuda17kernelHistogram1DIlalLi1ELi2ELin1ELNS0_23CUDAHistogramMemoryTypeE0EZNS0_21CUDA_tensor_histogramIlaLb0EEEbNS_6TensorES4_S4_lNS_14AccumulateTypeIT0_Lb1EE4typeES8_NS0_13TensorArgTypeES9_S9_EUllE_EEvNS0_6detail10TensorInfoIT_T1_EESF_NSC_IKS6_SE_EElS8_S8_SE_T6_
	.p2align	8
	.type	_ZN2at4cuda17kernelHistogram1DIlalLi1ELi2ELin1ELNS0_23CUDAHistogramMemoryTypeE0EZNS0_21CUDA_tensor_histogramIlaLb0EEEbNS_6TensorES4_S4_lNS_14AccumulateTypeIT0_Lb1EE4typeES8_NS0_13TensorArgTypeES9_S9_EUllE_EEvNS0_6detail10TensorInfoIT_T1_EESF_NSC_IKS6_SE_EElS8_S8_SE_T6_,@function
_ZN2at4cuda17kernelHistogram1DIlalLi1ELi2ELin1ELNS0_23CUDAHistogramMemoryTypeE0EZNS0_21CUDA_tensor_histogramIlaLb0EEEbNS_6TensorES4_S4_lNS_14AccumulateTypeIT0_Lb1EE4typeES8_NS0_13TensorArgTypeES9_S9_EUllE_EEvNS0_6detail10TensorInfoIT_T1_EESF_NSC_IKS6_SE_EElS8_S8_SE_T6_: ; @_ZN2at4cuda17kernelHistogram1DIlalLi1ELi2ELin1ELNS0_23CUDAHistogramMemoryTypeE0EZNS0_21CUDA_tensor_histogramIlaLb0EEEbNS_6TensorES4_S4_lNS_14AccumulateTypeIT0_Lb1EE4typeES8_NS0_13TensorArgTypeES9_S9_EUllE_EEvNS0_6detail10TensorInfoIT_T1_EESF_NSC_IKS6_SE_EElS8_S8_SE_T6_
; %bb.0:
	s_clause 0x2
	s_load_b128 s[12:15], s[0:1], 0x0
	s_load_b64 s[16:17], s[0:1], 0x500
	s_load_b256 s[4:11], s[0:1], 0x4e0
	v_mov_b32_e32 v1, 0
	s_add_nc_u64 s[28:29], s[0:1], 0x6a0
	s_mov_b32 s3, exec_lo
                                        ; implicit-def: $sgpr18
                                        ; implicit-def: $sgpr19
	s_wait_kmcnt 0x0
	s_delay_alu instid0(VALU_DEP_1)
	v_cmp_gt_i64_e64 s2, s[14:15], v[0:1]
	v_cmpx_le_i64_e64 s[14:15], v[0:1]
	s_xor_b32 s3, exec_lo, s3
	s_cbranch_execz .LBB16_2
; %bb.1:
	s_load_b32 s18, s[28:29], 0xc
	s_wait_kmcnt 0x0
	s_and_b32 s19, s18, 0xffff
.LBB16_2:
	s_or_saveexec_b32 s3, s3
	v_dual_mov_b32 v16, s18 :: v_dual_mov_b32 v15, s19
	v_lshl_add_u32 v14, v0, 3, 0
	s_xor_b32 exec_lo, exec_lo, s3
	s_cbranch_execz .LBB16_6
; %bb.3:
	s_load_b32 s20, s[28:29], 0xc
	v_mov_b64_e32 v[2:3], 0
	v_mov_b64_e32 v[4:5], v[0:1]
	v_lshl_add_u32 v6, v0, 3, 0
	s_mov_b32 s19, 0
	s_delay_alu instid0(SALU_CYCLE_1) | instskip(SKIP_2) | instid1(SALU_CYCLE_1)
	s_mov_b32 s21, s19
	s_wait_kmcnt 0x0
	s_and_b32 s18, s20, 0xffff
	s_lshl_b32 s22, s18, 3
.LBB16_4:                               ; =>This Inner Loop Header: Depth=1
	v_add_nc_u64_e32 v[4:5], s[18:19], v[4:5]
	ds_store_b64 v6, v[2:3]
	v_add_nc_u32_e32 v6, s22, v6
	v_cmp_le_i64_e32 vcc_lo, s[14:15], v[4:5]
	s_or_b32 s21, vcc_lo, s21
	s_delay_alu instid0(SALU_CYCLE_1)
	s_and_not1_b32 exec_lo, exec_lo, s21
	s_cbranch_execnz .LBB16_4
; %bb.5:
	s_or_b32 exec_lo, exec_lo, s21
	v_dual_mov_b32 v16, s20 :: v_dual_mov_b32 v15, s18
.LBB16_6:
	s_or_b32 exec_lo, exec_lo, s3
	s_bfe_u32 s3, ttmp6, 0x4000c
	s_clause 0x1
	s_load_b64 s[18:19], s[0:1], 0xd0
	s_load_b64 s[20:21], s[0:1], 0x5d0
	s_add_co_i32 s3, s3, 1
	s_and_b32 s22, ttmp6, 15
	s_mul_i32 s3, ttmp9, s3
	s_getreg_b32 s23, hwreg(HW_REG_IB_STS2, 6, 4)
	s_add_co_i32 s22, s22, s3
	s_cmp_eq_u32 s23, 0
	v_mov_b32_e32 v4, 0
	s_cselect_b32 s3, ttmp9, s22
	s_mov_b32 s23, 0
	v_mad_u32 v2, s3, v15, v0
	s_mov_b32 s3, exec_lo
	v_mov_b32_e32 v3, v4
	s_wait_dscnt 0x0
	s_barrier_signal -1
	s_barrier_wait -1
	s_delay_alu instid0(VALU_DEP_1)
	v_cmpx_gt_i64_e64 s[10:11], v[2:3]
	s_cbranch_execz .LBB16_22
; %bb.7:
	s_load_b32 s33, s[0:1], 0x4d8
	s_load_b32 s22, s[28:29], 0x0
	s_clause 0x1
	s_load_b64 s[24:25], s[0:1], 0x410
	s_load_b64 s[26:27], s[0:1], 0x340
	s_add_nc_u64 s[34:35], s[0:1], 0x340
	v_mov_b32_e32 v7, v4
	s_wait_xcnt 0x0
	s_sub_nc_u64 s[28:29], s[8:9], s[6:7]
	s_mov_b64 s[30:31], 0xffffffff
	s_mov_b32 s46, 0
	s_wait_kmcnt 0x0
	s_cmp_gt_i32 s33, 1
	v_mul_lo_u32 v6, s22, v15
	s_cselect_b32 s1, -1, 0
	s_add_co_i32 s22, s33, -1
	s_add_co_i32 s33, s33, 1
	s_lshl_b64 s[36:37], s[22:23], 3
	s_delay_alu instid0(SALU_CYCLE_1)
	s_add_nc_u64 s[34:35], s[34:35], s[36:37]
	s_ashr_i32 s36, s29, 31
	s_add_nc_u64 s[34:35], s[34:35], 8
	s_branch .LBB16_10
.LBB16_8:                               ;   in Loop: Header=BB16_10 Depth=1
	s_or_b32 exec_lo, exec_lo, s0
	v_mul_u64_e32 v[8:9], s[20:21], v[2:3]
	s_delay_alu instid0(VALU_DEP_2) | instskip(NEXT) | instid1(VALU_DEP_1)
	v_ashrrev_i32_e32 v11, 31, v10
	v_cmp_eq_u64_e32 vcc_lo, s[4:5], v[10:11]
	v_subrev_co_ci_u32_e64 v5, null, 0, v10, vcc_lo
	s_delay_alu instid0(VALU_DEP_1)
	v_lshl_add_u32 v5, v5, 3, 0
	v_lshl_add_u64 v[8:9], v[8:9], 3, s[16:17]
	global_load_b64 v[8:9], v[8:9], off
	s_wait_loadcnt 0x0
	ds_add_u64 v5, v[8:9]
.LBB16_9:                               ;   in Loop: Header=BB16_10 Depth=1
	s_wait_xcnt 0x0
	s_or_b32 exec_lo, exec_lo, s40
	v_add_nc_u64_e32 v[2:3], v[2:3], v[6:7]
	s_delay_alu instid0(VALU_DEP_1) | instskip(SKIP_1) | instid1(SALU_CYCLE_1)
	v_cmp_le_i64_e32 vcc_lo, s[10:11], v[2:3]
	s_or_b32 s46, vcc_lo, s46
	s_and_not1_b32 exec_lo, exec_lo, s46
	s_cbranch_execz .LBB16_22
.LBB16_10:                              ; =>This Loop Header: Depth=1
                                        ;     Child Loop BB16_11 Depth 2
	v_mov_b64_e32 v[8:9], 0
	v_mov_b64_e32 v[10:11], v[2:3]
	;; [unrolled: 1-line block ×3, first 2 shown]
	s_and_not1_b32 vcc_lo, exec_lo, s1
	s_mov_b64 s[38:39], s[34:35]
	s_mov_b32 s37, s33
	s_cbranch_vccnz .LBB16_17
.LBB16_11:                              ;   Parent Loop BB16_10 Depth=1
                                        ; =>  This Inner Loop Header: Depth=2
	s_load_b64 s[40:41], s[38:39], 0x0
                                        ; implicit-def: $vgpr12_vgpr13
	s_mov_b32 s0, exec_lo
	s_wait_kmcnt 0x0
	s_delay_alu instid0(VALU_DEP_1) | instskip(NEXT) | instid1(VALU_DEP_1)
	v_or_b32_e32 v5, s41, v11
	v_cmpx_ne_u64_e32 0, v[4:5]
	s_xor_b32 s47, exec_lo, s0
	s_cbranch_execz .LBB16_13
; %bb.12:                               ;   in Loop: Header=BB16_11 Depth=2
	s_ashr_i32 s42, s41, 31
	v_dual_mov_b32 v21, v4 :: v_dual_ashrrev_i32 v12, 31, v11
	s_mov_b32 s43, s42
	v_mov_b32_e32 v29, v4
	s_add_nc_u64 s[44:45], s[40:41], s[42:43]
	s_delay_alu instid0(VALU_DEP_2) | instskip(SKIP_1) | instid1(SALU_CYCLE_1)
	v_mov_b32_e32 v13, v12
	s_xor_b64 s[44:45], s[44:45], s[42:43]
	s_cvt_f32_u32 s0, s44
	s_cvt_f32_u32 s22, s45
	s_sub_nc_u64 s[50:51], 0, s[44:45]
	v_add_nc_u64_e32 v[18:19], v[10:11], v[12:13]
	v_mov_b32_e32 v25, v4
	s_fmamk_f32 s0, s22, 0x4f800000, s0
	s_delay_alu instid0(SALU_CYCLE_3) | instskip(NEXT) | instid1(VALU_DEP_2)
	v_s_rcp_f32 s0, s0
	v_xor_b32_e32 v20, v18, v12
	s_delay_alu instid0(VALU_DEP_3) | instskip(SKIP_1) | instid1(TRANS32_DEP_1)
	v_xor_b32_e32 v24, v19, v12
	v_xor_b32_e32 v12, s42, v12
	s_mul_f32 s0, s0, 0x5f7ffffc
	s_delay_alu instid0(SALU_CYCLE_3) | instskip(NEXT) | instid1(SALU_CYCLE_3)
	s_mul_f32 s22, s0, 0x2f800000
	s_trunc_f32 s22, s22
	s_delay_alu instid0(SALU_CYCLE_3) | instskip(SKIP_1) | instid1(SALU_CYCLE_2)
	s_fmamk_f32 s0, s22, 0xcf800000, s0
	s_cvt_u32_f32 s49, s22
	s_cvt_u32_f32 s48, s0
	s_delay_alu instid0(SALU_CYCLE_3) | instskip(NEXT) | instid1(SALU_CYCLE_1)
	s_mul_u64 s[52:53], s[50:51], s[48:49]
	s_mul_hi_u32 s55, s48, s53
	s_mul_i32 s54, s48, s53
	s_mul_hi_u32 s22, s48, s52
	s_mul_i32 s43, s49, s52
	s_add_nc_u64 s[54:55], s[22:23], s[54:55]
	s_mul_hi_u32 s0, s49, s52
	s_mul_hi_u32 s56, s49, s53
	s_add_co_u32 s22, s54, s43
	s_add_co_ci_u32 s22, s55, s0
	s_mul_i32 s52, s49, s53
	s_add_co_ci_u32 s53, s56, 0
	s_delay_alu instid0(SALU_CYCLE_1) | instskip(NEXT) | instid1(SALU_CYCLE_1)
	s_add_nc_u64 s[52:53], s[22:23], s[52:53]
	s_add_co_u32 s48, s48, s52
	s_cselect_b32 s0, -1, 0
	s_delay_alu instid0(SALU_CYCLE_1) | instskip(SKIP_1) | instid1(SALU_CYCLE_1)
	s_cmp_lg_u32 s0, 0
	s_add_co_ci_u32 s49, s49, s53
	s_mul_u64 s[50:51], s[50:51], s[48:49]
	s_delay_alu instid0(SALU_CYCLE_1)
	s_mul_hi_u32 s53, s48, s51
	s_mul_i32 s52, s48, s51
	s_mul_hi_u32 s22, s48, s50
	s_mul_i32 s43, s49, s50
	s_add_nc_u64 s[52:53], s[22:23], s[52:53]
	s_mul_hi_u32 s0, s49, s50
	s_mul_hi_u32 s54, s49, s51
	s_add_co_u32 s22, s52, s43
	s_add_co_ci_u32 s22, s53, s0
	s_mul_i32 s50, s49, s51
	s_add_co_ci_u32 s51, s54, 0
	s_delay_alu instid0(SALU_CYCLE_1) | instskip(NEXT) | instid1(SALU_CYCLE_1)
	s_add_nc_u64 s[50:51], s[22:23], s[50:51]
	s_add_co_u32 s0, s48, s50
	s_cselect_b32 s22, -1, 0
	v_mul_hi_u32 v28, v20, s0
	s_cmp_lg_u32 s22, 0
	s_add_co_ci_u32 s22, s49, s51
	s_and_b64 s[48:49], s[0:1], s[30:31]
	v_mul_u64_e32 v[22:23], s[22:23], v[20:21]
	v_mul_u64_e32 v[18:19], s[48:49], v[24:25]
	;; [unrolled: 1-line block ×3, first 2 shown]
	s_delay_alu instid0(VALU_DEP_3) | instskip(NEXT) | instid1(VALU_DEP_1)
	v_add_nc_u64_e32 v[22:23], v[28:29], v[22:23]
	v_add_co_u32 v5, vcc_lo, v22, v18
	s_delay_alu instid0(VALU_DEP_2) | instskip(NEXT) | instid1(VALU_DEP_4)
	v_add_co_ci_u32_e32 v28, vcc_lo, v23, v19, vcc_lo
	v_add_co_ci_u32_e32 v27, vcc_lo, 0, v27, vcc_lo
	s_delay_alu instid0(VALU_DEP_1) | instskip(NEXT) | instid1(VALU_DEP_1)
	v_add_nc_u64_e32 v[18:19], v[28:29], v[26:27]
	v_mul_u64_e32 v[22:23], s[44:45], v[18:19]
	s_delay_alu instid0(VALU_DEP_1) | instskip(NEXT) | instid1(VALU_DEP_2)
	v_sub_nc_u32_e32 v5, v24, v23
	v_sub_co_u32 v13, vcc_lo, v20, v22
	s_delay_alu instid0(VALU_DEP_1) | instskip(NEXT) | instid1(VALU_DEP_3)
	v_sub_co_ci_u32_e64 v24, null, v24, v23, vcc_lo
	v_subrev_co_ci_u32_e64 v5, null, s45, v5, vcc_lo
	s_delay_alu instid0(VALU_DEP_3) | instskip(SKIP_1) | instid1(VALU_DEP_3)
	v_sub_co_u32 v17, s0, v13, s44
	v_add_nc_u64_e32 v[22:23], 1, v[18:19]
	v_subrev_co_ci_u32_e64 v5, null, 0, v5, s0
	s_delay_alu instid0(VALU_DEP_3) | instskip(SKIP_1) | instid1(VALU_DEP_3)
	v_cmp_le_u32_e32 vcc_lo, s44, v17
	v_cndmask_b32_e64 v17, 0, -1, vcc_lo
	v_cmp_le_u32_e32 vcc_lo, s45, v5
	v_cndmask_b32_e64 v20, 0, -1, vcc_lo
	v_cmp_le_u32_e32 vcc_lo, s44, v13
	v_cndmask_b32_e64 v13, 0, -1, vcc_lo
	v_cmp_le_u32_e32 vcc_lo, s45, v24
	v_cndmask_b32_e64 v25, 0, -1, vcc_lo
	v_cmp_eq_u32_e32 vcc_lo, s45, v5
	v_cndmask_b32_e32 v5, v20, v17, vcc_lo
	v_cmp_eq_u32_e32 vcc_lo, s45, v24
	v_add_nc_u64_e32 v[20:21], 2, v[18:19]
	v_cndmask_b32_e32 v13, v25, v13, vcc_lo
	s_delay_alu instid0(VALU_DEP_4) | instskip(NEXT) | instid1(VALU_DEP_2)
	v_cmp_ne_u32_e32 vcc_lo, 0, v5
	v_cmp_ne_u32_e64 s0, 0, v13
	s_delay_alu instid0(VALU_DEP_4) | instskip(NEXT) | instid1(VALU_DEP_1)
	v_dual_cndmask_b32 v5, v23, v21, vcc_lo :: v_dual_cndmask_b32 v13, v22, v20, vcc_lo
	v_dual_cndmask_b32 v17, v18, v13, s0 :: v_dual_mov_b32 v13, v12
	s_delay_alu instid0(VALU_DEP_1) | instskip(NEXT) | instid1(VALU_DEP_1)
	v_dual_cndmask_b32 v5, v19, v5, s0 :: v_dual_bitop2_b32 v18, v17, v12 bitop3:0x14
	v_xor_b32_e32 v19, v5, v12
	s_delay_alu instid0(VALU_DEP_1)
	v_sub_nc_u64_e32 v[12:13], v[18:19], v[12:13]
.LBB16_13:                              ;   in Loop: Header=BB16_11 Depth=2
	s_and_not1_saveexec_b32 s0, s47
	s_cbranch_execz .LBB16_15
; %bb.14:                               ;   in Loop: Header=BB16_11 Depth=2
	v_cvt_f32_u32_e32 v5, s40
	s_sub_co_i32 s22, 0, s40
	s_delay_alu instid0(VALU_DEP_1) | instskip(SKIP_1) | instid1(TRANS32_DEP_1)
	v_rcp_iflag_f32_e32 v5, v5
	v_nop
	v_mul_f32_e32 v5, 0x4f7ffffe, v5
	s_delay_alu instid0(VALU_DEP_1) | instskip(NEXT) | instid1(VALU_DEP_1)
	v_cvt_u32_f32_e32 v5, v5
	v_mul_lo_u32 v12, s22, v5
	s_delay_alu instid0(VALU_DEP_1) | instskip(NEXT) | instid1(VALU_DEP_1)
	v_mul_hi_u32 v12, v5, v12
	v_add_nc_u32_e32 v5, v5, v12
	s_delay_alu instid0(VALU_DEP_1) | instskip(NEXT) | instid1(VALU_DEP_1)
	v_mul_hi_u32 v5, v10, v5
	v_mul_lo_u32 v12, v5, s40
	s_delay_alu instid0(VALU_DEP_1) | instskip(NEXT) | instid1(VALU_DEP_1)
	v_dual_add_nc_u32 v13, 1, v5 :: v_dual_sub_nc_u32 v12, v10, v12
	v_subrev_nc_u32_e32 v17, s40, v12
	v_cmp_le_u32_e32 vcc_lo, s40, v12
	s_delay_alu instid0(VALU_DEP_2) | instskip(NEXT) | instid1(VALU_DEP_4)
	v_cndmask_b32_e32 v12, v12, v17, vcc_lo
	v_cndmask_b32_e32 v5, v5, v13, vcc_lo
	s_delay_alu instid0(VALU_DEP_2) | instskip(NEXT) | instid1(VALU_DEP_2)
	v_cmp_le_u32_e32 vcc_lo, s40, v12
	v_add_nc_u32_e32 v13, 1, v5
	s_delay_alu instid0(VALU_DEP_1)
	v_dual_cndmask_b32 v12, v5, v13 :: v_dual_mov_b32 v13, v4
.LBB16_15:                              ;   in Loop: Header=BB16_11 Depth=2
	s_or_b32 exec_lo, exec_lo, s0
	s_delay_alu instid0(VALU_DEP_1)
	v_mul_u64_e32 v[18:19], s[40:41], v[12:13]
	s_load_b64 s[40:41], s[38:39], 0xc8
	s_add_co_i32 s37, s37, -1
	s_wait_xcnt 0x0
	s_add_nc_u64 s[38:39], s[38:39], -8
	s_cmp_gt_u32 s37, 2
	s_delay_alu instid0(VALU_DEP_1) | instskip(SKIP_1) | instid1(VALU_DEP_1)
	v_sub_nc_u64_e32 v[10:11], v[10:11], v[18:19]
	s_wait_kmcnt 0x0
	v_mad_nc_u64_u32 v[8:9], s40, v10, v[8:9]
	s_delay_alu instid0(VALU_DEP_1) | instskip(NEXT) | instid1(VALU_DEP_1)
	v_mad_u32 v5, s41, v10, v9
	v_mad_u32 v9, s40, v11, v5
	s_cbranch_scc0 .LBB16_17
; %bb.16:                               ;   in Loop: Header=BB16_11 Depth=2
	v_mov_b64_e32 v[10:11], v[12:13]
	s_branch .LBB16_11
.LBB16_17:                              ;   in Loop: Header=BB16_10 Depth=1
	s_delay_alu instid0(VALU_DEP_1) | instskip(NEXT) | instid1(VALU_DEP_1)
	v_mad_nc_u64_u32 v[10:11], s24, v12, s[26:27]
	v_mad_u32 v5, s25, v12, v11
	s_delay_alu instid0(VALU_DEP_1) | instskip(NEXT) | instid1(VALU_DEP_1)
	v_mad_u32 v11, s24, v13, v5
	v_add_nc_u64_e32 v[8:9], v[10:11], v[8:9]
	global_load_i8 v5, v[8:9], off
	s_wait_loadcnt 0x0
	s_wait_xcnt 0x0
	v_bfe_i32 v8, v5, 0, 16
	s_delay_alu instid0(VALU_DEP_1) | instskip(NEXT) | instid1(VALU_DEP_1)
	v_ashrrev_i32_e32 v9, 31, v8
	v_cmp_le_i64_e32 vcc_lo, s[6:7], v[8:9]
	v_cmp_ge_i64_e64 s0, s[8:9], v[8:9]
	s_and_b32 s0, vcc_lo, s0
	s_delay_alu instid0(SALU_CYCLE_1)
	s_and_saveexec_b32 s40, s0
	s_cbranch_execz .LBB16_9
; %bb.18:                               ;   in Loop: Header=BB16_10 Depth=1
	v_sub_nc_u64_e64 v[8:9], v[8:9], s[6:7]
                                        ; implicit-def: $vgpr10_vgpr11
	s_mov_b32 s0, exec_lo
	s_delay_alu instid0(VALU_DEP_1) | instskip(NEXT) | instid1(VALU_DEP_1)
	v_mul_u64_e32 v[8:9], s[4:5], v[8:9]
	v_or_b32_e32 v5, s29, v9
	s_delay_alu instid0(VALU_DEP_1)
	v_cmpx_ne_u64_e32 0, v[4:5]
	s_xor_b32 s41, exec_lo, s0
	s_cbranch_execz .LBB16_20
; %bb.19:                               ;   in Loop: Header=BB16_10 Depth=1
	s_mov_b32 s37, s36
	v_dual_mov_b32 v13, v4 :: v_dual_ashrrev_i32 v10, 31, v9
	s_add_nc_u64 s[38:39], s[28:29], s[36:37]
	v_mov_b32_e32 v25, v4
	s_xor_b64 s[38:39], s[38:39], s[36:37]
	s_delay_alu instid0(VALU_DEP_2) | instskip(SKIP_3) | instid1(VALU_DEP_1)
	v_mov_b32_e32 v11, v10
	s_cvt_f32_u32 s0, s38
	s_cvt_f32_u32 s22, s39
	s_sub_nc_u64 s[44:45], 0, s[38:39]
	v_add_nc_u64_e32 v[8:9], v[8:9], v[10:11]
	s_delay_alu instid0(SALU_CYCLE_1) | instskip(SKIP_1) | instid1(SALU_CYCLE_2)
	s_fmamk_f32 s0, s22, 0x4f800000, s0
	v_mov_b32_e32 v21, v4
	v_s_rcp_f32 s0, s0
	s_delay_alu instid0(VALU_DEP_2) | instskip(NEXT) | instid1(VALU_DEP_3)
	v_xor_b32_e32 v12, v8, v10
	v_xor_b32_e32 v20, v9, v10
	s_delay_alu instid0(TRANS32_DEP_1) | instskip(NEXT) | instid1(SALU_CYCLE_3)
	s_mul_f32 s0, s0, 0x5f7ffffc
	s_mul_f32 s22, s0, 0x2f800000
	s_delay_alu instid0(SALU_CYCLE_3) | instskip(NEXT) | instid1(SALU_CYCLE_3)
	s_trunc_f32 s22, s22
	s_fmamk_f32 s0, s22, 0xcf800000, s0
	s_cvt_u32_f32 s43, s22
	s_delay_alu instid0(SALU_CYCLE_2) | instskip(NEXT) | instid1(SALU_CYCLE_3)
	s_cvt_u32_f32 s42, s0
	s_mul_u64 s[48:49], s[44:45], s[42:43]
	s_delay_alu instid0(SALU_CYCLE_1)
	s_mul_hi_u32 s51, s42, s49
	s_mul_i32 s50, s42, s49
	s_mul_hi_u32 s22, s42, s48
	s_mul_i32 s37, s43, s48
	s_add_nc_u64 s[50:51], s[22:23], s[50:51]
	s_mul_hi_u32 s0, s43, s48
	s_mul_hi_u32 s47, s43, s49
	s_add_co_u32 s22, s50, s37
	s_add_co_ci_u32 s22, s51, s0
	s_mul_i32 s48, s43, s49
	s_add_co_ci_u32 s49, s47, 0
	s_delay_alu instid0(SALU_CYCLE_1) | instskip(NEXT) | instid1(SALU_CYCLE_1)
	s_add_nc_u64 s[48:49], s[22:23], s[48:49]
	s_add_co_u32 s42, s42, s48
	s_cselect_b32 s0, -1, 0
	s_delay_alu instid0(SALU_CYCLE_1) | instskip(SKIP_1) | instid1(SALU_CYCLE_1)
	s_cmp_lg_u32 s0, 0
	s_add_co_ci_u32 s43, s43, s49
	s_mul_u64 s[44:45], s[44:45], s[42:43]
	s_delay_alu instid0(SALU_CYCLE_1)
	s_mul_hi_u32 s49, s42, s45
	s_mul_i32 s48, s42, s45
	s_mul_hi_u32 s22, s42, s44
	s_mul_i32 s37, s43, s44
	s_add_nc_u64 s[48:49], s[22:23], s[48:49]
	s_mul_hi_u32 s0, s43, s44
	s_mul_hi_u32 s47, s43, s45
	s_add_co_u32 s22, s48, s37
	s_add_co_ci_u32 s22, s49, s0
	s_mul_i32 s44, s43, s45
	s_add_co_ci_u32 s45, s47, 0
	s_delay_alu instid0(SALU_CYCLE_1) | instskip(NEXT) | instid1(SALU_CYCLE_1)
	s_add_nc_u64 s[44:45], s[22:23], s[44:45]
	s_add_co_u32 s0, s42, s44
	s_cselect_b32 s22, -1, 0
	v_mul_hi_u32 v24, v12, s0
	s_cmp_lg_u32 s22, 0
	s_add_co_ci_u32 s22, s43, s45
	s_and_b64 s[42:43], s[0:1], s[30:31]
	v_mul_u64_e32 v[18:19], s[22:23], v[12:13]
	v_mul_u64_e32 v[8:9], s[42:43], v[20:21]
	;; [unrolled: 1-line block ×3, first 2 shown]
	s_delay_alu instid0(VALU_DEP_3) | instskip(NEXT) | instid1(VALU_DEP_1)
	v_add_nc_u64_e32 v[18:19], v[24:25], v[18:19]
	v_add_co_u32 v5, vcc_lo, v18, v8
	s_delay_alu instid0(VALU_DEP_2) | instskip(NEXT) | instid1(VALU_DEP_4)
	v_add_co_ci_u32_e32 v24, vcc_lo, v19, v9, vcc_lo
	v_add_co_ci_u32_e32 v23, vcc_lo, 0, v23, vcc_lo
	s_delay_alu instid0(VALU_DEP_1) | instskip(NEXT) | instid1(VALU_DEP_1)
	v_add_nc_u64_e32 v[8:9], v[24:25], v[22:23]
	v_mul_u64_e32 v[18:19], s[38:39], v[8:9]
	s_delay_alu instid0(VALU_DEP_1) | instskip(NEXT) | instid1(VALU_DEP_2)
	v_sub_nc_u32_e32 v5, v20, v19
	v_sub_co_u32 v11, vcc_lo, v12, v18
	s_delay_alu instid0(VALU_DEP_1) | instskip(NEXT) | instid1(VALU_DEP_3)
	v_sub_co_ci_u32_e64 v17, null, v20, v19, vcc_lo
	v_subrev_co_ci_u32_e64 v5, null, s39, v5, vcc_lo
	s_delay_alu instid0(VALU_DEP_3) | instskip(SKIP_1) | instid1(VALU_DEP_3)
	v_sub_co_u32 v12, s0, v11, s38
	v_add_nc_u64_e32 v[18:19], 1, v[8:9]
	v_subrev_co_ci_u32_e64 v5, null, 0, v5, s0
	s_delay_alu instid0(VALU_DEP_3) | instskip(SKIP_1) | instid1(VALU_DEP_3)
	v_cmp_le_u32_e32 vcc_lo, s38, v12
	v_cndmask_b32_e64 v12, 0, -1, vcc_lo
	v_cmp_le_u32_e32 vcc_lo, s39, v5
	v_cndmask_b32_e64 v13, 0, -1, vcc_lo
	;; [unrolled: 2-line block ×4, first 2 shown]
	v_cmp_eq_u32_e32 vcc_lo, s39, v5
	v_cndmask_b32_e32 v5, v13, v12, vcc_lo
	v_cmp_eq_u32_e32 vcc_lo, s39, v17
	v_add_nc_u64_e32 v[12:13], 2, v[8:9]
	v_cndmask_b32_e32 v11, v20, v11, vcc_lo
	s_delay_alu instid0(VALU_DEP_4) | instskip(NEXT) | instid1(VALU_DEP_3)
	v_cmp_ne_u32_e32 vcc_lo, 0, v5
	v_cndmask_b32_e32 v5, v19, v13, vcc_lo
	s_delay_alu instid0(VALU_DEP_3) | instskip(SKIP_1) | instid1(VALU_DEP_1)
	v_cmp_ne_u32_e64 s0, 0, v11
	v_dual_cndmask_b32 v11, v18, v12, vcc_lo :: v_dual_bitop2_b32 v10, s36, v10 bitop3:0x14
	v_dual_cndmask_b32 v5, v9, v5, s0 :: v_dual_cndmask_b32 v8, v8, v11, s0
	s_delay_alu instid0(VALU_DEP_1) | instskip(NEXT) | instid1(VALU_DEP_2)
	v_dual_mov_b32 v11, v10 :: v_dual_bitop2_b32 v9, v5, v10 bitop3:0x14
	v_xor_b32_e32 v8, v8, v10
	s_delay_alu instid0(VALU_DEP_1)
	v_sub_nc_u64_e32 v[10:11], v[8:9], v[10:11]
                                        ; implicit-def: $vgpr8_vgpr9
.LBB16_20:                              ;   in Loop: Header=BB16_10 Depth=1
	s_and_not1_saveexec_b32 s0, s41
	s_cbranch_execz .LBB16_8
; %bb.21:                               ;   in Loop: Header=BB16_10 Depth=1
	v_cvt_f32_u32_e32 v5, s28
	s_sub_co_i32 s22, 0, s28
	s_delay_alu instid0(VALU_DEP_1) | instskip(SKIP_1) | instid1(TRANS32_DEP_1)
	v_rcp_iflag_f32_e32 v5, v5
	v_nop
	v_mul_f32_e32 v5, 0x4f7ffffe, v5
	s_delay_alu instid0(VALU_DEP_1) | instskip(NEXT) | instid1(VALU_DEP_1)
	v_cvt_u32_f32_e32 v5, v5
	v_mul_lo_u32 v9, s22, v5
	s_delay_alu instid0(VALU_DEP_1) | instskip(NEXT) | instid1(VALU_DEP_1)
	v_mul_hi_u32 v9, v5, v9
	v_add_nc_u32_e32 v5, v5, v9
	s_delay_alu instid0(VALU_DEP_1) | instskip(NEXT) | instid1(VALU_DEP_1)
	v_mul_hi_u32 v5, v8, v5
	v_mul_lo_u32 v9, v5, s28
	s_delay_alu instid0(VALU_DEP_1) | instskip(SKIP_1) | instid1(VALU_DEP_2)
	v_sub_nc_u32_e32 v8, v8, v9
	v_add_nc_u32_e32 v9, 1, v5
	v_subrev_nc_u32_e32 v10, s28, v8
	v_cmp_le_u32_e32 vcc_lo, s28, v8
	s_delay_alu instid0(VALU_DEP_2) | instskip(NEXT) | instid1(VALU_DEP_1)
	v_dual_cndmask_b32 v8, v8, v10 :: v_dual_cndmask_b32 v5, v5, v9
	v_cmp_le_u32_e32 vcc_lo, s28, v8
	s_delay_alu instid0(VALU_DEP_2) | instskip(NEXT) | instid1(VALU_DEP_1)
	v_add_nc_u32_e32 v9, 1, v5
	v_cndmask_b32_e32 v10, v5, v9, vcc_lo
	s_branch .LBB16_8
.LBB16_22:
	s_or_b32 exec_lo, exec_lo, s3
; %bb.23:
	s_wait_dscnt 0x0
	s_barrier_signal -1
	s_barrier_wait -1
	s_wait_xcnt 0x0
	s_and_saveexec_b32 s0, s2
	s_cbranch_execz .LBB16_26
; %bb.24:
	s_mov_b32 s0, 0
	v_and_b32_e32 v2, 0xffff, v16
	v_dual_mov_b32 v3, s0 :: v_dual_lshlrev_b32 v8, 3, v15
	s_wait_kmcnt 0x0
	v_mul_u64_e32 v[6:7], s[18:19], v[0:1]
	s_delay_alu instid0(VALU_DEP_2) | instskip(NEXT) | instid1(VALU_DEP_2)
	v_mul_u64_e32 v[4:5], s[18:19], v[2:3]
	v_lshl_add_u64 v[6:7], v[6:7], 3, s[12:13]
	s_delay_alu instid0(VALU_DEP_2)
	v_lshlrev_b64_e32 v[4:5], 3, v[4:5]
.LBB16_25:                              ; =>This Inner Loop Header: Depth=1
	ds_load_b64 v[10:11], v14
	v_add_nc_u64_e32 v[0:1], v[0:1], v[2:3]
	v_add_nc_u32_e32 v14, v14, v8
	s_delay_alu instid0(VALU_DEP_2)
	v_cmp_le_i64_e32 vcc_lo, s[14:15], v[0:1]
	s_or_b32 s0, vcc_lo, s0
	s_wait_dscnt 0x0
	global_atomic_add_u64 v[6:7], v[10:11], off scope:SCOPE_SYS
	s_wait_xcnt 0x0
	v_add_nc_u64_e32 v[6:7], v[6:7], v[4:5]
	s_and_not1_b32 exec_lo, exec_lo, s0
	s_cbranch_execnz .LBB16_25
.LBB16_26:
	s_endpgm
	.section	.rodata,"a",@progbits
	.p2align	6, 0x0
	.amdhsa_kernel _ZN2at4cuda17kernelHistogram1DIlalLi1ELi2ELin1ELNS0_23CUDAHistogramMemoryTypeE0EZNS0_21CUDA_tensor_histogramIlaLb0EEEbNS_6TensorES4_S4_lNS_14AccumulateTypeIT0_Lb1EE4typeES8_NS0_13TensorArgTypeES9_S9_EUllE_EEvNS0_6detail10TensorInfoIT_T1_EESF_NSC_IKS6_SE_EElS8_S8_SE_T6_
		.amdhsa_group_segment_fixed_size 0
		.amdhsa_private_segment_fixed_size 0
		.amdhsa_kernarg_size 1952
		.amdhsa_user_sgpr_count 2
		.amdhsa_user_sgpr_dispatch_ptr 0
		.amdhsa_user_sgpr_queue_ptr 0
		.amdhsa_user_sgpr_kernarg_segment_ptr 1
		.amdhsa_user_sgpr_dispatch_id 0
		.amdhsa_user_sgpr_kernarg_preload_length 0
		.amdhsa_user_sgpr_kernarg_preload_offset 0
		.amdhsa_user_sgpr_private_segment_size 0
		.amdhsa_wavefront_size32 1
		.amdhsa_uses_dynamic_stack 0
		.amdhsa_enable_private_segment 0
		.amdhsa_system_sgpr_workgroup_id_x 1
		.amdhsa_system_sgpr_workgroup_id_y 0
		.amdhsa_system_sgpr_workgroup_id_z 0
		.amdhsa_system_sgpr_workgroup_info 0
		.amdhsa_system_vgpr_workitem_id 0
		.amdhsa_next_free_vgpr 30
		.amdhsa_next_free_sgpr 57
		.amdhsa_named_barrier_count 0
		.amdhsa_reserve_vcc 1
		.amdhsa_float_round_mode_32 0
		.amdhsa_float_round_mode_16_64 0
		.amdhsa_float_denorm_mode_32 3
		.amdhsa_float_denorm_mode_16_64 3
		.amdhsa_fp16_overflow 0
		.amdhsa_memory_ordered 1
		.amdhsa_forward_progress 1
		.amdhsa_inst_pref_size 19
		.amdhsa_round_robin_scheduling 0
		.amdhsa_exception_fp_ieee_invalid_op 0
		.amdhsa_exception_fp_denorm_src 0
		.amdhsa_exception_fp_ieee_div_zero 0
		.amdhsa_exception_fp_ieee_overflow 0
		.amdhsa_exception_fp_ieee_underflow 0
		.amdhsa_exception_fp_ieee_inexact 0
		.amdhsa_exception_int_div_zero 0
	.end_amdhsa_kernel
	.section	.text._ZN2at4cuda17kernelHistogram1DIlalLi1ELi2ELin1ELNS0_23CUDAHistogramMemoryTypeE0EZNS0_21CUDA_tensor_histogramIlaLb0EEEbNS_6TensorES4_S4_lNS_14AccumulateTypeIT0_Lb1EE4typeES8_NS0_13TensorArgTypeES9_S9_EUllE_EEvNS0_6detail10TensorInfoIT_T1_EESF_NSC_IKS6_SE_EElS8_S8_SE_T6_,"axG",@progbits,_ZN2at4cuda17kernelHistogram1DIlalLi1ELi2ELin1ELNS0_23CUDAHistogramMemoryTypeE0EZNS0_21CUDA_tensor_histogramIlaLb0EEEbNS_6TensorES4_S4_lNS_14AccumulateTypeIT0_Lb1EE4typeES8_NS0_13TensorArgTypeES9_S9_EUllE_EEvNS0_6detail10TensorInfoIT_T1_EESF_NSC_IKS6_SE_EElS8_S8_SE_T6_,comdat
.Lfunc_end16:
	.size	_ZN2at4cuda17kernelHistogram1DIlalLi1ELi2ELin1ELNS0_23CUDAHistogramMemoryTypeE0EZNS0_21CUDA_tensor_histogramIlaLb0EEEbNS_6TensorES4_S4_lNS_14AccumulateTypeIT0_Lb1EE4typeES8_NS0_13TensorArgTypeES9_S9_EUllE_EEvNS0_6detail10TensorInfoIT_T1_EESF_NSC_IKS6_SE_EElS8_S8_SE_T6_, .Lfunc_end16-_ZN2at4cuda17kernelHistogram1DIlalLi1ELi2ELin1ELNS0_23CUDAHistogramMemoryTypeE0EZNS0_21CUDA_tensor_histogramIlaLb0EEEbNS_6TensorES4_S4_lNS_14AccumulateTypeIT0_Lb1EE4typeES8_NS0_13TensorArgTypeES9_S9_EUllE_EEvNS0_6detail10TensorInfoIT_T1_EESF_NSC_IKS6_SE_EElS8_S8_SE_T6_
                                        ; -- End function
	.set _ZN2at4cuda17kernelHistogram1DIlalLi1ELi2ELin1ELNS0_23CUDAHistogramMemoryTypeE0EZNS0_21CUDA_tensor_histogramIlaLb0EEEbNS_6TensorES4_S4_lNS_14AccumulateTypeIT0_Lb1EE4typeES8_NS0_13TensorArgTypeES9_S9_EUllE_EEvNS0_6detail10TensorInfoIT_T1_EESF_NSC_IKS6_SE_EElS8_S8_SE_T6_.num_vgpr, 30
	.set _ZN2at4cuda17kernelHistogram1DIlalLi1ELi2ELin1ELNS0_23CUDAHistogramMemoryTypeE0EZNS0_21CUDA_tensor_histogramIlaLb0EEEbNS_6TensorES4_S4_lNS_14AccumulateTypeIT0_Lb1EE4typeES8_NS0_13TensorArgTypeES9_S9_EUllE_EEvNS0_6detail10TensorInfoIT_T1_EESF_NSC_IKS6_SE_EElS8_S8_SE_T6_.num_agpr, 0
	.set _ZN2at4cuda17kernelHistogram1DIlalLi1ELi2ELin1ELNS0_23CUDAHistogramMemoryTypeE0EZNS0_21CUDA_tensor_histogramIlaLb0EEEbNS_6TensorES4_S4_lNS_14AccumulateTypeIT0_Lb1EE4typeES8_NS0_13TensorArgTypeES9_S9_EUllE_EEvNS0_6detail10TensorInfoIT_T1_EESF_NSC_IKS6_SE_EElS8_S8_SE_T6_.numbered_sgpr, 57
	.set _ZN2at4cuda17kernelHistogram1DIlalLi1ELi2ELin1ELNS0_23CUDAHistogramMemoryTypeE0EZNS0_21CUDA_tensor_histogramIlaLb0EEEbNS_6TensorES4_S4_lNS_14AccumulateTypeIT0_Lb1EE4typeES8_NS0_13TensorArgTypeES9_S9_EUllE_EEvNS0_6detail10TensorInfoIT_T1_EESF_NSC_IKS6_SE_EElS8_S8_SE_T6_.num_named_barrier, 0
	.set _ZN2at4cuda17kernelHistogram1DIlalLi1ELi2ELin1ELNS0_23CUDAHistogramMemoryTypeE0EZNS0_21CUDA_tensor_histogramIlaLb0EEEbNS_6TensorES4_S4_lNS_14AccumulateTypeIT0_Lb1EE4typeES8_NS0_13TensorArgTypeES9_S9_EUllE_EEvNS0_6detail10TensorInfoIT_T1_EESF_NSC_IKS6_SE_EElS8_S8_SE_T6_.private_seg_size, 0
	.set _ZN2at4cuda17kernelHistogram1DIlalLi1ELi2ELin1ELNS0_23CUDAHistogramMemoryTypeE0EZNS0_21CUDA_tensor_histogramIlaLb0EEEbNS_6TensorES4_S4_lNS_14AccumulateTypeIT0_Lb1EE4typeES8_NS0_13TensorArgTypeES9_S9_EUllE_EEvNS0_6detail10TensorInfoIT_T1_EESF_NSC_IKS6_SE_EElS8_S8_SE_T6_.uses_vcc, 1
	.set _ZN2at4cuda17kernelHistogram1DIlalLi1ELi2ELin1ELNS0_23CUDAHistogramMemoryTypeE0EZNS0_21CUDA_tensor_histogramIlaLb0EEEbNS_6TensorES4_S4_lNS_14AccumulateTypeIT0_Lb1EE4typeES8_NS0_13TensorArgTypeES9_S9_EUllE_EEvNS0_6detail10TensorInfoIT_T1_EESF_NSC_IKS6_SE_EElS8_S8_SE_T6_.uses_flat_scratch, 0
	.set _ZN2at4cuda17kernelHistogram1DIlalLi1ELi2ELin1ELNS0_23CUDAHistogramMemoryTypeE0EZNS0_21CUDA_tensor_histogramIlaLb0EEEbNS_6TensorES4_S4_lNS_14AccumulateTypeIT0_Lb1EE4typeES8_NS0_13TensorArgTypeES9_S9_EUllE_EEvNS0_6detail10TensorInfoIT_T1_EESF_NSC_IKS6_SE_EElS8_S8_SE_T6_.has_dyn_sized_stack, 0
	.set _ZN2at4cuda17kernelHistogram1DIlalLi1ELi2ELin1ELNS0_23CUDAHistogramMemoryTypeE0EZNS0_21CUDA_tensor_histogramIlaLb0EEEbNS_6TensorES4_S4_lNS_14AccumulateTypeIT0_Lb1EE4typeES8_NS0_13TensorArgTypeES9_S9_EUllE_EEvNS0_6detail10TensorInfoIT_T1_EESF_NSC_IKS6_SE_EElS8_S8_SE_T6_.has_recursion, 0
	.set _ZN2at4cuda17kernelHistogram1DIlalLi1ELi2ELin1ELNS0_23CUDAHistogramMemoryTypeE0EZNS0_21CUDA_tensor_histogramIlaLb0EEEbNS_6TensorES4_S4_lNS_14AccumulateTypeIT0_Lb1EE4typeES8_NS0_13TensorArgTypeES9_S9_EUllE_EEvNS0_6detail10TensorInfoIT_T1_EESF_NSC_IKS6_SE_EElS8_S8_SE_T6_.has_indirect_call, 0
	.section	.AMDGPU.csdata,"",@progbits
; Kernel info:
; codeLenInByte = 2404
; TotalNumSgprs: 59
; NumVgprs: 30
; ScratchSize: 0
; MemoryBound: 0
; FloatMode: 240
; IeeeMode: 1
; LDSByteSize: 0 bytes/workgroup (compile time only)
; SGPRBlocks: 0
; VGPRBlocks: 1
; NumSGPRsForWavesPerEU: 59
; NumVGPRsForWavesPerEU: 30
; NamedBarCnt: 0
; Occupancy: 16
; WaveLimiterHint : 1
; COMPUTE_PGM_RSRC2:SCRATCH_EN: 0
; COMPUTE_PGM_RSRC2:USER_SGPR: 2
; COMPUTE_PGM_RSRC2:TRAP_HANDLER: 0
; COMPUTE_PGM_RSRC2:TGID_X_EN: 1
; COMPUTE_PGM_RSRC2:TGID_Y_EN: 0
; COMPUTE_PGM_RSRC2:TGID_Z_EN: 0
; COMPUTE_PGM_RSRC2:TIDIG_COMP_CNT: 0
	.section	.text._ZN2at4cuda17kernelHistogram1DIlalLi1ELi2ELin1ELNS0_23CUDAHistogramMemoryTypeE1EZNS0_21CUDA_tensor_histogramIlaLb0EEEbNS_6TensorES4_S4_lNS_14AccumulateTypeIT0_Lb1EE4typeES8_NS0_13TensorArgTypeES9_S9_EUllE_EEvNS0_6detail10TensorInfoIT_T1_EESF_NSC_IKS6_SE_EElS8_S8_SE_T6_,"axG",@progbits,_ZN2at4cuda17kernelHistogram1DIlalLi1ELi2ELin1ELNS0_23CUDAHistogramMemoryTypeE1EZNS0_21CUDA_tensor_histogramIlaLb0EEEbNS_6TensorES4_S4_lNS_14AccumulateTypeIT0_Lb1EE4typeES8_NS0_13TensorArgTypeES9_S9_EUllE_EEvNS0_6detail10TensorInfoIT_T1_EESF_NSC_IKS6_SE_EElS8_S8_SE_T6_,comdat
	.protected	_ZN2at4cuda17kernelHistogram1DIlalLi1ELi2ELin1ELNS0_23CUDAHistogramMemoryTypeE1EZNS0_21CUDA_tensor_histogramIlaLb0EEEbNS_6TensorES4_S4_lNS_14AccumulateTypeIT0_Lb1EE4typeES8_NS0_13TensorArgTypeES9_S9_EUllE_EEvNS0_6detail10TensorInfoIT_T1_EESF_NSC_IKS6_SE_EElS8_S8_SE_T6_ ; -- Begin function _ZN2at4cuda17kernelHistogram1DIlalLi1ELi2ELin1ELNS0_23CUDAHistogramMemoryTypeE1EZNS0_21CUDA_tensor_histogramIlaLb0EEEbNS_6TensorES4_S4_lNS_14AccumulateTypeIT0_Lb1EE4typeES8_NS0_13TensorArgTypeES9_S9_EUllE_EEvNS0_6detail10TensorInfoIT_T1_EESF_NSC_IKS6_SE_EElS8_S8_SE_T6_
	.globl	_ZN2at4cuda17kernelHistogram1DIlalLi1ELi2ELin1ELNS0_23CUDAHistogramMemoryTypeE1EZNS0_21CUDA_tensor_histogramIlaLb0EEEbNS_6TensorES4_S4_lNS_14AccumulateTypeIT0_Lb1EE4typeES8_NS0_13TensorArgTypeES9_S9_EUllE_EEvNS0_6detail10TensorInfoIT_T1_EESF_NSC_IKS6_SE_EElS8_S8_SE_T6_
	.p2align	8
	.type	_ZN2at4cuda17kernelHistogram1DIlalLi1ELi2ELin1ELNS0_23CUDAHistogramMemoryTypeE1EZNS0_21CUDA_tensor_histogramIlaLb0EEEbNS_6TensorES4_S4_lNS_14AccumulateTypeIT0_Lb1EE4typeES8_NS0_13TensorArgTypeES9_S9_EUllE_EEvNS0_6detail10TensorInfoIT_T1_EESF_NSC_IKS6_SE_EElS8_S8_SE_T6_,@function
_ZN2at4cuda17kernelHistogram1DIlalLi1ELi2ELin1ELNS0_23CUDAHistogramMemoryTypeE1EZNS0_21CUDA_tensor_histogramIlaLb0EEEbNS_6TensorES4_S4_lNS_14AccumulateTypeIT0_Lb1EE4typeES8_NS0_13TensorArgTypeES9_S9_EUllE_EEvNS0_6detail10TensorInfoIT_T1_EESF_NSC_IKS6_SE_EElS8_S8_SE_T6_: ; @_ZN2at4cuda17kernelHistogram1DIlalLi1ELi2ELin1ELNS0_23CUDAHistogramMemoryTypeE1EZNS0_21CUDA_tensor_histogramIlaLb0EEEbNS_6TensorES4_S4_lNS_14AccumulateTypeIT0_Lb1EE4typeES8_NS0_13TensorArgTypeES9_S9_EUllE_EEvNS0_6detail10TensorInfoIT_T1_EESF_NSC_IKS6_SE_EElS8_S8_SE_T6_
; %bb.0:
	s_load_b32 s2, s[0:1], 0x6ac
	s_bfe_u32 s12, ttmp6, 0x4000c
	s_load_b256 s[4:11], s[0:1], 0x4e0
	s_add_co_i32 s12, s12, 1
	s_and_b32 s3, ttmp6, 15
	s_mul_i32 s12, ttmp9, s12
	s_getreg_b32 s13, hwreg(HW_REG_IB_STS2, 6, 4)
	s_add_co_i32 s3, s3, s12
	v_mov_b32_e32 v2, 0
	s_mov_b32 s12, exec_lo
	s_delay_alu instid0(VALU_DEP_1) | instskip(SKIP_4) | instid1(SALU_CYCLE_1)
	v_mov_b32_e32 v1, v2
	s_wait_kmcnt 0x0
	s_and_b32 s2, s2, 0xffff
	s_cmp_eq_u32 s13, 0
	s_cselect_b32 s3, ttmp9, s3
	v_mad_u32 v0, s3, s2, v0
	s_mov_b32 s3, 0
	s_delay_alu instid0(VALU_DEP_1)
	v_cmpx_gt_i64_e64 s[10:11], v[0:1]
	s_cbranch_execz .LBB17_16
; %bb.1:
	s_clause 0x1
	s_load_b64 s[12:13], s[0:1], 0x5d0
	s_load_b32 s33, s[0:1], 0x4d8
	s_add_nc_u64 s[24:25], s[0:1], 0x6a0
	s_load_b32 s26, s[24:25], 0x0
	s_clause 0x4
	s_load_b64 s[14:15], s[0:1], 0x500
	s_load_b64 s[16:17], s[0:1], 0x0
	;; [unrolled: 1-line block ×5, first 2 shown]
	s_add_nc_u64 s[30:31], s[0:1], 0x340
	s_wait_xcnt 0x0
	s_sub_nc_u64 s[24:25], s[8:9], s[6:7]
	s_mov_b32 s27, s3
	s_mov_b64 s[28:29], 0xffffffff
	s_mov_b32 s44, 0
	s_wait_kmcnt 0x0
	s_mul_i32 s26, s26, s2
	s_cmp_gt_i32 s33, 1
	s_cselect_b32 s1, -1, 0
	s_add_co_i32 s2, s33, -1
	s_add_co_i32 s33, s33, 1
	s_lshl_b64 s[34:35], s[2:3], 3
	s_delay_alu instid0(SALU_CYCLE_1)
	s_add_nc_u64 s[34:35], s[30:31], s[34:35]
	s_ashr_i32 s30, s25, 31
	s_add_nc_u64 s[34:35], s[34:35], 8
	s_branch .LBB17_4
.LBB17_2:                               ;   in Loop: Header=BB17_4 Depth=1
	s_or_b32 exec_lo, exec_lo, s0
	v_mul_u64_e32 v[4:5], s[12:13], v[0:1]
	s_delay_alu instid0(VALU_DEP_2) | instskip(NEXT) | instid1(VALU_DEP_1)
	v_dual_ashrrev_i32 v7, 31, v6 :: v_dual_mov_b32 v9, s3
	v_cmp_eq_u64_e32 vcc_lo, s[4:5], v[6:7]
	v_cndmask_b32_e64 v8, 0, 1, vcc_lo
	s_delay_alu instid0(VALU_DEP_1) | instskip(NEXT) | instid1(VALU_DEP_1)
	v_sub_nc_u64_e32 v[6:7], v[6:7], v[8:9]
	v_mul_u64_e32 v[6:7], s[18:19], v[6:7]
	v_lshl_add_u64 v[4:5], v[4:5], 3, s[14:15]
	global_load_b64 v[4:5], v[4:5], off
	v_lshl_add_u64 v[6:7], v[6:7], 3, s[16:17]
	s_wait_xcnt 0x0
	s_wait_loadcnt 0x0
	global_atomic_add_u64 v[6:7], v[4:5], off scope:SCOPE_SYS
.LBB17_3:                               ;   in Loop: Header=BB17_4 Depth=1
	s_wait_xcnt 0x0
	s_or_b32 exec_lo, exec_lo, s38
	v_add_nc_u64_e32 v[0:1], s[26:27], v[0:1]
	s_delay_alu instid0(VALU_DEP_1) | instskip(SKIP_1) | instid1(SALU_CYCLE_1)
	v_cmp_le_i64_e32 vcc_lo, s[10:11], v[0:1]
	s_or_b32 s44, vcc_lo, s44
	s_and_not1_b32 exec_lo, exec_lo, s44
	s_cbranch_execz .LBB17_16
.LBB17_4:                               ; =>This Loop Header: Depth=1
                                        ;     Child Loop BB17_5 Depth 2
	v_mov_b64_e32 v[4:5], 0
	v_mov_b64_e32 v[6:7], v[0:1]
	;; [unrolled: 1-line block ×3, first 2 shown]
	s_and_not1_b32 vcc_lo, exec_lo, s1
	s_mov_b64 s[36:37], s[34:35]
	s_mov_b32 s31, s33
	s_cbranch_vccnz .LBB17_11
.LBB17_5:                               ;   Parent Loop BB17_4 Depth=1
                                        ; =>  This Inner Loop Header: Depth=2
	s_load_b64 s[38:39], s[36:37], 0x0
                                        ; implicit-def: $vgpr8_vgpr9
	s_mov_b32 s0, exec_lo
	s_wait_kmcnt 0x0
	s_delay_alu instid0(VALU_DEP_1) | instskip(NEXT) | instid1(VALU_DEP_1)
	v_or_b32_e32 v3, s39, v7
	v_cmpx_ne_u64_e32 0, v[2:3]
	s_xor_b32 s45, exec_lo, s0
	s_cbranch_execz .LBB17_7
; %bb.6:                                ;   in Loop: Header=BB17_5 Depth=2
	s_ashr_i32 s40, s39, 31
	v_dual_mov_b32 v13, v2 :: v_dual_ashrrev_i32 v8, 31, v7
	s_mov_b32 s41, s40
	s_delay_alu instid0(SALU_CYCLE_1) | instskip(NEXT) | instid1(VALU_DEP_1)
	s_add_nc_u64 s[42:43], s[38:39], s[40:41]
	v_mov_b32_e32 v9, v8
	s_xor_b64 s[42:43], s[42:43], s[40:41]
	s_delay_alu instid0(SALU_CYCLE_1)
	s_cvt_f32_u32 s0, s42
	s_cvt_f32_u32 s2, s43
	s_sub_nc_u64 s[48:49], 0, s[42:43]
	v_add_nc_u64_e32 v[10:11], v[6:7], v[8:9]
	v_mov_b32_e32 v17, v2
	s_fmamk_f32 s0, s2, 0x4f800000, s0
	s_delay_alu instid0(SALU_CYCLE_3) | instskip(NEXT) | instid1(VALU_DEP_2)
	v_s_rcp_f32 s0, s0
	v_xor_b32_e32 v12, v10, v8
	s_delay_alu instid0(VALU_DEP_3) | instskip(SKIP_1) | instid1(TRANS32_DEP_1)
	v_dual_mov_b32 v21, v2 :: v_dual_bitop2_b32 v16, v11, v8 bitop3:0x14
	v_xor_b32_e32 v8, s40, v8
	s_mul_f32 s0, s0, 0x5f7ffffc
	s_delay_alu instid0(SALU_CYCLE_3) | instskip(NEXT) | instid1(SALU_CYCLE_3)
	s_mul_f32 s2, s0, 0x2f800000
	s_trunc_f32 s2, s2
	s_delay_alu instid0(SALU_CYCLE_3) | instskip(SKIP_1) | instid1(SALU_CYCLE_2)
	s_fmamk_f32 s0, s2, 0xcf800000, s0
	s_cvt_u32_f32 s47, s2
	s_cvt_u32_f32 s46, s0
	s_delay_alu instid0(SALU_CYCLE_3) | instskip(NEXT) | instid1(SALU_CYCLE_1)
	s_mul_u64 s[50:51], s[48:49], s[46:47]
	s_mul_hi_u32 s53, s46, s51
	s_mul_i32 s52, s46, s51
	s_mul_hi_u32 s2, s46, s50
	s_mul_i32 s41, s47, s50
	s_add_nc_u64 s[52:53], s[2:3], s[52:53]
	s_mul_hi_u32 s0, s47, s50
	s_mul_hi_u32 s54, s47, s51
	s_add_co_u32 s2, s52, s41
	s_add_co_ci_u32 s2, s53, s0
	s_mul_i32 s50, s47, s51
	s_add_co_ci_u32 s51, s54, 0
	s_delay_alu instid0(SALU_CYCLE_1) | instskip(NEXT) | instid1(SALU_CYCLE_1)
	s_add_nc_u64 s[50:51], s[2:3], s[50:51]
	s_add_co_u32 s46, s46, s50
	s_cselect_b32 s0, -1, 0
	s_delay_alu instid0(SALU_CYCLE_1) | instskip(SKIP_1) | instid1(SALU_CYCLE_1)
	s_cmp_lg_u32 s0, 0
	s_add_co_ci_u32 s47, s47, s51
	s_mul_u64 s[48:49], s[48:49], s[46:47]
	s_delay_alu instid0(SALU_CYCLE_1)
	s_mul_hi_u32 s51, s46, s49
	s_mul_i32 s50, s46, s49
	s_mul_hi_u32 s2, s46, s48
	s_mul_i32 s41, s47, s48
	s_add_nc_u64 s[50:51], s[2:3], s[50:51]
	s_mul_hi_u32 s0, s47, s48
	s_mul_hi_u32 s52, s47, s49
	s_add_co_u32 s2, s50, s41
	s_add_co_ci_u32 s2, s51, s0
	s_mul_i32 s48, s47, s49
	s_add_co_ci_u32 s49, s52, 0
	s_delay_alu instid0(SALU_CYCLE_1) | instskip(NEXT) | instid1(SALU_CYCLE_1)
	s_add_nc_u64 s[48:49], s[2:3], s[48:49]
	s_add_co_u32 s0, s46, s48
	s_cselect_b32 s2, -1, 0
	v_mul_hi_u32 v20, v12, s0
	s_cmp_lg_u32 s2, 0
	s_add_co_ci_u32 s2, s47, s49
	s_and_b64 s[46:47], s[0:1], s[28:29]
	v_mul_u64_e32 v[14:15], s[2:3], v[12:13]
	v_mul_u64_e32 v[10:11], s[46:47], v[16:17]
	;; [unrolled: 1-line block ×3, first 2 shown]
	s_delay_alu instid0(VALU_DEP_3) | instskip(NEXT) | instid1(VALU_DEP_1)
	v_add_nc_u64_e32 v[14:15], v[20:21], v[14:15]
	v_add_co_u32 v3, vcc_lo, v14, v10
	s_delay_alu instid0(VALU_DEP_2) | instskip(NEXT) | instid1(VALU_DEP_4)
	v_add_co_ci_u32_e32 v20, vcc_lo, v15, v11, vcc_lo
	v_add_co_ci_u32_e32 v19, vcc_lo, 0, v19, vcc_lo
	s_delay_alu instid0(VALU_DEP_1) | instskip(NEXT) | instid1(VALU_DEP_1)
	v_add_nc_u64_e32 v[10:11], v[20:21], v[18:19]
	v_mul_u64_e32 v[14:15], s[42:43], v[10:11]
	s_delay_alu instid0(VALU_DEP_1) | instskip(NEXT) | instid1(VALU_DEP_2)
	v_sub_nc_u32_e32 v3, v16, v15
	v_sub_co_u32 v9, vcc_lo, v12, v14
	s_delay_alu instid0(VALU_DEP_1) | instskip(NEXT) | instid1(VALU_DEP_3)
	v_sub_co_ci_u32_e64 v16, null, v16, v15, vcc_lo
	v_subrev_co_ci_u32_e64 v3, null, s43, v3, vcc_lo
	s_delay_alu instid0(VALU_DEP_3) | instskip(SKIP_1) | instid1(VALU_DEP_3)
	v_sub_co_u32 v12, s0, v9, s42
	v_add_nc_u64_e32 v[14:15], 1, v[10:11]
	v_subrev_co_ci_u32_e64 v3, null, 0, v3, s0
	s_delay_alu instid0(VALU_DEP_3) | instskip(SKIP_1) | instid1(VALU_DEP_3)
	v_cmp_le_u32_e32 vcc_lo, s42, v12
	v_cndmask_b32_e64 v12, 0, -1, vcc_lo
	v_cmp_le_u32_e32 vcc_lo, s43, v3
	v_cndmask_b32_e64 v13, 0, -1, vcc_lo
	;; [unrolled: 2-line block ×4, first 2 shown]
	v_cmp_eq_u32_e32 vcc_lo, s43, v3
	v_cndmask_b32_e32 v3, v13, v12, vcc_lo
	v_cmp_eq_u32_e32 vcc_lo, s43, v16
	v_add_nc_u64_e32 v[12:13], 2, v[10:11]
	v_cndmask_b32_e32 v9, v17, v9, vcc_lo
	s_delay_alu instid0(VALU_DEP_4) | instskip(NEXT) | instid1(VALU_DEP_2)
	v_cmp_ne_u32_e32 vcc_lo, 0, v3
	v_cmp_ne_u32_e64 s0, 0, v9
	s_delay_alu instid0(VALU_DEP_4) | instskip(NEXT) | instid1(VALU_DEP_1)
	v_dual_cndmask_b32 v3, v15, v13, vcc_lo :: v_dual_cndmask_b32 v9, v14, v12, vcc_lo
	v_dual_cndmask_b32 v10, v10, v9, s0 :: v_dual_mov_b32 v9, v8
	s_delay_alu instid0(VALU_DEP_1) | instskip(NEXT) | instid1(VALU_DEP_1)
	v_dual_cndmask_b32 v3, v11, v3, s0 :: v_dual_bitop2_b32 v10, v10, v8 bitop3:0x14
	v_xor_b32_e32 v11, v3, v8
	s_delay_alu instid0(VALU_DEP_1)
	v_sub_nc_u64_e32 v[8:9], v[10:11], v[8:9]
.LBB17_7:                               ;   in Loop: Header=BB17_5 Depth=2
	s_and_not1_saveexec_b32 s0, s45
	s_cbranch_execz .LBB17_9
; %bb.8:                                ;   in Loop: Header=BB17_5 Depth=2
	v_cvt_f32_u32_e32 v3, s38
	s_sub_co_i32 s2, 0, s38
	s_delay_alu instid0(VALU_DEP_1) | instskip(SKIP_1) | instid1(TRANS32_DEP_1)
	v_rcp_iflag_f32_e32 v3, v3
	v_nop
	v_mul_f32_e32 v3, 0x4f7ffffe, v3
	s_delay_alu instid0(VALU_DEP_1) | instskip(NEXT) | instid1(VALU_DEP_1)
	v_cvt_u32_f32_e32 v3, v3
	v_mul_lo_u32 v8, s2, v3
	s_delay_alu instid0(VALU_DEP_1) | instskip(NEXT) | instid1(VALU_DEP_1)
	v_mul_hi_u32 v8, v3, v8
	v_add_nc_u32_e32 v3, v3, v8
	s_delay_alu instid0(VALU_DEP_1) | instskip(NEXT) | instid1(VALU_DEP_1)
	v_mul_hi_u32 v3, v6, v3
	v_mul_lo_u32 v8, v3, s38
	s_delay_alu instid0(VALU_DEP_1) | instskip(NEXT) | instid1(VALU_DEP_1)
	v_dual_add_nc_u32 v9, 1, v3 :: v_dual_sub_nc_u32 v8, v6, v8
	v_subrev_nc_u32_e32 v10, s38, v8
	v_cmp_le_u32_e32 vcc_lo, s38, v8
	s_delay_alu instid0(VALU_DEP_2) | instskip(NEXT) | instid1(VALU_DEP_1)
	v_dual_cndmask_b32 v8, v8, v10 :: v_dual_cndmask_b32 v3, v3, v9
	v_cmp_le_u32_e32 vcc_lo, s38, v8
	s_delay_alu instid0(VALU_DEP_2) | instskip(NEXT) | instid1(VALU_DEP_1)
	v_add_nc_u32_e32 v9, 1, v3
	v_dual_cndmask_b32 v8, v3, v9 :: v_dual_mov_b32 v9, v2
.LBB17_9:                               ;   in Loop: Header=BB17_5 Depth=2
	s_or_b32 exec_lo, exec_lo, s0
	s_delay_alu instid0(VALU_DEP_1)
	v_mul_u64_e32 v[10:11], s[38:39], v[8:9]
	s_load_b64 s[38:39], s[36:37], 0xc8
	s_add_co_i32 s31, s31, -1
	s_wait_xcnt 0x0
	s_add_nc_u64 s[36:37], s[36:37], -8
	s_cmp_gt_u32 s31, 2
	s_delay_alu instid0(VALU_DEP_1) | instskip(SKIP_1) | instid1(VALU_DEP_1)
	v_sub_nc_u64_e32 v[6:7], v[6:7], v[10:11]
	s_wait_kmcnt 0x0
	v_mad_nc_u64_u32 v[4:5], s38, v6, v[4:5]
	s_delay_alu instid0(VALU_DEP_1) | instskip(NEXT) | instid1(VALU_DEP_1)
	v_mad_u32 v3, s39, v6, v5
	v_mad_u32 v5, s38, v7, v3
	s_cbranch_scc0 .LBB17_11
; %bb.10:                               ;   in Loop: Header=BB17_5 Depth=2
	v_mov_b64_e32 v[6:7], v[8:9]
	s_branch .LBB17_5
.LBB17_11:                              ;   in Loop: Header=BB17_4 Depth=1
	s_delay_alu instid0(VALU_DEP_1) | instskip(NEXT) | instid1(VALU_DEP_1)
	v_mad_nc_u64_u32 v[6:7], s20, v8, s[22:23]
	v_mad_u32 v3, s21, v8, v7
	s_delay_alu instid0(VALU_DEP_1) | instskip(NEXT) | instid1(VALU_DEP_1)
	v_mad_u32 v7, s20, v9, v3
	v_add_nc_u64_e32 v[4:5], v[6:7], v[4:5]
	global_load_i8 v3, v[4:5], off
	s_wait_loadcnt 0x0
	s_wait_xcnt 0x0
	v_bfe_i32 v4, v3, 0, 16
	s_delay_alu instid0(VALU_DEP_1) | instskip(NEXT) | instid1(VALU_DEP_1)
	v_ashrrev_i32_e32 v5, 31, v4
	v_cmp_le_i64_e32 vcc_lo, s[6:7], v[4:5]
	v_cmp_ge_i64_e64 s0, s[8:9], v[4:5]
	s_and_b32 s0, vcc_lo, s0
	s_delay_alu instid0(SALU_CYCLE_1)
	s_and_saveexec_b32 s38, s0
	s_cbranch_execz .LBB17_3
; %bb.12:                               ;   in Loop: Header=BB17_4 Depth=1
	v_sub_nc_u64_e64 v[4:5], v[4:5], s[6:7]
                                        ; implicit-def: $vgpr6_vgpr7
	s_mov_b32 s0, exec_lo
	s_delay_alu instid0(VALU_DEP_1) | instskip(NEXT) | instid1(VALU_DEP_1)
	v_mul_u64_e32 v[4:5], s[4:5], v[4:5]
	v_or_b32_e32 v3, s25, v5
	s_delay_alu instid0(VALU_DEP_1)
	v_cmpx_ne_u64_e32 0, v[2:3]
	s_xor_b32 s39, exec_lo, s0
	s_cbranch_execz .LBB17_14
; %bb.13:                               ;   in Loop: Header=BB17_4 Depth=1
	s_mov_b32 s31, s30
	v_dual_mov_b32 v9, v2 :: v_dual_ashrrev_i32 v6, 31, v5
	s_add_nc_u64 s[36:37], s[24:25], s[30:31]
	s_delay_alu instid0(SALU_CYCLE_1) | instskip(NEXT) | instid1(VALU_DEP_1)
	s_xor_b64 s[36:37], s[36:37], s[30:31]
	v_mov_b32_e32 v7, v6
	s_cvt_f32_u32 s0, s36
	s_cvt_f32_u32 s2, s37
	s_sub_nc_u64 s[42:43], 0, s[36:37]
	s_delay_alu instid0(VALU_DEP_1) | instskip(NEXT) | instid1(SALU_CYCLE_1)
	v_add_nc_u64_e32 v[4:5], v[4:5], v[6:7]
	s_fmamk_f32 s0, s2, 0x4f800000, s0
	v_mov_b32_e32 v13, v2
	s_delay_alu instid0(SALU_CYCLE_2) | instskip(NEXT) | instid1(VALU_DEP_2)
	v_s_rcp_f32 s0, s0
	v_xor_b32_e32 v8, v4, v6
	s_delay_alu instid0(VALU_DEP_3) | instskip(NEXT) | instid1(TRANS32_DEP_1)
	v_dual_mov_b32 v17, v2 :: v_dual_bitop2_b32 v12, v5, v6 bitop3:0x14
	s_mul_f32 s0, s0, 0x5f7ffffc
	s_delay_alu instid0(SALU_CYCLE_3) | instskip(NEXT) | instid1(SALU_CYCLE_3)
	s_mul_f32 s2, s0, 0x2f800000
	s_trunc_f32 s2, s2
	s_delay_alu instid0(SALU_CYCLE_3) | instskip(SKIP_1) | instid1(SALU_CYCLE_2)
	s_fmamk_f32 s0, s2, 0xcf800000, s0
	s_cvt_u32_f32 s41, s2
	s_cvt_u32_f32 s40, s0
	s_delay_alu instid0(SALU_CYCLE_3) | instskip(NEXT) | instid1(SALU_CYCLE_1)
	s_mul_u64 s[46:47], s[42:43], s[40:41]
	s_mul_hi_u32 s49, s40, s47
	s_mul_i32 s48, s40, s47
	s_mul_hi_u32 s2, s40, s46
	s_mul_i32 s31, s41, s46
	s_add_nc_u64 s[48:49], s[2:3], s[48:49]
	s_mul_hi_u32 s0, s41, s46
	s_mul_hi_u32 s45, s41, s47
	s_add_co_u32 s2, s48, s31
	s_add_co_ci_u32 s2, s49, s0
	s_mul_i32 s46, s41, s47
	s_add_co_ci_u32 s47, s45, 0
	s_delay_alu instid0(SALU_CYCLE_1) | instskip(NEXT) | instid1(SALU_CYCLE_1)
	s_add_nc_u64 s[46:47], s[2:3], s[46:47]
	s_add_co_u32 s40, s40, s46
	s_cselect_b32 s0, -1, 0
	s_delay_alu instid0(SALU_CYCLE_1) | instskip(SKIP_1) | instid1(SALU_CYCLE_1)
	s_cmp_lg_u32 s0, 0
	s_add_co_ci_u32 s41, s41, s47
	s_mul_u64 s[42:43], s[42:43], s[40:41]
	s_delay_alu instid0(SALU_CYCLE_1)
	s_mul_hi_u32 s47, s40, s43
	s_mul_i32 s46, s40, s43
	s_mul_hi_u32 s2, s40, s42
	s_mul_i32 s31, s41, s42
	s_add_nc_u64 s[46:47], s[2:3], s[46:47]
	s_mul_hi_u32 s0, s41, s42
	s_mul_hi_u32 s45, s41, s43
	s_add_co_u32 s2, s46, s31
	s_add_co_ci_u32 s2, s47, s0
	s_mul_i32 s42, s41, s43
	s_add_co_ci_u32 s43, s45, 0
	s_delay_alu instid0(SALU_CYCLE_1) | instskip(NEXT) | instid1(SALU_CYCLE_1)
	s_add_nc_u64 s[42:43], s[2:3], s[42:43]
	s_add_co_u32 s0, s40, s42
	s_cselect_b32 s2, -1, 0
	v_mul_hi_u32 v16, v8, s0
	s_cmp_lg_u32 s2, 0
	s_add_co_ci_u32 s2, s41, s43
	s_and_b64 s[40:41], s[0:1], s[28:29]
	v_mul_u64_e32 v[10:11], s[2:3], v[8:9]
	v_mul_u64_e32 v[4:5], s[40:41], v[12:13]
	;; [unrolled: 1-line block ×3, first 2 shown]
	s_delay_alu instid0(VALU_DEP_3) | instskip(NEXT) | instid1(VALU_DEP_1)
	v_add_nc_u64_e32 v[10:11], v[16:17], v[10:11]
	v_add_co_u32 v3, vcc_lo, v10, v4
	s_delay_alu instid0(VALU_DEP_2) | instskip(NEXT) | instid1(VALU_DEP_4)
	v_add_co_ci_u32_e32 v16, vcc_lo, v11, v5, vcc_lo
	v_add_co_ci_u32_e32 v15, vcc_lo, 0, v15, vcc_lo
	s_delay_alu instid0(VALU_DEP_1) | instskip(NEXT) | instid1(VALU_DEP_1)
	v_add_nc_u64_e32 v[4:5], v[16:17], v[14:15]
	v_mul_u64_e32 v[10:11], s[36:37], v[4:5]
	s_delay_alu instid0(VALU_DEP_1) | instskip(NEXT) | instid1(VALU_DEP_2)
	v_sub_nc_u32_e32 v3, v12, v11
	v_sub_co_u32 v7, vcc_lo, v8, v10
	s_delay_alu instid0(VALU_DEP_1) | instskip(NEXT) | instid1(VALU_DEP_3)
	v_sub_co_ci_u32_e64 v12, null, v12, v11, vcc_lo
	v_subrev_co_ci_u32_e64 v3, null, s37, v3, vcc_lo
	s_delay_alu instid0(VALU_DEP_3) | instskip(SKIP_1) | instid1(VALU_DEP_3)
	v_sub_co_u32 v8, s0, v7, s36
	v_add_nc_u64_e32 v[10:11], 1, v[4:5]
	v_subrev_co_ci_u32_e64 v3, null, 0, v3, s0
	s_delay_alu instid0(VALU_DEP_3) | instskip(SKIP_1) | instid1(VALU_DEP_3)
	v_cmp_le_u32_e32 vcc_lo, s36, v8
	v_cndmask_b32_e64 v8, 0, -1, vcc_lo
	v_cmp_le_u32_e32 vcc_lo, s37, v3
	v_cndmask_b32_e64 v9, 0, -1, vcc_lo
	;; [unrolled: 2-line block ×4, first 2 shown]
	v_cmp_eq_u32_e32 vcc_lo, s37, v3
	v_cndmask_b32_e32 v3, v9, v8, vcc_lo
	v_cmp_eq_u32_e32 vcc_lo, s37, v12
	v_add_nc_u64_e32 v[8:9], 2, v[4:5]
	v_cndmask_b32_e32 v7, v13, v7, vcc_lo
	s_delay_alu instid0(VALU_DEP_4) | instskip(NEXT) | instid1(VALU_DEP_3)
	v_cmp_ne_u32_e32 vcc_lo, 0, v3
	v_cndmask_b32_e32 v3, v11, v9, vcc_lo
	s_delay_alu instid0(VALU_DEP_3) | instskip(SKIP_1) | instid1(VALU_DEP_2)
	v_cmp_ne_u32_e64 s0, 0, v7
	v_dual_cndmask_b32 v7, v10, v8, vcc_lo :: v_dual_bitop2_b32 v6, s30, v6 bitop3:0x14
	v_cndmask_b32_e64 v3, v5, v3, s0
	s_delay_alu instid0(VALU_DEP_2) | instskip(NEXT) | instid1(VALU_DEP_2)
	v_dual_cndmask_b32 v4, v4, v7, s0 :: v_dual_mov_b32 v7, v6
	v_xor_b32_e32 v5, v3, v6
	s_delay_alu instid0(VALU_DEP_2) | instskip(NEXT) | instid1(VALU_DEP_1)
	v_xor_b32_e32 v4, v4, v6
	v_sub_nc_u64_e32 v[6:7], v[4:5], v[6:7]
                                        ; implicit-def: $vgpr4_vgpr5
.LBB17_14:                              ;   in Loop: Header=BB17_4 Depth=1
	s_and_not1_saveexec_b32 s0, s39
	s_cbranch_execz .LBB17_2
; %bb.15:                               ;   in Loop: Header=BB17_4 Depth=1
	v_cvt_f32_u32_e32 v3, s24
	s_sub_co_i32 s2, 0, s24
	s_delay_alu instid0(VALU_DEP_1) | instskip(SKIP_1) | instid1(TRANS32_DEP_1)
	v_rcp_iflag_f32_e32 v3, v3
	v_nop
	v_mul_f32_e32 v3, 0x4f7ffffe, v3
	s_delay_alu instid0(VALU_DEP_1) | instskip(NEXT) | instid1(VALU_DEP_1)
	v_cvt_u32_f32_e32 v3, v3
	v_mul_lo_u32 v5, s2, v3
	s_delay_alu instid0(VALU_DEP_1) | instskip(NEXT) | instid1(VALU_DEP_1)
	v_mul_hi_u32 v5, v3, v5
	v_add_nc_u32_e32 v3, v3, v5
	s_delay_alu instid0(VALU_DEP_1) | instskip(NEXT) | instid1(VALU_DEP_1)
	v_mul_hi_u32 v3, v4, v3
	v_mul_lo_u32 v5, v3, s24
	s_delay_alu instid0(VALU_DEP_1) | instskip(NEXT) | instid1(VALU_DEP_1)
	v_dual_sub_nc_u32 v4, v4, v5 :: v_dual_add_nc_u32 v5, 1, v3
	v_subrev_nc_u32_e32 v6, s24, v4
	v_cmp_le_u32_e32 vcc_lo, s24, v4
	s_delay_alu instid0(VALU_DEP_2) | instskip(NEXT) | instid1(VALU_DEP_1)
	v_dual_cndmask_b32 v4, v4, v6 :: v_dual_cndmask_b32 v3, v3, v5
	v_cmp_le_u32_e32 vcc_lo, s24, v4
	s_delay_alu instid0(VALU_DEP_2) | instskip(NEXT) | instid1(VALU_DEP_1)
	v_add_nc_u32_e32 v5, 1, v3
	v_cndmask_b32_e32 v6, v3, v5, vcc_lo
	s_branch .LBB17_2
.LBB17_16:
	s_endpgm
	.section	.rodata,"a",@progbits
	.p2align	6, 0x0
	.amdhsa_kernel _ZN2at4cuda17kernelHistogram1DIlalLi1ELi2ELin1ELNS0_23CUDAHistogramMemoryTypeE1EZNS0_21CUDA_tensor_histogramIlaLb0EEEbNS_6TensorES4_S4_lNS_14AccumulateTypeIT0_Lb1EE4typeES8_NS0_13TensorArgTypeES9_S9_EUllE_EEvNS0_6detail10TensorInfoIT_T1_EESF_NSC_IKS6_SE_EElS8_S8_SE_T6_
		.amdhsa_group_segment_fixed_size 0
		.amdhsa_private_segment_fixed_size 0
		.amdhsa_kernarg_size 1952
		.amdhsa_user_sgpr_count 2
		.amdhsa_user_sgpr_dispatch_ptr 0
		.amdhsa_user_sgpr_queue_ptr 0
		.amdhsa_user_sgpr_kernarg_segment_ptr 1
		.amdhsa_user_sgpr_dispatch_id 0
		.amdhsa_user_sgpr_kernarg_preload_length 0
		.amdhsa_user_sgpr_kernarg_preload_offset 0
		.amdhsa_user_sgpr_private_segment_size 0
		.amdhsa_wavefront_size32 1
		.amdhsa_uses_dynamic_stack 0
		.amdhsa_enable_private_segment 0
		.amdhsa_system_sgpr_workgroup_id_x 1
		.amdhsa_system_sgpr_workgroup_id_y 0
		.amdhsa_system_sgpr_workgroup_id_z 0
		.amdhsa_system_sgpr_workgroup_info 0
		.amdhsa_system_vgpr_workitem_id 0
		.amdhsa_next_free_vgpr 22
		.amdhsa_next_free_sgpr 55
		.amdhsa_named_barrier_count 0
		.amdhsa_reserve_vcc 1
		.amdhsa_float_round_mode_32 0
		.amdhsa_float_round_mode_16_64 0
		.amdhsa_float_denorm_mode_32 3
		.amdhsa_float_denorm_mode_16_64 3
		.amdhsa_fp16_overflow 0
		.amdhsa_memory_ordered 1
		.amdhsa_forward_progress 1
		.amdhsa_inst_pref_size 17
		.amdhsa_round_robin_scheduling 0
		.amdhsa_exception_fp_ieee_invalid_op 0
		.amdhsa_exception_fp_denorm_src 0
		.amdhsa_exception_fp_ieee_div_zero 0
		.amdhsa_exception_fp_ieee_overflow 0
		.amdhsa_exception_fp_ieee_underflow 0
		.amdhsa_exception_fp_ieee_inexact 0
		.amdhsa_exception_int_div_zero 0
	.end_amdhsa_kernel
	.section	.text._ZN2at4cuda17kernelHistogram1DIlalLi1ELi2ELin1ELNS0_23CUDAHistogramMemoryTypeE1EZNS0_21CUDA_tensor_histogramIlaLb0EEEbNS_6TensorES4_S4_lNS_14AccumulateTypeIT0_Lb1EE4typeES8_NS0_13TensorArgTypeES9_S9_EUllE_EEvNS0_6detail10TensorInfoIT_T1_EESF_NSC_IKS6_SE_EElS8_S8_SE_T6_,"axG",@progbits,_ZN2at4cuda17kernelHistogram1DIlalLi1ELi2ELin1ELNS0_23CUDAHistogramMemoryTypeE1EZNS0_21CUDA_tensor_histogramIlaLb0EEEbNS_6TensorES4_S4_lNS_14AccumulateTypeIT0_Lb1EE4typeES8_NS0_13TensorArgTypeES9_S9_EUllE_EEvNS0_6detail10TensorInfoIT_T1_EESF_NSC_IKS6_SE_EElS8_S8_SE_T6_,comdat
.Lfunc_end17:
	.size	_ZN2at4cuda17kernelHistogram1DIlalLi1ELi2ELin1ELNS0_23CUDAHistogramMemoryTypeE1EZNS0_21CUDA_tensor_histogramIlaLb0EEEbNS_6TensorES4_S4_lNS_14AccumulateTypeIT0_Lb1EE4typeES8_NS0_13TensorArgTypeES9_S9_EUllE_EEvNS0_6detail10TensorInfoIT_T1_EESF_NSC_IKS6_SE_EElS8_S8_SE_T6_, .Lfunc_end17-_ZN2at4cuda17kernelHistogram1DIlalLi1ELi2ELin1ELNS0_23CUDAHistogramMemoryTypeE1EZNS0_21CUDA_tensor_histogramIlaLb0EEEbNS_6TensorES4_S4_lNS_14AccumulateTypeIT0_Lb1EE4typeES8_NS0_13TensorArgTypeES9_S9_EUllE_EEvNS0_6detail10TensorInfoIT_T1_EESF_NSC_IKS6_SE_EElS8_S8_SE_T6_
                                        ; -- End function
	.set _ZN2at4cuda17kernelHistogram1DIlalLi1ELi2ELin1ELNS0_23CUDAHistogramMemoryTypeE1EZNS0_21CUDA_tensor_histogramIlaLb0EEEbNS_6TensorES4_S4_lNS_14AccumulateTypeIT0_Lb1EE4typeES8_NS0_13TensorArgTypeES9_S9_EUllE_EEvNS0_6detail10TensorInfoIT_T1_EESF_NSC_IKS6_SE_EElS8_S8_SE_T6_.num_vgpr, 22
	.set _ZN2at4cuda17kernelHistogram1DIlalLi1ELi2ELin1ELNS0_23CUDAHistogramMemoryTypeE1EZNS0_21CUDA_tensor_histogramIlaLb0EEEbNS_6TensorES4_S4_lNS_14AccumulateTypeIT0_Lb1EE4typeES8_NS0_13TensorArgTypeES9_S9_EUllE_EEvNS0_6detail10TensorInfoIT_T1_EESF_NSC_IKS6_SE_EElS8_S8_SE_T6_.num_agpr, 0
	.set _ZN2at4cuda17kernelHistogram1DIlalLi1ELi2ELin1ELNS0_23CUDAHistogramMemoryTypeE1EZNS0_21CUDA_tensor_histogramIlaLb0EEEbNS_6TensorES4_S4_lNS_14AccumulateTypeIT0_Lb1EE4typeES8_NS0_13TensorArgTypeES9_S9_EUllE_EEvNS0_6detail10TensorInfoIT_T1_EESF_NSC_IKS6_SE_EElS8_S8_SE_T6_.numbered_sgpr, 55
	.set _ZN2at4cuda17kernelHistogram1DIlalLi1ELi2ELin1ELNS0_23CUDAHistogramMemoryTypeE1EZNS0_21CUDA_tensor_histogramIlaLb0EEEbNS_6TensorES4_S4_lNS_14AccumulateTypeIT0_Lb1EE4typeES8_NS0_13TensorArgTypeES9_S9_EUllE_EEvNS0_6detail10TensorInfoIT_T1_EESF_NSC_IKS6_SE_EElS8_S8_SE_T6_.num_named_barrier, 0
	.set _ZN2at4cuda17kernelHistogram1DIlalLi1ELi2ELin1ELNS0_23CUDAHistogramMemoryTypeE1EZNS0_21CUDA_tensor_histogramIlaLb0EEEbNS_6TensorES4_S4_lNS_14AccumulateTypeIT0_Lb1EE4typeES8_NS0_13TensorArgTypeES9_S9_EUllE_EEvNS0_6detail10TensorInfoIT_T1_EESF_NSC_IKS6_SE_EElS8_S8_SE_T6_.private_seg_size, 0
	.set _ZN2at4cuda17kernelHistogram1DIlalLi1ELi2ELin1ELNS0_23CUDAHistogramMemoryTypeE1EZNS0_21CUDA_tensor_histogramIlaLb0EEEbNS_6TensorES4_S4_lNS_14AccumulateTypeIT0_Lb1EE4typeES8_NS0_13TensorArgTypeES9_S9_EUllE_EEvNS0_6detail10TensorInfoIT_T1_EESF_NSC_IKS6_SE_EElS8_S8_SE_T6_.uses_vcc, 1
	.set _ZN2at4cuda17kernelHistogram1DIlalLi1ELi2ELin1ELNS0_23CUDAHistogramMemoryTypeE1EZNS0_21CUDA_tensor_histogramIlaLb0EEEbNS_6TensorES4_S4_lNS_14AccumulateTypeIT0_Lb1EE4typeES8_NS0_13TensorArgTypeES9_S9_EUllE_EEvNS0_6detail10TensorInfoIT_T1_EESF_NSC_IKS6_SE_EElS8_S8_SE_T6_.uses_flat_scratch, 0
	.set _ZN2at4cuda17kernelHistogram1DIlalLi1ELi2ELin1ELNS0_23CUDAHistogramMemoryTypeE1EZNS0_21CUDA_tensor_histogramIlaLb0EEEbNS_6TensorES4_S4_lNS_14AccumulateTypeIT0_Lb1EE4typeES8_NS0_13TensorArgTypeES9_S9_EUllE_EEvNS0_6detail10TensorInfoIT_T1_EESF_NSC_IKS6_SE_EElS8_S8_SE_T6_.has_dyn_sized_stack, 0
	.set _ZN2at4cuda17kernelHistogram1DIlalLi1ELi2ELin1ELNS0_23CUDAHistogramMemoryTypeE1EZNS0_21CUDA_tensor_histogramIlaLb0EEEbNS_6TensorES4_S4_lNS_14AccumulateTypeIT0_Lb1EE4typeES8_NS0_13TensorArgTypeES9_S9_EUllE_EEvNS0_6detail10TensorInfoIT_T1_EESF_NSC_IKS6_SE_EElS8_S8_SE_T6_.has_recursion, 0
	.set _ZN2at4cuda17kernelHistogram1DIlalLi1ELi2ELin1ELNS0_23CUDAHistogramMemoryTypeE1EZNS0_21CUDA_tensor_histogramIlaLb0EEEbNS_6TensorES4_S4_lNS_14AccumulateTypeIT0_Lb1EE4typeES8_NS0_13TensorArgTypeES9_S9_EUllE_EEvNS0_6detail10TensorInfoIT_T1_EESF_NSC_IKS6_SE_EElS8_S8_SE_T6_.has_indirect_call, 0
	.section	.AMDGPU.csdata,"",@progbits
; Kernel info:
; codeLenInByte = 2112
; TotalNumSgprs: 57
; NumVgprs: 22
; ScratchSize: 0
; MemoryBound: 0
; FloatMode: 240
; IeeeMode: 1
; LDSByteSize: 0 bytes/workgroup (compile time only)
; SGPRBlocks: 0
; VGPRBlocks: 1
; NumSGPRsForWavesPerEU: 57
; NumVGPRsForWavesPerEU: 22
; NamedBarCnt: 0
; Occupancy: 16
; WaveLimiterHint : 1
; COMPUTE_PGM_RSRC2:SCRATCH_EN: 0
; COMPUTE_PGM_RSRC2:USER_SGPR: 2
; COMPUTE_PGM_RSRC2:TRAP_HANDLER: 0
; COMPUTE_PGM_RSRC2:TGID_X_EN: 1
; COMPUTE_PGM_RSRC2:TGID_Y_EN: 0
; COMPUTE_PGM_RSRC2:TGID_Z_EN: 0
; COMPUTE_PGM_RSRC2:TIDIG_COMP_CNT: 0
	.section	.text._ZN2at4cuda17kernelHistogram1DIlalLi1ELi2ELin1ELNS0_23CUDAHistogramMemoryTypeE0EZNS0_21CUDA_tensor_histogramIlaLb0EEEbNS_6TensorES4_S4_lNS_14AccumulateTypeIT0_Lb1EE4typeES8_NS0_13TensorArgTypeES9_S9_EUllE0_EEvNS0_6detail10TensorInfoIT_T1_EESF_NSC_IKS6_SE_EElS8_S8_SE_T6_,"axG",@progbits,_ZN2at4cuda17kernelHistogram1DIlalLi1ELi2ELin1ELNS0_23CUDAHistogramMemoryTypeE0EZNS0_21CUDA_tensor_histogramIlaLb0EEEbNS_6TensorES4_S4_lNS_14AccumulateTypeIT0_Lb1EE4typeES8_NS0_13TensorArgTypeES9_S9_EUllE0_EEvNS0_6detail10TensorInfoIT_T1_EESF_NSC_IKS6_SE_EElS8_S8_SE_T6_,comdat
	.protected	_ZN2at4cuda17kernelHistogram1DIlalLi1ELi2ELin1ELNS0_23CUDAHistogramMemoryTypeE0EZNS0_21CUDA_tensor_histogramIlaLb0EEEbNS_6TensorES4_S4_lNS_14AccumulateTypeIT0_Lb1EE4typeES8_NS0_13TensorArgTypeES9_S9_EUllE0_EEvNS0_6detail10TensorInfoIT_T1_EESF_NSC_IKS6_SE_EElS8_S8_SE_T6_ ; -- Begin function _ZN2at4cuda17kernelHistogram1DIlalLi1ELi2ELin1ELNS0_23CUDAHistogramMemoryTypeE0EZNS0_21CUDA_tensor_histogramIlaLb0EEEbNS_6TensorES4_S4_lNS_14AccumulateTypeIT0_Lb1EE4typeES8_NS0_13TensorArgTypeES9_S9_EUllE0_EEvNS0_6detail10TensorInfoIT_T1_EESF_NSC_IKS6_SE_EElS8_S8_SE_T6_
	.globl	_ZN2at4cuda17kernelHistogram1DIlalLi1ELi2ELin1ELNS0_23CUDAHistogramMemoryTypeE0EZNS0_21CUDA_tensor_histogramIlaLb0EEEbNS_6TensorES4_S4_lNS_14AccumulateTypeIT0_Lb1EE4typeES8_NS0_13TensorArgTypeES9_S9_EUllE0_EEvNS0_6detail10TensorInfoIT_T1_EESF_NSC_IKS6_SE_EElS8_S8_SE_T6_
	.p2align	8
	.type	_ZN2at4cuda17kernelHistogram1DIlalLi1ELi2ELin1ELNS0_23CUDAHistogramMemoryTypeE0EZNS0_21CUDA_tensor_histogramIlaLb0EEEbNS_6TensorES4_S4_lNS_14AccumulateTypeIT0_Lb1EE4typeES8_NS0_13TensorArgTypeES9_S9_EUllE0_EEvNS0_6detail10TensorInfoIT_T1_EESF_NSC_IKS6_SE_EElS8_S8_SE_T6_,@function
_ZN2at4cuda17kernelHistogram1DIlalLi1ELi2ELin1ELNS0_23CUDAHistogramMemoryTypeE0EZNS0_21CUDA_tensor_histogramIlaLb0EEEbNS_6TensorES4_S4_lNS_14AccumulateTypeIT0_Lb1EE4typeES8_NS0_13TensorArgTypeES9_S9_EUllE0_EEvNS0_6detail10TensorInfoIT_T1_EESF_NSC_IKS6_SE_EElS8_S8_SE_T6_: ; @_ZN2at4cuda17kernelHistogram1DIlalLi1ELi2ELin1ELNS0_23CUDAHistogramMemoryTypeE0EZNS0_21CUDA_tensor_histogramIlaLb0EEEbNS_6TensorES4_S4_lNS_14AccumulateTypeIT0_Lb1EE4typeES8_NS0_13TensorArgTypeES9_S9_EUllE0_EEvNS0_6detail10TensorInfoIT_T1_EESF_NSC_IKS6_SE_EElS8_S8_SE_T6_
; %bb.0:
	s_load_b128 s[12:15], s[0:1], 0x0
	v_mov_b32_e32 v1, 0
	s_add_nc_u64 s[24:25], s[0:1], 0x508
	s_mov_b32 s3, exec_lo
                                        ; implicit-def: $sgpr4
                                        ; implicit-def: $sgpr5
	s_wait_kmcnt 0x0
	s_delay_alu instid0(VALU_DEP_1)
	v_cmp_gt_i64_e64 s2, s[14:15], v[0:1]
	v_cmpx_le_i64_e64 s[14:15], v[0:1]
	s_xor_b32 s3, exec_lo, s3
	s_cbranch_execz .LBB18_2
; %bb.1:
	s_load_b32 s4, s[24:25], 0xc
	s_wait_kmcnt 0x0
	s_and_b32 s5, s4, 0xffff
.LBB18_2:
	s_or_saveexec_b32 s3, s3
	v_dual_mov_b32 v18, s4 :: v_dual_mov_b32 v17, s5
	v_lshl_add_u32 v16, v0, 3, 0
	s_xor_b32 exec_lo, exec_lo, s3
	s_cbranch_execz .LBB18_6
; %bb.3:
	s_load_b32 s6, s[24:25], 0xc
	v_mov_b64_e32 v[2:3], 0
	v_mov_b64_e32 v[4:5], v[0:1]
	v_lshl_add_u32 v6, v0, 3, 0
	s_mov_b32 s5, 0
	s_delay_alu instid0(SALU_CYCLE_1) | instskip(SKIP_2) | instid1(SALU_CYCLE_1)
	s_mov_b32 s7, s5
	s_wait_kmcnt 0x0
	s_and_b32 s4, s6, 0xffff
	s_lshl_b32 s8, s4, 3
.LBB18_4:                               ; =>This Inner Loop Header: Depth=1
	v_add_nc_u64_e32 v[4:5], s[4:5], v[4:5]
	ds_store_b64 v6, v[2:3]
	v_add_nc_u32_e32 v6, s8, v6
	v_cmp_le_i64_e32 vcc_lo, s[14:15], v[4:5]
	s_or_b32 s7, vcc_lo, s7
	s_delay_alu instid0(SALU_CYCLE_1)
	s_and_not1_b32 exec_lo, exec_lo, s7
	s_cbranch_execnz .LBB18_4
; %bb.5:
	s_or_b32 exec_lo, exec_lo, s7
	v_dual_mov_b32 v18, s6 :: v_dual_mov_b32 v17, s4
.LBB18_6:
	s_or_b32 exec_lo, exec_lo, s3
	s_bfe_u32 s3, ttmp6, 0x4000c
	s_clause 0x1
	s_load_b64 s[16:17], s[0:1], 0xd0
	s_load_b256 s[4:11], s[0:1], 0x4e0
	s_add_co_i32 s3, s3, 1
	s_and_b32 s18, ttmp6, 15
	s_mul_i32 s3, ttmp9, s3
	s_getreg_b32 s19, hwreg(HW_REG_IB_STS2, 6, 4)
	s_add_co_i32 s18, s18, s3
	s_cmp_eq_u32 s19, 0
	v_mov_b32_e32 v4, 0
	s_cselect_b32 s3, ttmp9, s18
	s_mov_b32 s19, 0
	v_mad_u32 v2, s3, v17, v0
	s_mov_b32 s3, exec_lo
	v_mov_b32_e32 v3, v4
	s_wait_dscnt 0x0
	s_barrier_signal -1
	s_barrier_wait -1
	s_wait_kmcnt 0x0
	s_delay_alu instid0(VALU_DEP_2)
	v_cmpx_gt_i64_e64 s[10:11], v[2:3]
	s_cbranch_execz .LBB18_22
; %bb.7:
	s_load_b32 s33, s[0:1], 0x4d8
	s_load_b32 s18, s[24:25], 0x0
	s_clause 0x1
	s_load_b64 s[20:21], s[0:1], 0x410
	s_load_b64 s[22:23], s[0:1], 0x340
	s_add_nc_u64 s[28:29], s[0:1], 0x340
	v_mov_b64_e32 v[8:9], 1
	v_mov_b32_e32 v7, v4
	s_wait_xcnt 0x0
	s_sub_nc_u64 s[24:25], s[8:9], s[6:7]
	s_mov_b64 s[26:27], 0xffffffff
	s_mov_b32 s42, 0
	s_wait_kmcnt 0x0
	s_cmp_gt_i32 s33, 1
	v_mul_lo_u32 v6, s18, v17
	s_cselect_b32 s1, -1, 0
	s_add_co_i32 s18, s33, -1
	s_add_co_i32 s33, s33, 1
	s_lshl_b64 s[30:31], s[18:19], 3
	s_delay_alu instid0(SALU_CYCLE_1)
	s_add_nc_u64 s[28:29], s[28:29], s[30:31]
	s_ashr_i32 s30, s25, 31
	s_add_nc_u64 s[28:29], s[28:29], 8
	s_branch .LBB18_10
.LBB18_8:                               ;   in Loop: Header=BB18_10 Depth=1
	s_or_b32 exec_lo, exec_lo, s0
	s_delay_alu instid0(VALU_DEP_1) | instskip(NEXT) | instid1(VALU_DEP_1)
	v_ashrrev_i32_e32 v13, 31, v12
	v_cmp_eq_u64_e32 vcc_lo, s[4:5], v[12:13]
	v_subrev_co_ci_u32_e64 v5, null, 0, v12, vcc_lo
	s_delay_alu instid0(VALU_DEP_1)
	v_lshl_add_u32 v5, v5, 3, 0
	ds_add_u64 v5, v[8:9]
.LBB18_9:                               ;   in Loop: Header=BB18_10 Depth=1
	s_or_b32 exec_lo, exec_lo, s36
	v_add_nc_u64_e32 v[2:3], v[2:3], v[6:7]
	s_delay_alu instid0(VALU_DEP_1) | instskip(SKIP_1) | instid1(SALU_CYCLE_1)
	v_cmp_le_i64_e32 vcc_lo, s[10:11], v[2:3]
	s_or_b32 s42, vcc_lo, s42
	s_and_not1_b32 exec_lo, exec_lo, s42
	s_cbranch_execz .LBB18_22
.LBB18_10:                              ; =>This Loop Header: Depth=1
                                        ;     Child Loop BB18_11 Depth 2
	v_mov_b64_e32 v[10:11], 0
	v_mov_b64_e32 v[12:13], v[2:3]
	;; [unrolled: 1-line block ×3, first 2 shown]
	s_and_not1_b32 vcc_lo, exec_lo, s1
	s_mov_b64 s[34:35], s[28:29]
	s_mov_b32 s31, s33
	s_cbranch_vccnz .LBB18_17
.LBB18_11:                              ;   Parent Loop BB18_10 Depth=1
                                        ; =>  This Inner Loop Header: Depth=2
	s_load_b64 s[36:37], s[34:35], 0x0
                                        ; implicit-def: $vgpr14_vgpr15
	s_mov_b32 s0, exec_lo
	s_wait_kmcnt 0x0
	s_delay_alu instid0(VALU_DEP_1) | instskip(NEXT) | instid1(VALU_DEP_1)
	v_or_b32_e32 v5, s37, v13
	v_cmpx_ne_u64_e32 0, v[4:5]
	s_xor_b32 s43, exec_lo, s0
	s_cbranch_execz .LBB18_13
; %bb.12:                               ;   in Loop: Header=BB18_11 Depth=2
	s_ashr_i32 s38, s37, 31
	v_dual_mov_b32 v23, v4 :: v_dual_ashrrev_i32 v14, 31, v13
	s_mov_b32 s39, s38
	s_delay_alu instid0(SALU_CYCLE_1) | instskip(NEXT) | instid1(VALU_DEP_1)
	s_add_nc_u64 s[40:41], s[36:37], s[38:39]
	v_mov_b32_e32 v15, v14
	s_xor_b64 s[40:41], s[40:41], s[38:39]
	s_delay_alu instid0(SALU_CYCLE_1)
	s_cvt_f32_u32 s0, s40
	s_cvt_f32_u32 s18, s41
	s_sub_nc_u64 s[46:47], 0, s[40:41]
	v_add_nc_u64_e32 v[20:21], v[12:13], v[14:15]
	v_mov_b32_e32 v27, v4
	s_fmamk_f32 s0, s18, 0x4f800000, s0
	s_delay_alu instid0(SALU_CYCLE_3) | instskip(NEXT) | instid1(VALU_DEP_2)
	v_s_rcp_f32 s0, s0
	v_xor_b32_e32 v22, v20, v14
	s_delay_alu instid0(VALU_DEP_3) | instskip(SKIP_1) | instid1(TRANS32_DEP_1)
	v_dual_mov_b32 v31, v4 :: v_dual_bitop2_b32 v26, v21, v14 bitop3:0x14
	v_xor_b32_e32 v14, s38, v14
	s_mul_f32 s0, s0, 0x5f7ffffc
	s_delay_alu instid0(SALU_CYCLE_3) | instskip(NEXT) | instid1(SALU_CYCLE_3)
	s_mul_f32 s18, s0, 0x2f800000
	s_trunc_f32 s18, s18
	s_delay_alu instid0(SALU_CYCLE_3) | instskip(SKIP_1) | instid1(SALU_CYCLE_2)
	s_fmamk_f32 s0, s18, 0xcf800000, s0
	s_cvt_u32_f32 s45, s18
	s_cvt_u32_f32 s44, s0
	s_delay_alu instid0(SALU_CYCLE_3) | instskip(NEXT) | instid1(SALU_CYCLE_1)
	s_mul_u64 s[48:49], s[46:47], s[44:45]
	s_mul_hi_u32 s51, s44, s49
	s_mul_i32 s50, s44, s49
	s_mul_hi_u32 s18, s44, s48
	s_mul_i32 s39, s45, s48
	s_add_nc_u64 s[50:51], s[18:19], s[50:51]
	s_mul_hi_u32 s0, s45, s48
	s_mul_hi_u32 s52, s45, s49
	s_add_co_u32 s18, s50, s39
	s_add_co_ci_u32 s18, s51, s0
	s_mul_i32 s48, s45, s49
	s_add_co_ci_u32 s49, s52, 0
	s_delay_alu instid0(SALU_CYCLE_1) | instskip(NEXT) | instid1(SALU_CYCLE_1)
	s_add_nc_u64 s[48:49], s[18:19], s[48:49]
	s_add_co_u32 s44, s44, s48
	s_cselect_b32 s0, -1, 0
	s_delay_alu instid0(SALU_CYCLE_1) | instskip(SKIP_1) | instid1(SALU_CYCLE_1)
	s_cmp_lg_u32 s0, 0
	s_add_co_ci_u32 s45, s45, s49
	s_mul_u64 s[46:47], s[46:47], s[44:45]
	s_delay_alu instid0(SALU_CYCLE_1)
	s_mul_hi_u32 s49, s44, s47
	s_mul_i32 s48, s44, s47
	s_mul_hi_u32 s18, s44, s46
	s_mul_i32 s39, s45, s46
	s_add_nc_u64 s[48:49], s[18:19], s[48:49]
	s_mul_hi_u32 s0, s45, s46
	s_mul_hi_u32 s50, s45, s47
	s_add_co_u32 s18, s48, s39
	s_add_co_ci_u32 s18, s49, s0
	s_mul_i32 s46, s45, s47
	s_add_co_ci_u32 s47, s50, 0
	s_delay_alu instid0(SALU_CYCLE_1) | instskip(NEXT) | instid1(SALU_CYCLE_1)
	s_add_nc_u64 s[46:47], s[18:19], s[46:47]
	s_add_co_u32 s0, s44, s46
	s_cselect_b32 s18, -1, 0
	v_mul_hi_u32 v30, v22, s0
	s_cmp_lg_u32 s18, 0
	s_add_co_ci_u32 s18, s45, s47
	s_and_b64 s[44:45], s[0:1], s[26:27]
	v_mul_u64_e32 v[24:25], s[18:19], v[22:23]
	v_mul_u64_e32 v[20:21], s[44:45], v[26:27]
	;; [unrolled: 1-line block ×3, first 2 shown]
	s_delay_alu instid0(VALU_DEP_3) | instskip(NEXT) | instid1(VALU_DEP_1)
	v_add_nc_u64_e32 v[24:25], v[30:31], v[24:25]
	v_add_co_u32 v5, vcc_lo, v24, v20
	s_delay_alu instid0(VALU_DEP_2) | instskip(NEXT) | instid1(VALU_DEP_4)
	v_add_co_ci_u32_e32 v30, vcc_lo, v25, v21, vcc_lo
	v_add_co_ci_u32_e32 v29, vcc_lo, 0, v29, vcc_lo
	s_delay_alu instid0(VALU_DEP_1) | instskip(NEXT) | instid1(VALU_DEP_1)
	v_add_nc_u64_e32 v[20:21], v[30:31], v[28:29]
	v_mul_u64_e32 v[24:25], s[40:41], v[20:21]
	s_delay_alu instid0(VALU_DEP_1) | instskip(NEXT) | instid1(VALU_DEP_2)
	v_sub_nc_u32_e32 v5, v26, v25
	v_sub_co_u32 v15, vcc_lo, v22, v24
	s_delay_alu instid0(VALU_DEP_1) | instskip(NEXT) | instid1(VALU_DEP_3)
	v_sub_co_ci_u32_e64 v26, null, v26, v25, vcc_lo
	v_subrev_co_ci_u32_e64 v5, null, s41, v5, vcc_lo
	s_delay_alu instid0(VALU_DEP_3) | instskip(SKIP_1) | instid1(VALU_DEP_3)
	v_sub_co_u32 v19, s0, v15, s40
	v_add_nc_u64_e32 v[24:25], 1, v[20:21]
	v_subrev_co_ci_u32_e64 v5, null, 0, v5, s0
	s_delay_alu instid0(VALU_DEP_3) | instskip(SKIP_1) | instid1(VALU_DEP_3)
	v_cmp_le_u32_e32 vcc_lo, s40, v19
	v_cndmask_b32_e64 v19, 0, -1, vcc_lo
	v_cmp_le_u32_e32 vcc_lo, s41, v5
	v_cndmask_b32_e64 v22, 0, -1, vcc_lo
	;; [unrolled: 2-line block ×4, first 2 shown]
	v_cmp_eq_u32_e32 vcc_lo, s41, v5
	v_cndmask_b32_e32 v5, v22, v19, vcc_lo
	v_cmp_eq_u32_e32 vcc_lo, s41, v26
	v_add_nc_u64_e32 v[22:23], 2, v[20:21]
	v_cndmask_b32_e32 v15, v27, v15, vcc_lo
	s_delay_alu instid0(VALU_DEP_4) | instskip(NEXT) | instid1(VALU_DEP_2)
	v_cmp_ne_u32_e32 vcc_lo, 0, v5
	v_cmp_ne_u32_e64 s0, 0, v15
	s_delay_alu instid0(VALU_DEP_4) | instskip(NEXT) | instid1(VALU_DEP_1)
	v_dual_cndmask_b32 v5, v25, v23, vcc_lo :: v_dual_cndmask_b32 v15, v24, v22, vcc_lo
	v_dual_cndmask_b32 v19, v20, v15, s0 :: v_dual_mov_b32 v15, v14
	s_delay_alu instid0(VALU_DEP_1) | instskip(NEXT) | instid1(VALU_DEP_1)
	v_dual_cndmask_b32 v5, v21, v5, s0 :: v_dual_bitop2_b32 v20, v19, v14 bitop3:0x14
	v_xor_b32_e32 v21, v5, v14
	s_delay_alu instid0(VALU_DEP_1)
	v_sub_nc_u64_e32 v[14:15], v[20:21], v[14:15]
.LBB18_13:                              ;   in Loop: Header=BB18_11 Depth=2
	s_and_not1_saveexec_b32 s0, s43
	s_cbranch_execz .LBB18_15
; %bb.14:                               ;   in Loop: Header=BB18_11 Depth=2
	v_cvt_f32_u32_e32 v5, s36
	s_sub_co_i32 s18, 0, s36
	s_delay_alu instid0(VALU_DEP_1) | instskip(SKIP_1) | instid1(TRANS32_DEP_1)
	v_rcp_iflag_f32_e32 v5, v5
	v_nop
	v_mul_f32_e32 v5, 0x4f7ffffe, v5
	s_delay_alu instid0(VALU_DEP_1) | instskip(NEXT) | instid1(VALU_DEP_1)
	v_cvt_u32_f32_e32 v5, v5
	v_mul_lo_u32 v14, s18, v5
	s_delay_alu instid0(VALU_DEP_1) | instskip(NEXT) | instid1(VALU_DEP_1)
	v_mul_hi_u32 v14, v5, v14
	v_add_nc_u32_e32 v5, v5, v14
	s_delay_alu instid0(VALU_DEP_1) | instskip(NEXT) | instid1(VALU_DEP_1)
	v_mul_hi_u32 v5, v12, v5
	v_mul_lo_u32 v14, v5, s36
	s_delay_alu instid0(VALU_DEP_1) | instskip(NEXT) | instid1(VALU_DEP_1)
	v_dual_add_nc_u32 v15, 1, v5 :: v_dual_sub_nc_u32 v14, v12, v14
	v_subrev_nc_u32_e32 v19, s36, v14
	v_cmp_le_u32_e32 vcc_lo, s36, v14
	s_delay_alu instid0(VALU_DEP_2) | instskip(NEXT) | instid1(VALU_DEP_4)
	v_cndmask_b32_e32 v14, v14, v19, vcc_lo
	v_cndmask_b32_e32 v5, v5, v15, vcc_lo
	s_delay_alu instid0(VALU_DEP_2) | instskip(NEXT) | instid1(VALU_DEP_2)
	v_cmp_le_u32_e32 vcc_lo, s36, v14
	v_add_nc_u32_e32 v15, 1, v5
	s_delay_alu instid0(VALU_DEP_1)
	v_dual_cndmask_b32 v14, v5, v15 :: v_dual_mov_b32 v15, v4
.LBB18_15:                              ;   in Loop: Header=BB18_11 Depth=2
	s_or_b32 exec_lo, exec_lo, s0
	s_delay_alu instid0(VALU_DEP_1)
	v_mul_u64_e32 v[20:21], s[36:37], v[14:15]
	s_load_b64 s[36:37], s[34:35], 0xc8
	s_add_co_i32 s31, s31, -1
	s_wait_xcnt 0x0
	s_add_nc_u64 s[34:35], s[34:35], -8
	s_cmp_gt_u32 s31, 2
	s_delay_alu instid0(VALU_DEP_1) | instskip(SKIP_1) | instid1(VALU_DEP_1)
	v_sub_nc_u64_e32 v[12:13], v[12:13], v[20:21]
	s_wait_kmcnt 0x0
	v_mad_nc_u64_u32 v[10:11], s36, v12, v[10:11]
	s_delay_alu instid0(VALU_DEP_1) | instskip(NEXT) | instid1(VALU_DEP_1)
	v_mad_u32 v5, s37, v12, v11
	v_mad_u32 v11, s36, v13, v5
	s_cbranch_scc0 .LBB18_17
; %bb.16:                               ;   in Loop: Header=BB18_11 Depth=2
	v_mov_b64_e32 v[12:13], v[14:15]
	s_branch .LBB18_11
.LBB18_17:                              ;   in Loop: Header=BB18_10 Depth=1
	s_delay_alu instid0(VALU_DEP_1) | instskip(NEXT) | instid1(VALU_DEP_1)
	v_mad_nc_u64_u32 v[12:13], s20, v14, s[22:23]
	v_mad_u32 v5, s21, v14, v13
	s_delay_alu instid0(VALU_DEP_1) | instskip(NEXT) | instid1(VALU_DEP_1)
	v_mad_u32 v13, s20, v15, v5
	v_add_nc_u64_e32 v[10:11], v[12:13], v[10:11]
	global_load_i8 v5, v[10:11], off
	s_wait_loadcnt 0x0
	s_wait_xcnt 0x0
	v_bfe_i32 v10, v5, 0, 16
	s_delay_alu instid0(VALU_DEP_1) | instskip(NEXT) | instid1(VALU_DEP_1)
	v_ashrrev_i32_e32 v11, 31, v10
	v_cmp_le_i64_e32 vcc_lo, s[6:7], v[10:11]
	v_cmp_ge_i64_e64 s0, s[8:9], v[10:11]
	s_and_b32 s0, vcc_lo, s0
	s_delay_alu instid0(SALU_CYCLE_1)
	s_and_saveexec_b32 s36, s0
	s_cbranch_execz .LBB18_9
; %bb.18:                               ;   in Loop: Header=BB18_10 Depth=1
	v_sub_nc_u64_e64 v[10:11], v[10:11], s[6:7]
                                        ; implicit-def: $vgpr12_vgpr13
	s_mov_b32 s0, exec_lo
	s_delay_alu instid0(VALU_DEP_1) | instskip(NEXT) | instid1(VALU_DEP_1)
	v_mul_u64_e32 v[10:11], s[4:5], v[10:11]
	v_or_b32_e32 v5, s25, v11
	s_delay_alu instid0(VALU_DEP_1)
	v_cmpx_ne_u64_e32 0, v[4:5]
	s_xor_b32 s37, exec_lo, s0
	s_cbranch_execz .LBB18_20
; %bb.19:                               ;   in Loop: Header=BB18_10 Depth=1
	s_mov_b32 s31, s30
	v_dual_mov_b32 v15, v4 :: v_dual_ashrrev_i32 v12, 31, v11
	s_add_nc_u64 s[34:35], s[24:25], s[30:31]
	s_delay_alu instid0(SALU_CYCLE_1) | instskip(NEXT) | instid1(VALU_DEP_1)
	s_xor_b64 s[34:35], s[34:35], s[30:31]
	v_mov_b32_e32 v13, v12
	s_cvt_f32_u32 s0, s34
	s_cvt_f32_u32 s18, s35
	s_sub_nc_u64 s[40:41], 0, s[34:35]
	s_delay_alu instid0(VALU_DEP_1) | instskip(NEXT) | instid1(SALU_CYCLE_1)
	v_add_nc_u64_e32 v[10:11], v[10:11], v[12:13]
	s_fmamk_f32 s0, s18, 0x4f800000, s0
	v_mov_b32_e32 v23, v4
	s_delay_alu instid0(SALU_CYCLE_2) | instskip(NEXT) | instid1(VALU_DEP_2)
	v_s_rcp_f32 s0, s0
	v_xor_b32_e32 v14, v10, v12
	s_delay_alu instid0(VALU_DEP_3) | instskip(NEXT) | instid1(TRANS32_DEP_1)
	v_dual_mov_b32 v27, v4 :: v_dual_bitop2_b32 v22, v11, v12 bitop3:0x14
	s_mul_f32 s0, s0, 0x5f7ffffc
	s_delay_alu instid0(SALU_CYCLE_3) | instskip(NEXT) | instid1(SALU_CYCLE_3)
	s_mul_f32 s18, s0, 0x2f800000
	s_trunc_f32 s18, s18
	s_delay_alu instid0(SALU_CYCLE_3) | instskip(SKIP_1) | instid1(SALU_CYCLE_2)
	s_fmamk_f32 s0, s18, 0xcf800000, s0
	s_cvt_u32_f32 s39, s18
	s_cvt_u32_f32 s38, s0
	s_delay_alu instid0(SALU_CYCLE_3) | instskip(NEXT) | instid1(SALU_CYCLE_1)
	s_mul_u64 s[44:45], s[40:41], s[38:39]
	s_mul_hi_u32 s47, s38, s45
	s_mul_i32 s46, s38, s45
	s_mul_hi_u32 s18, s38, s44
	s_mul_i32 s31, s39, s44
	s_add_nc_u64 s[46:47], s[18:19], s[46:47]
	s_mul_hi_u32 s0, s39, s44
	s_mul_hi_u32 s43, s39, s45
	s_add_co_u32 s18, s46, s31
	s_add_co_ci_u32 s18, s47, s0
	s_mul_i32 s44, s39, s45
	s_add_co_ci_u32 s45, s43, 0
	s_delay_alu instid0(SALU_CYCLE_1) | instskip(NEXT) | instid1(SALU_CYCLE_1)
	s_add_nc_u64 s[44:45], s[18:19], s[44:45]
	s_add_co_u32 s38, s38, s44
	s_cselect_b32 s0, -1, 0
	s_delay_alu instid0(SALU_CYCLE_1) | instskip(SKIP_1) | instid1(SALU_CYCLE_1)
	s_cmp_lg_u32 s0, 0
	s_add_co_ci_u32 s39, s39, s45
	s_mul_u64 s[40:41], s[40:41], s[38:39]
	s_delay_alu instid0(SALU_CYCLE_1)
	s_mul_hi_u32 s45, s38, s41
	s_mul_i32 s44, s38, s41
	s_mul_hi_u32 s18, s38, s40
	s_mul_i32 s31, s39, s40
	s_add_nc_u64 s[44:45], s[18:19], s[44:45]
	s_mul_hi_u32 s0, s39, s40
	s_mul_hi_u32 s43, s39, s41
	s_add_co_u32 s18, s44, s31
	s_add_co_ci_u32 s18, s45, s0
	s_mul_i32 s40, s39, s41
	s_add_co_ci_u32 s41, s43, 0
	s_delay_alu instid0(SALU_CYCLE_1) | instskip(NEXT) | instid1(SALU_CYCLE_1)
	s_add_nc_u64 s[40:41], s[18:19], s[40:41]
	s_add_co_u32 s0, s38, s40
	s_cselect_b32 s18, -1, 0
	v_mul_hi_u32 v26, v14, s0
	s_cmp_lg_u32 s18, 0
	s_add_co_ci_u32 s18, s39, s41
	s_and_b64 s[38:39], s[0:1], s[26:27]
	v_mul_u64_e32 v[20:21], s[18:19], v[14:15]
	v_mul_u64_e32 v[10:11], s[38:39], v[22:23]
	;; [unrolled: 1-line block ×3, first 2 shown]
	s_delay_alu instid0(VALU_DEP_3) | instskip(NEXT) | instid1(VALU_DEP_1)
	v_add_nc_u64_e32 v[20:21], v[26:27], v[20:21]
	v_add_co_u32 v5, vcc_lo, v20, v10
	s_delay_alu instid0(VALU_DEP_2) | instskip(NEXT) | instid1(VALU_DEP_4)
	v_add_co_ci_u32_e32 v26, vcc_lo, v21, v11, vcc_lo
	v_add_co_ci_u32_e32 v25, vcc_lo, 0, v25, vcc_lo
	s_delay_alu instid0(VALU_DEP_1) | instskip(NEXT) | instid1(VALU_DEP_1)
	v_add_nc_u64_e32 v[10:11], v[26:27], v[24:25]
	v_mul_u64_e32 v[20:21], s[34:35], v[10:11]
	s_delay_alu instid0(VALU_DEP_1) | instskip(NEXT) | instid1(VALU_DEP_2)
	v_sub_nc_u32_e32 v5, v22, v21
	v_sub_co_u32 v13, vcc_lo, v14, v20
	s_delay_alu instid0(VALU_DEP_1) | instskip(NEXT) | instid1(VALU_DEP_3)
	v_sub_co_ci_u32_e64 v19, null, v22, v21, vcc_lo
	v_subrev_co_ci_u32_e64 v5, null, s35, v5, vcc_lo
	s_delay_alu instid0(VALU_DEP_3) | instskip(SKIP_1) | instid1(VALU_DEP_3)
	v_sub_co_u32 v14, s0, v13, s34
	v_add_nc_u64_e32 v[20:21], 1, v[10:11]
	v_subrev_co_ci_u32_e64 v5, null, 0, v5, s0
	s_delay_alu instid0(VALU_DEP_3) | instskip(SKIP_1) | instid1(VALU_DEP_3)
	v_cmp_le_u32_e32 vcc_lo, s34, v14
	v_cndmask_b32_e64 v14, 0, -1, vcc_lo
	v_cmp_le_u32_e32 vcc_lo, s35, v5
	v_cndmask_b32_e64 v15, 0, -1, vcc_lo
	;; [unrolled: 2-line block ×4, first 2 shown]
	v_cmp_eq_u32_e32 vcc_lo, s35, v5
	v_cndmask_b32_e32 v5, v15, v14, vcc_lo
	v_cmp_eq_u32_e32 vcc_lo, s35, v19
	v_add_nc_u64_e32 v[14:15], 2, v[10:11]
	v_cndmask_b32_e32 v13, v22, v13, vcc_lo
	s_delay_alu instid0(VALU_DEP_4) | instskip(NEXT) | instid1(VALU_DEP_2)
	v_cmp_ne_u32_e32 vcc_lo, 0, v5
	v_cmp_ne_u32_e64 s0, 0, v13
	s_delay_alu instid0(VALU_DEP_4) | instskip(NEXT) | instid1(VALU_DEP_1)
	v_dual_cndmask_b32 v5, v21, v15, vcc_lo :: v_dual_cndmask_b32 v13, v20, v14, vcc_lo
	v_dual_cndmask_b32 v5, v11, v5, s0 :: v_dual_bitop2_b32 v12, s30, v12 bitop3:0x14
	s_delay_alu instid0(VALU_DEP_1) | instskip(NEXT) | instid1(VALU_DEP_2)
	v_dual_cndmask_b32 v10, v10, v13, s0 :: v_dual_mov_b32 v13, v12
	v_xor_b32_e32 v11, v5, v12
	s_delay_alu instid0(VALU_DEP_2) | instskip(NEXT) | instid1(VALU_DEP_1)
	v_xor_b32_e32 v10, v10, v12
	v_sub_nc_u64_e32 v[12:13], v[10:11], v[12:13]
                                        ; implicit-def: $vgpr10_vgpr11
.LBB18_20:                              ;   in Loop: Header=BB18_10 Depth=1
	s_and_not1_saveexec_b32 s0, s37
	s_cbranch_execz .LBB18_8
; %bb.21:                               ;   in Loop: Header=BB18_10 Depth=1
	v_cvt_f32_u32_e32 v5, s24
	s_sub_co_i32 s18, 0, s24
	s_delay_alu instid0(VALU_DEP_1) | instskip(SKIP_1) | instid1(TRANS32_DEP_1)
	v_rcp_iflag_f32_e32 v5, v5
	v_nop
	v_mul_f32_e32 v5, 0x4f7ffffe, v5
	s_delay_alu instid0(VALU_DEP_1) | instskip(NEXT) | instid1(VALU_DEP_1)
	v_cvt_u32_f32_e32 v5, v5
	v_mul_lo_u32 v11, s18, v5
	s_delay_alu instid0(VALU_DEP_1) | instskip(NEXT) | instid1(VALU_DEP_1)
	v_mul_hi_u32 v11, v5, v11
	v_add_nc_u32_e32 v5, v5, v11
	s_delay_alu instid0(VALU_DEP_1) | instskip(NEXT) | instid1(VALU_DEP_1)
	v_mul_hi_u32 v5, v10, v5
	v_mul_lo_u32 v11, v5, s24
	s_delay_alu instid0(VALU_DEP_1) | instskip(NEXT) | instid1(VALU_DEP_1)
	v_dual_sub_nc_u32 v10, v10, v11 :: v_dual_add_nc_u32 v11, 1, v5
	v_subrev_nc_u32_e32 v12, s24, v10
	v_cmp_le_u32_e32 vcc_lo, s24, v10
	s_delay_alu instid0(VALU_DEP_2) | instskip(NEXT) | instid1(VALU_DEP_1)
	v_dual_cndmask_b32 v10, v10, v12 :: v_dual_cndmask_b32 v5, v5, v11
	v_cmp_le_u32_e32 vcc_lo, s24, v10
	s_delay_alu instid0(VALU_DEP_2) | instskip(NEXT) | instid1(VALU_DEP_1)
	v_add_nc_u32_e32 v11, 1, v5
	v_cndmask_b32_e32 v12, v5, v11, vcc_lo
	s_branch .LBB18_8
.LBB18_22:
	s_or_b32 exec_lo, exec_lo, s3
; %bb.23:
	s_wait_dscnt 0x0
	s_barrier_signal -1
	s_barrier_wait -1
	s_and_saveexec_b32 s0, s2
	s_cbranch_execz .LBB18_26
; %bb.24:
	s_mov_b32 s0, 0
	v_and_b32_e32 v2, 0xffff, v18
	v_dual_mov_b32 v3, s0 :: v_dual_lshlrev_b32 v8, 3, v17
	v_mul_u64_e32 v[6:7], s[16:17], v[0:1]
	s_delay_alu instid0(VALU_DEP_2) | instskip(NEXT) | instid1(VALU_DEP_2)
	v_mul_u64_e32 v[4:5], s[16:17], v[2:3]
	v_lshl_add_u64 v[6:7], v[6:7], 3, s[12:13]
	s_delay_alu instid0(VALU_DEP_2)
	v_lshlrev_b64_e32 v[4:5], 3, v[4:5]
.LBB18_25:                              ; =>This Inner Loop Header: Depth=1
	ds_load_b64 v[10:11], v16
	v_add_nc_u64_e32 v[0:1], v[0:1], v[2:3]
	v_add_nc_u32_e32 v16, v16, v8
	s_delay_alu instid0(VALU_DEP_2)
	v_cmp_le_i64_e32 vcc_lo, s[14:15], v[0:1]
	s_or_b32 s0, vcc_lo, s0
	s_wait_dscnt 0x0
	global_atomic_add_u64 v[6:7], v[10:11], off scope:SCOPE_SYS
	s_wait_xcnt 0x0
	v_add_nc_u64_e32 v[6:7], v[6:7], v[4:5]
	s_and_not1_b32 exec_lo, exec_lo, s0
	s_cbranch_execnz .LBB18_25
.LBB18_26:
	s_endpgm
	.section	.rodata,"a",@progbits
	.p2align	6, 0x0
	.amdhsa_kernel _ZN2at4cuda17kernelHistogram1DIlalLi1ELi2ELin1ELNS0_23CUDAHistogramMemoryTypeE0EZNS0_21CUDA_tensor_histogramIlaLb0EEEbNS_6TensorES4_S4_lNS_14AccumulateTypeIT0_Lb1EE4typeES8_NS0_13TensorArgTypeES9_S9_EUllE0_EEvNS0_6detail10TensorInfoIT_T1_EESF_NSC_IKS6_SE_EElS8_S8_SE_T6_
		.amdhsa_group_segment_fixed_size 0
		.amdhsa_private_segment_fixed_size 0
		.amdhsa_kernarg_size 1544
		.amdhsa_user_sgpr_count 2
		.amdhsa_user_sgpr_dispatch_ptr 0
		.amdhsa_user_sgpr_queue_ptr 0
		.amdhsa_user_sgpr_kernarg_segment_ptr 1
		.amdhsa_user_sgpr_dispatch_id 0
		.amdhsa_user_sgpr_kernarg_preload_length 0
		.amdhsa_user_sgpr_kernarg_preload_offset 0
		.amdhsa_user_sgpr_private_segment_size 0
		.amdhsa_wavefront_size32 1
		.amdhsa_uses_dynamic_stack 0
		.amdhsa_enable_private_segment 0
		.amdhsa_system_sgpr_workgroup_id_x 1
		.amdhsa_system_sgpr_workgroup_id_y 0
		.amdhsa_system_sgpr_workgroup_id_z 0
		.amdhsa_system_sgpr_workgroup_info 0
		.amdhsa_system_vgpr_workitem_id 0
		.amdhsa_next_free_vgpr 32
		.amdhsa_next_free_sgpr 53
		.amdhsa_named_barrier_count 0
		.amdhsa_reserve_vcc 1
		.amdhsa_float_round_mode_32 0
		.amdhsa_float_round_mode_16_64 0
		.amdhsa_float_denorm_mode_32 3
		.amdhsa_float_denorm_mode_16_64 3
		.amdhsa_fp16_overflow 0
		.amdhsa_memory_ordered 1
		.amdhsa_forward_progress 1
		.amdhsa_inst_pref_size 19
		.amdhsa_round_robin_scheduling 0
		.amdhsa_exception_fp_ieee_invalid_op 0
		.amdhsa_exception_fp_denorm_src 0
		.amdhsa_exception_fp_ieee_div_zero 0
		.amdhsa_exception_fp_ieee_overflow 0
		.amdhsa_exception_fp_ieee_underflow 0
		.amdhsa_exception_fp_ieee_inexact 0
		.amdhsa_exception_int_div_zero 0
	.end_amdhsa_kernel
	.section	.text._ZN2at4cuda17kernelHistogram1DIlalLi1ELi2ELin1ELNS0_23CUDAHistogramMemoryTypeE0EZNS0_21CUDA_tensor_histogramIlaLb0EEEbNS_6TensorES4_S4_lNS_14AccumulateTypeIT0_Lb1EE4typeES8_NS0_13TensorArgTypeES9_S9_EUllE0_EEvNS0_6detail10TensorInfoIT_T1_EESF_NSC_IKS6_SE_EElS8_S8_SE_T6_,"axG",@progbits,_ZN2at4cuda17kernelHistogram1DIlalLi1ELi2ELin1ELNS0_23CUDAHistogramMemoryTypeE0EZNS0_21CUDA_tensor_histogramIlaLb0EEEbNS_6TensorES4_S4_lNS_14AccumulateTypeIT0_Lb1EE4typeES8_NS0_13TensorArgTypeES9_S9_EUllE0_EEvNS0_6detail10TensorInfoIT_T1_EESF_NSC_IKS6_SE_EElS8_S8_SE_T6_,comdat
.Lfunc_end18:
	.size	_ZN2at4cuda17kernelHistogram1DIlalLi1ELi2ELin1ELNS0_23CUDAHistogramMemoryTypeE0EZNS0_21CUDA_tensor_histogramIlaLb0EEEbNS_6TensorES4_S4_lNS_14AccumulateTypeIT0_Lb1EE4typeES8_NS0_13TensorArgTypeES9_S9_EUllE0_EEvNS0_6detail10TensorInfoIT_T1_EESF_NSC_IKS6_SE_EElS8_S8_SE_T6_, .Lfunc_end18-_ZN2at4cuda17kernelHistogram1DIlalLi1ELi2ELin1ELNS0_23CUDAHistogramMemoryTypeE0EZNS0_21CUDA_tensor_histogramIlaLb0EEEbNS_6TensorES4_S4_lNS_14AccumulateTypeIT0_Lb1EE4typeES8_NS0_13TensorArgTypeES9_S9_EUllE0_EEvNS0_6detail10TensorInfoIT_T1_EESF_NSC_IKS6_SE_EElS8_S8_SE_T6_
                                        ; -- End function
	.set _ZN2at4cuda17kernelHistogram1DIlalLi1ELi2ELin1ELNS0_23CUDAHistogramMemoryTypeE0EZNS0_21CUDA_tensor_histogramIlaLb0EEEbNS_6TensorES4_S4_lNS_14AccumulateTypeIT0_Lb1EE4typeES8_NS0_13TensorArgTypeES9_S9_EUllE0_EEvNS0_6detail10TensorInfoIT_T1_EESF_NSC_IKS6_SE_EElS8_S8_SE_T6_.num_vgpr, 32
	.set _ZN2at4cuda17kernelHistogram1DIlalLi1ELi2ELin1ELNS0_23CUDAHistogramMemoryTypeE0EZNS0_21CUDA_tensor_histogramIlaLb0EEEbNS_6TensorES4_S4_lNS_14AccumulateTypeIT0_Lb1EE4typeES8_NS0_13TensorArgTypeES9_S9_EUllE0_EEvNS0_6detail10TensorInfoIT_T1_EESF_NSC_IKS6_SE_EElS8_S8_SE_T6_.num_agpr, 0
	.set _ZN2at4cuda17kernelHistogram1DIlalLi1ELi2ELin1ELNS0_23CUDAHistogramMemoryTypeE0EZNS0_21CUDA_tensor_histogramIlaLb0EEEbNS_6TensorES4_S4_lNS_14AccumulateTypeIT0_Lb1EE4typeES8_NS0_13TensorArgTypeES9_S9_EUllE0_EEvNS0_6detail10TensorInfoIT_T1_EESF_NSC_IKS6_SE_EElS8_S8_SE_T6_.numbered_sgpr, 53
	.set _ZN2at4cuda17kernelHistogram1DIlalLi1ELi2ELin1ELNS0_23CUDAHistogramMemoryTypeE0EZNS0_21CUDA_tensor_histogramIlaLb0EEEbNS_6TensorES4_S4_lNS_14AccumulateTypeIT0_Lb1EE4typeES8_NS0_13TensorArgTypeES9_S9_EUllE0_EEvNS0_6detail10TensorInfoIT_T1_EESF_NSC_IKS6_SE_EElS8_S8_SE_T6_.num_named_barrier, 0
	.set _ZN2at4cuda17kernelHistogram1DIlalLi1ELi2ELin1ELNS0_23CUDAHistogramMemoryTypeE0EZNS0_21CUDA_tensor_histogramIlaLb0EEEbNS_6TensorES4_S4_lNS_14AccumulateTypeIT0_Lb1EE4typeES8_NS0_13TensorArgTypeES9_S9_EUllE0_EEvNS0_6detail10TensorInfoIT_T1_EESF_NSC_IKS6_SE_EElS8_S8_SE_T6_.private_seg_size, 0
	.set _ZN2at4cuda17kernelHistogram1DIlalLi1ELi2ELin1ELNS0_23CUDAHistogramMemoryTypeE0EZNS0_21CUDA_tensor_histogramIlaLb0EEEbNS_6TensorES4_S4_lNS_14AccumulateTypeIT0_Lb1EE4typeES8_NS0_13TensorArgTypeES9_S9_EUllE0_EEvNS0_6detail10TensorInfoIT_T1_EESF_NSC_IKS6_SE_EElS8_S8_SE_T6_.uses_vcc, 1
	.set _ZN2at4cuda17kernelHistogram1DIlalLi1ELi2ELin1ELNS0_23CUDAHistogramMemoryTypeE0EZNS0_21CUDA_tensor_histogramIlaLb0EEEbNS_6TensorES4_S4_lNS_14AccumulateTypeIT0_Lb1EE4typeES8_NS0_13TensorArgTypeES9_S9_EUllE0_EEvNS0_6detail10TensorInfoIT_T1_EESF_NSC_IKS6_SE_EElS8_S8_SE_T6_.uses_flat_scratch, 0
	.set _ZN2at4cuda17kernelHistogram1DIlalLi1ELi2ELin1ELNS0_23CUDAHistogramMemoryTypeE0EZNS0_21CUDA_tensor_histogramIlaLb0EEEbNS_6TensorES4_S4_lNS_14AccumulateTypeIT0_Lb1EE4typeES8_NS0_13TensorArgTypeES9_S9_EUllE0_EEvNS0_6detail10TensorInfoIT_T1_EESF_NSC_IKS6_SE_EElS8_S8_SE_T6_.has_dyn_sized_stack, 0
	.set _ZN2at4cuda17kernelHistogram1DIlalLi1ELi2ELin1ELNS0_23CUDAHistogramMemoryTypeE0EZNS0_21CUDA_tensor_histogramIlaLb0EEEbNS_6TensorES4_S4_lNS_14AccumulateTypeIT0_Lb1EE4typeES8_NS0_13TensorArgTypeES9_S9_EUllE0_EEvNS0_6detail10TensorInfoIT_T1_EESF_NSC_IKS6_SE_EElS8_S8_SE_T6_.has_recursion, 0
	.set _ZN2at4cuda17kernelHistogram1DIlalLi1ELi2ELin1ELNS0_23CUDAHistogramMemoryTypeE0EZNS0_21CUDA_tensor_histogramIlaLb0EEEbNS_6TensorES4_S4_lNS_14AccumulateTypeIT0_Lb1EE4typeES8_NS0_13TensorArgTypeES9_S9_EUllE0_EEvNS0_6detail10TensorInfoIT_T1_EESF_NSC_IKS6_SE_EElS8_S8_SE_T6_.has_indirect_call, 0
	.section	.AMDGPU.csdata,"",@progbits
; Kernel info:
; codeLenInByte = 2368
; TotalNumSgprs: 55
; NumVgprs: 32
; ScratchSize: 0
; MemoryBound: 0
; FloatMode: 240
; IeeeMode: 1
; LDSByteSize: 0 bytes/workgroup (compile time only)
; SGPRBlocks: 0
; VGPRBlocks: 1
; NumSGPRsForWavesPerEU: 55
; NumVGPRsForWavesPerEU: 32
; NamedBarCnt: 0
; Occupancy: 16
; WaveLimiterHint : 1
; COMPUTE_PGM_RSRC2:SCRATCH_EN: 0
; COMPUTE_PGM_RSRC2:USER_SGPR: 2
; COMPUTE_PGM_RSRC2:TRAP_HANDLER: 0
; COMPUTE_PGM_RSRC2:TGID_X_EN: 1
; COMPUTE_PGM_RSRC2:TGID_Y_EN: 0
; COMPUTE_PGM_RSRC2:TGID_Z_EN: 0
; COMPUTE_PGM_RSRC2:TIDIG_COMP_CNT: 0
	.section	.text._ZN2at4cuda17kernelHistogram1DIlalLi1ELi2ELin1ELNS0_23CUDAHistogramMemoryTypeE1EZNS0_21CUDA_tensor_histogramIlaLb0EEEbNS_6TensorES4_S4_lNS_14AccumulateTypeIT0_Lb1EE4typeES8_NS0_13TensorArgTypeES9_S9_EUllE0_EEvNS0_6detail10TensorInfoIT_T1_EESF_NSC_IKS6_SE_EElS8_S8_SE_T6_,"axG",@progbits,_ZN2at4cuda17kernelHistogram1DIlalLi1ELi2ELin1ELNS0_23CUDAHistogramMemoryTypeE1EZNS0_21CUDA_tensor_histogramIlaLb0EEEbNS_6TensorES4_S4_lNS_14AccumulateTypeIT0_Lb1EE4typeES8_NS0_13TensorArgTypeES9_S9_EUllE0_EEvNS0_6detail10TensorInfoIT_T1_EESF_NSC_IKS6_SE_EElS8_S8_SE_T6_,comdat
	.protected	_ZN2at4cuda17kernelHistogram1DIlalLi1ELi2ELin1ELNS0_23CUDAHistogramMemoryTypeE1EZNS0_21CUDA_tensor_histogramIlaLb0EEEbNS_6TensorES4_S4_lNS_14AccumulateTypeIT0_Lb1EE4typeES8_NS0_13TensorArgTypeES9_S9_EUllE0_EEvNS0_6detail10TensorInfoIT_T1_EESF_NSC_IKS6_SE_EElS8_S8_SE_T6_ ; -- Begin function _ZN2at4cuda17kernelHistogram1DIlalLi1ELi2ELin1ELNS0_23CUDAHistogramMemoryTypeE1EZNS0_21CUDA_tensor_histogramIlaLb0EEEbNS_6TensorES4_S4_lNS_14AccumulateTypeIT0_Lb1EE4typeES8_NS0_13TensorArgTypeES9_S9_EUllE0_EEvNS0_6detail10TensorInfoIT_T1_EESF_NSC_IKS6_SE_EElS8_S8_SE_T6_
	.globl	_ZN2at4cuda17kernelHistogram1DIlalLi1ELi2ELin1ELNS0_23CUDAHistogramMemoryTypeE1EZNS0_21CUDA_tensor_histogramIlaLb0EEEbNS_6TensorES4_S4_lNS_14AccumulateTypeIT0_Lb1EE4typeES8_NS0_13TensorArgTypeES9_S9_EUllE0_EEvNS0_6detail10TensorInfoIT_T1_EESF_NSC_IKS6_SE_EElS8_S8_SE_T6_
	.p2align	8
	.type	_ZN2at4cuda17kernelHistogram1DIlalLi1ELi2ELin1ELNS0_23CUDAHistogramMemoryTypeE1EZNS0_21CUDA_tensor_histogramIlaLb0EEEbNS_6TensorES4_S4_lNS_14AccumulateTypeIT0_Lb1EE4typeES8_NS0_13TensorArgTypeES9_S9_EUllE0_EEvNS0_6detail10TensorInfoIT_T1_EESF_NSC_IKS6_SE_EElS8_S8_SE_T6_,@function
_ZN2at4cuda17kernelHistogram1DIlalLi1ELi2ELin1ELNS0_23CUDAHistogramMemoryTypeE1EZNS0_21CUDA_tensor_histogramIlaLb0EEEbNS_6TensorES4_S4_lNS_14AccumulateTypeIT0_Lb1EE4typeES8_NS0_13TensorArgTypeES9_S9_EUllE0_EEvNS0_6detail10TensorInfoIT_T1_EESF_NSC_IKS6_SE_EElS8_S8_SE_T6_: ; @_ZN2at4cuda17kernelHistogram1DIlalLi1ELi2ELin1ELNS0_23CUDAHistogramMemoryTypeE1EZNS0_21CUDA_tensor_histogramIlaLb0EEEbNS_6TensorES4_S4_lNS_14AccumulateTypeIT0_Lb1EE4typeES8_NS0_13TensorArgTypeES9_S9_EUllE0_EEvNS0_6detail10TensorInfoIT_T1_EESF_NSC_IKS6_SE_EElS8_S8_SE_T6_
; %bb.0:
	s_load_b32 s2, s[0:1], 0x514
	s_bfe_u32 s12, ttmp6, 0x4000c
	s_load_b256 s[4:11], s[0:1], 0x4e0
	s_add_co_i32 s12, s12, 1
	s_and_b32 s3, ttmp6, 15
	s_mul_i32 s12, ttmp9, s12
	s_getreg_b32 s13, hwreg(HW_REG_IB_STS2, 6, 4)
	s_add_co_i32 s3, s3, s12
	v_mov_b32_e32 v2, 0
	s_mov_b32 s12, exec_lo
	s_delay_alu instid0(VALU_DEP_1) | instskip(SKIP_4) | instid1(SALU_CYCLE_1)
	v_mov_b32_e32 v1, v2
	s_wait_kmcnt 0x0
	s_and_b32 s2, s2, 0xffff
	s_cmp_eq_u32 s13, 0
	s_cselect_b32 s3, ttmp9, s3
	v_mad_u32 v0, s3, s2, v0
	s_mov_b32 s3, 0
	s_delay_alu instid0(VALU_DEP_1)
	v_cmpx_gt_i64_e64 s[10:11], v[0:1]
	s_cbranch_execz .LBB19_16
; %bb.1:
	s_load_b32 s28, s[0:1], 0x4d8
	s_add_nc_u64 s[20:21], s[0:1], 0x508
	s_load_b32 s22, s[20:21], 0x0
	s_clause 0x3
	s_load_b64 s[12:13], s[0:1], 0x0
	s_load_b64 s[14:15], s[0:1], 0xd0
	;; [unrolled: 1-line block ×4, first 2 shown]
	s_add_nc_u64 s[26:27], s[0:1], 0x340
	v_mov_b64_e32 v[4:5], 1
	s_wait_xcnt 0x0
	s_sub_nc_u64 s[20:21], s[8:9], s[6:7]
	s_mov_b32 s23, s3
	s_mov_b64 s[24:25], 0xffffffff
	s_mov_b32 s40, 0
	s_wait_kmcnt 0x0
	s_mul_i32 s22, s22, s2
	s_cmp_gt_i32 s28, 1
	s_cselect_b32 s1, -1, 0
	s_add_co_i32 s2, s28, -1
	s_add_co_i32 s33, s28, 1
	s_lshl_b64 s[28:29], s[2:3], 3
	s_delay_alu instid0(SALU_CYCLE_1)
	s_add_nc_u64 s[28:29], s[26:27], s[28:29]
	s_ashr_i32 s26, s21, 31
	s_add_nc_u64 s[28:29], s[28:29], 8
	s_branch .LBB19_4
.LBB19_2:                               ;   in Loop: Header=BB19_4 Depth=1
	s_or_b32 exec_lo, exec_lo, s0
	s_delay_alu instid0(VALU_DEP_1) | instskip(NEXT) | instid1(VALU_DEP_1)
	v_dual_ashrrev_i32 v9, 31, v8 :: v_dual_mov_b32 v7, s3
	v_cmp_eq_u64_e32 vcc_lo, s[4:5], v[8:9]
	v_cndmask_b32_e64 v6, 0, 1, vcc_lo
	s_delay_alu instid0(VALU_DEP_1) | instskip(NEXT) | instid1(VALU_DEP_1)
	v_sub_nc_u64_e32 v[6:7], v[8:9], v[6:7]
	v_mul_u64_e32 v[6:7], s[14:15], v[6:7]
	s_delay_alu instid0(VALU_DEP_1)
	v_lshl_add_u64 v[6:7], v[6:7], 3, s[12:13]
	global_atomic_add_u64 v[6:7], v[4:5], off scope:SCOPE_SYS
.LBB19_3:                               ;   in Loop: Header=BB19_4 Depth=1
	s_wait_xcnt 0x0
	s_or_b32 exec_lo, exec_lo, s34
	v_add_nc_u64_e32 v[0:1], s[22:23], v[0:1]
	s_delay_alu instid0(VALU_DEP_1) | instskip(SKIP_1) | instid1(SALU_CYCLE_1)
	v_cmp_le_i64_e32 vcc_lo, s[10:11], v[0:1]
	s_or_b32 s40, vcc_lo, s40
	s_and_not1_b32 exec_lo, exec_lo, s40
	s_cbranch_execz .LBB19_16
.LBB19_4:                               ; =>This Loop Header: Depth=1
                                        ;     Child Loop BB19_5 Depth 2
	v_mov_b64_e32 v[6:7], 0
	v_mov_b64_e32 v[8:9], v[0:1]
	;; [unrolled: 1-line block ×3, first 2 shown]
	s_and_not1_b32 vcc_lo, exec_lo, s1
	s_mov_b64 s[30:31], s[28:29]
	s_mov_b32 s27, s33
	s_cbranch_vccnz .LBB19_11
.LBB19_5:                               ;   Parent Loop BB19_4 Depth=1
                                        ; =>  This Inner Loop Header: Depth=2
	s_load_b64 s[34:35], s[30:31], 0x0
                                        ; implicit-def: $vgpr10_vgpr11
	s_mov_b32 s0, exec_lo
	s_wait_kmcnt 0x0
	s_delay_alu instid0(VALU_DEP_1) | instskip(NEXT) | instid1(VALU_DEP_1)
	v_or_b32_e32 v3, s35, v9
	v_cmpx_ne_u64_e32 0, v[2:3]
	s_xor_b32 s41, exec_lo, s0
	s_cbranch_execz .LBB19_7
; %bb.6:                                ;   in Loop: Header=BB19_5 Depth=2
	s_ashr_i32 s36, s35, 31
	v_dual_mov_b32 v15, v2 :: v_dual_ashrrev_i32 v10, 31, v9
	s_mov_b32 s37, s36
	v_mov_b32_e32 v23, v2
	s_add_nc_u64 s[38:39], s[34:35], s[36:37]
	s_delay_alu instid0(VALU_DEP_2) | instskip(SKIP_1) | instid1(SALU_CYCLE_1)
	v_mov_b32_e32 v11, v10
	s_xor_b64 s[38:39], s[38:39], s[36:37]
	s_cvt_f32_u32 s0, s38
	s_cvt_f32_u32 s2, s39
	s_sub_nc_u64 s[44:45], 0, s[38:39]
	v_add_nc_u64_e32 v[12:13], v[8:9], v[10:11]
	v_mov_b32_e32 v19, v2
	s_fmamk_f32 s0, s2, 0x4f800000, s0
	s_delay_alu instid0(SALU_CYCLE_3) | instskip(NEXT) | instid1(VALU_DEP_2)
	v_s_rcp_f32 s0, s0
	v_xor_b32_e32 v14, v12, v10
	s_delay_alu instid0(VALU_DEP_3) | instskip(NEXT) | instid1(TRANS32_DEP_1)
	v_xor_b32_e32 v18, v13, v10
	s_mul_f32 s0, s0, 0x5f7ffffc
	s_delay_alu instid0(SALU_CYCLE_3) | instskip(NEXT) | instid1(SALU_CYCLE_3)
	s_mul_f32 s2, s0, 0x2f800000
	s_trunc_f32 s2, s2
	s_delay_alu instid0(SALU_CYCLE_3) | instskip(SKIP_1) | instid1(SALU_CYCLE_2)
	s_fmamk_f32 s0, s2, 0xcf800000, s0
	s_cvt_u32_f32 s43, s2
	s_cvt_u32_f32 s42, s0
	s_delay_alu instid0(SALU_CYCLE_3) | instskip(NEXT) | instid1(SALU_CYCLE_1)
	s_mul_u64 s[46:47], s[44:45], s[42:43]
	s_mul_hi_u32 s49, s42, s47
	s_mul_i32 s48, s42, s47
	s_mul_hi_u32 s2, s42, s46
	s_mul_i32 s37, s43, s46
	s_add_nc_u64 s[48:49], s[2:3], s[48:49]
	s_mul_hi_u32 s0, s43, s46
	s_mul_hi_u32 s50, s43, s47
	s_add_co_u32 s2, s48, s37
	s_add_co_ci_u32 s2, s49, s0
	s_mul_i32 s46, s43, s47
	s_add_co_ci_u32 s47, s50, 0
	s_delay_alu instid0(SALU_CYCLE_1) | instskip(NEXT) | instid1(SALU_CYCLE_1)
	s_add_nc_u64 s[46:47], s[2:3], s[46:47]
	s_add_co_u32 s42, s42, s46
	s_cselect_b32 s0, -1, 0
	s_delay_alu instid0(SALU_CYCLE_1) | instskip(SKIP_1) | instid1(SALU_CYCLE_1)
	s_cmp_lg_u32 s0, 0
	s_add_co_ci_u32 s43, s43, s47
	s_mul_u64 s[44:45], s[44:45], s[42:43]
	s_delay_alu instid0(SALU_CYCLE_1)
	s_mul_hi_u32 s47, s42, s45
	s_mul_i32 s46, s42, s45
	s_mul_hi_u32 s2, s42, s44
	s_mul_i32 s37, s43, s44
	s_add_nc_u64 s[46:47], s[2:3], s[46:47]
	s_mul_hi_u32 s0, s43, s44
	s_mul_hi_u32 s48, s43, s45
	s_add_co_u32 s2, s46, s37
	s_add_co_ci_u32 s2, s47, s0
	s_mul_i32 s44, s43, s45
	s_add_co_ci_u32 s45, s48, 0
	s_delay_alu instid0(SALU_CYCLE_1) | instskip(NEXT) | instid1(SALU_CYCLE_1)
	s_add_nc_u64 s[44:45], s[2:3], s[44:45]
	s_add_co_u32 s0, s42, s44
	s_cselect_b32 s2, -1, 0
	v_mul_hi_u32 v22, v14, s0
	s_cmp_lg_u32 s2, 0
	s_add_co_ci_u32 s2, s43, s45
	s_and_b64 s[42:43], s[0:1], s[24:25]
	v_mul_u64_e32 v[16:17], s[2:3], v[14:15]
	v_mul_u64_e32 v[12:13], s[42:43], v[18:19]
	;; [unrolled: 1-line block ×3, first 2 shown]
	s_delay_alu instid0(VALU_DEP_3) | instskip(NEXT) | instid1(VALU_DEP_1)
	v_add_nc_u64_e32 v[16:17], v[22:23], v[16:17]
	v_add_co_u32 v3, vcc_lo, v16, v12
	s_delay_alu instid0(VALU_DEP_2) | instskip(NEXT) | instid1(VALU_DEP_4)
	v_add_co_ci_u32_e32 v22, vcc_lo, v17, v13, vcc_lo
	v_add_co_ci_u32_e32 v21, vcc_lo, 0, v21, vcc_lo
	s_delay_alu instid0(VALU_DEP_1) | instskip(NEXT) | instid1(VALU_DEP_1)
	v_add_nc_u64_e32 v[12:13], v[22:23], v[20:21]
	v_mul_u64_e32 v[16:17], s[38:39], v[12:13]
	s_delay_alu instid0(VALU_DEP_1) | instskip(NEXT) | instid1(VALU_DEP_2)
	v_sub_nc_u32_e32 v3, v18, v17
	v_sub_co_u32 v11, vcc_lo, v14, v16
	s_delay_alu instid0(VALU_DEP_1) | instskip(NEXT) | instid1(VALU_DEP_3)
	v_sub_co_ci_u32_e64 v18, null, v18, v17, vcc_lo
	v_subrev_co_ci_u32_e64 v3, null, s39, v3, vcc_lo
	s_delay_alu instid0(VALU_DEP_3) | instskip(SKIP_1) | instid1(VALU_DEP_3)
	v_sub_co_u32 v14, s0, v11, s38
	v_add_nc_u64_e32 v[16:17], 1, v[12:13]
	v_subrev_co_ci_u32_e64 v3, null, 0, v3, s0
	s_delay_alu instid0(VALU_DEP_3) | instskip(SKIP_1) | instid1(VALU_DEP_3)
	v_cmp_le_u32_e32 vcc_lo, s38, v14
	v_cndmask_b32_e64 v14, 0, -1, vcc_lo
	v_cmp_le_u32_e32 vcc_lo, s39, v3
	v_cndmask_b32_e64 v15, 0, -1, vcc_lo
	;; [unrolled: 2-line block ×4, first 2 shown]
	v_cmp_eq_u32_e32 vcc_lo, s39, v3
	v_cndmask_b32_e32 v3, v15, v14, vcc_lo
	v_cmp_eq_u32_e32 vcc_lo, s39, v18
	v_add_nc_u64_e32 v[14:15], 2, v[12:13]
	v_cndmask_b32_e32 v11, v19, v11, vcc_lo
	s_delay_alu instid0(VALU_DEP_4) | instskip(NEXT) | instid1(VALU_DEP_2)
	v_cmp_ne_u32_e32 vcc_lo, 0, v3
	v_cmp_ne_u32_e64 s0, 0, v11
	s_delay_alu instid0(VALU_DEP_4) | instskip(NEXT) | instid1(VALU_DEP_1)
	v_dual_cndmask_b32 v3, v17, v15, vcc_lo :: v_dual_cndmask_b32 v11, v16, v14, vcc_lo
	v_dual_cndmask_b32 v3, v13, v3, s0 :: v_dual_bitop2_b32 v10, s36, v10 bitop3:0x14
	s_delay_alu instid0(VALU_DEP_1) | instskip(NEXT) | instid1(VALU_DEP_2)
	v_dual_cndmask_b32 v12, v12, v11, s0 :: v_dual_mov_b32 v11, v10
	v_xor_b32_e32 v13, v3, v10
	s_delay_alu instid0(VALU_DEP_2) | instskip(NEXT) | instid1(VALU_DEP_1)
	v_xor_b32_e32 v12, v12, v10
	v_sub_nc_u64_e32 v[10:11], v[12:13], v[10:11]
.LBB19_7:                               ;   in Loop: Header=BB19_5 Depth=2
	s_and_not1_saveexec_b32 s0, s41
	s_cbranch_execz .LBB19_9
; %bb.8:                                ;   in Loop: Header=BB19_5 Depth=2
	v_cvt_f32_u32_e32 v3, s34
	s_sub_co_i32 s2, 0, s34
	s_delay_alu instid0(VALU_DEP_1) | instskip(SKIP_1) | instid1(TRANS32_DEP_1)
	v_rcp_iflag_f32_e32 v3, v3
	v_nop
	v_mul_f32_e32 v3, 0x4f7ffffe, v3
	s_delay_alu instid0(VALU_DEP_1) | instskip(NEXT) | instid1(VALU_DEP_1)
	v_cvt_u32_f32_e32 v3, v3
	v_mul_lo_u32 v10, s2, v3
	s_delay_alu instid0(VALU_DEP_1) | instskip(NEXT) | instid1(VALU_DEP_1)
	v_mul_hi_u32 v10, v3, v10
	v_add_nc_u32_e32 v3, v3, v10
	s_delay_alu instid0(VALU_DEP_1) | instskip(NEXT) | instid1(VALU_DEP_1)
	v_mul_hi_u32 v3, v8, v3
	v_mul_lo_u32 v10, v3, s34
	s_delay_alu instid0(VALU_DEP_1) | instskip(NEXT) | instid1(VALU_DEP_1)
	v_dual_add_nc_u32 v11, 1, v3 :: v_dual_sub_nc_u32 v10, v8, v10
	v_subrev_nc_u32_e32 v12, s34, v10
	v_cmp_le_u32_e32 vcc_lo, s34, v10
	s_delay_alu instid0(VALU_DEP_2) | instskip(NEXT) | instid1(VALU_DEP_1)
	v_dual_cndmask_b32 v10, v10, v12 :: v_dual_cndmask_b32 v3, v3, v11
	v_cmp_le_u32_e32 vcc_lo, s34, v10
	s_delay_alu instid0(VALU_DEP_2) | instskip(NEXT) | instid1(VALU_DEP_1)
	v_add_nc_u32_e32 v11, 1, v3
	v_dual_cndmask_b32 v10, v3, v11 :: v_dual_mov_b32 v11, v2
.LBB19_9:                               ;   in Loop: Header=BB19_5 Depth=2
	s_or_b32 exec_lo, exec_lo, s0
	s_delay_alu instid0(VALU_DEP_1)
	v_mul_u64_e32 v[12:13], s[34:35], v[10:11]
	s_load_b64 s[34:35], s[30:31], 0xc8
	s_add_co_i32 s27, s27, -1
	s_wait_xcnt 0x0
	s_add_nc_u64 s[30:31], s[30:31], -8
	s_cmp_gt_u32 s27, 2
	s_delay_alu instid0(VALU_DEP_1) | instskip(SKIP_1) | instid1(VALU_DEP_1)
	v_sub_nc_u64_e32 v[8:9], v[8:9], v[12:13]
	s_wait_kmcnt 0x0
	v_mad_nc_u64_u32 v[6:7], s34, v8, v[6:7]
	s_delay_alu instid0(VALU_DEP_1) | instskip(NEXT) | instid1(VALU_DEP_1)
	v_mad_u32 v3, s35, v8, v7
	v_mad_u32 v7, s34, v9, v3
	s_cbranch_scc0 .LBB19_11
; %bb.10:                               ;   in Loop: Header=BB19_5 Depth=2
	v_mov_b64_e32 v[8:9], v[10:11]
	s_branch .LBB19_5
.LBB19_11:                              ;   in Loop: Header=BB19_4 Depth=1
	s_delay_alu instid0(VALU_DEP_1) | instskip(NEXT) | instid1(VALU_DEP_1)
	v_mad_nc_u64_u32 v[8:9], s16, v10, s[18:19]
	v_mad_u32 v3, s17, v10, v9
	s_delay_alu instid0(VALU_DEP_1) | instskip(NEXT) | instid1(VALU_DEP_1)
	v_mad_u32 v9, s16, v11, v3
	v_add_nc_u64_e32 v[6:7], v[8:9], v[6:7]
	global_load_i8 v3, v[6:7], off
	s_wait_loadcnt 0x0
	s_wait_xcnt 0x0
	v_bfe_i32 v6, v3, 0, 16
	s_delay_alu instid0(VALU_DEP_1) | instskip(NEXT) | instid1(VALU_DEP_1)
	v_ashrrev_i32_e32 v7, 31, v6
	v_cmp_le_i64_e32 vcc_lo, s[6:7], v[6:7]
	v_cmp_ge_i64_e64 s0, s[8:9], v[6:7]
	s_and_b32 s0, vcc_lo, s0
	s_delay_alu instid0(SALU_CYCLE_1)
	s_and_saveexec_b32 s34, s0
	s_cbranch_execz .LBB19_3
; %bb.12:                               ;   in Loop: Header=BB19_4 Depth=1
	v_sub_nc_u64_e64 v[6:7], v[6:7], s[6:7]
                                        ; implicit-def: $vgpr8_vgpr9
	s_mov_b32 s0, exec_lo
	s_delay_alu instid0(VALU_DEP_1) | instskip(NEXT) | instid1(VALU_DEP_1)
	v_mul_u64_e32 v[6:7], s[4:5], v[6:7]
	v_or_b32_e32 v3, s21, v7
	s_delay_alu instid0(VALU_DEP_1)
	v_cmpx_ne_u64_e32 0, v[2:3]
	s_xor_b32 s35, exec_lo, s0
	s_cbranch_execz .LBB19_14
; %bb.13:                               ;   in Loop: Header=BB19_4 Depth=1
	s_mov_b32 s27, s26
	v_dual_mov_b32 v11, v2 :: v_dual_ashrrev_i32 v8, 31, v7
	s_add_nc_u64 s[30:31], s[20:21], s[26:27]
	v_mov_b32_e32 v19, v2
	s_xor_b64 s[30:31], s[30:31], s[26:27]
	s_delay_alu instid0(VALU_DEP_2) | instskip(SKIP_3) | instid1(VALU_DEP_1)
	v_mov_b32_e32 v9, v8
	s_cvt_f32_u32 s0, s30
	s_cvt_f32_u32 s2, s31
	s_sub_nc_u64 s[38:39], 0, s[30:31]
	v_add_nc_u64_e32 v[6:7], v[6:7], v[8:9]
	s_delay_alu instid0(SALU_CYCLE_1) | instskip(SKIP_1) | instid1(SALU_CYCLE_2)
	s_fmamk_f32 s0, s2, 0x4f800000, s0
	v_mov_b32_e32 v15, v2
	v_s_rcp_f32 s0, s0
	s_delay_alu instid0(VALU_DEP_2) | instskip(NEXT) | instid1(VALU_DEP_3)
	v_xor_b32_e32 v10, v6, v8
	v_xor_b32_e32 v14, v7, v8
	s_delay_alu instid0(TRANS32_DEP_1) | instskip(NEXT) | instid1(SALU_CYCLE_3)
	s_mul_f32 s0, s0, 0x5f7ffffc
	s_mul_f32 s2, s0, 0x2f800000
	s_delay_alu instid0(SALU_CYCLE_3) | instskip(NEXT) | instid1(SALU_CYCLE_3)
	s_trunc_f32 s2, s2
	s_fmamk_f32 s0, s2, 0xcf800000, s0
	s_cvt_u32_f32 s37, s2
	s_delay_alu instid0(SALU_CYCLE_2) | instskip(NEXT) | instid1(SALU_CYCLE_3)
	s_cvt_u32_f32 s36, s0
	s_mul_u64 s[42:43], s[38:39], s[36:37]
	s_delay_alu instid0(SALU_CYCLE_1)
	s_mul_hi_u32 s45, s36, s43
	s_mul_i32 s44, s36, s43
	s_mul_hi_u32 s2, s36, s42
	s_mul_i32 s27, s37, s42
	s_add_nc_u64 s[44:45], s[2:3], s[44:45]
	s_mul_hi_u32 s0, s37, s42
	s_mul_hi_u32 s41, s37, s43
	s_add_co_u32 s2, s44, s27
	s_add_co_ci_u32 s2, s45, s0
	s_mul_i32 s42, s37, s43
	s_add_co_ci_u32 s43, s41, 0
	s_delay_alu instid0(SALU_CYCLE_1) | instskip(NEXT) | instid1(SALU_CYCLE_1)
	s_add_nc_u64 s[42:43], s[2:3], s[42:43]
	s_add_co_u32 s36, s36, s42
	s_cselect_b32 s0, -1, 0
	s_delay_alu instid0(SALU_CYCLE_1) | instskip(SKIP_1) | instid1(SALU_CYCLE_1)
	s_cmp_lg_u32 s0, 0
	s_add_co_ci_u32 s37, s37, s43
	s_mul_u64 s[38:39], s[38:39], s[36:37]
	s_delay_alu instid0(SALU_CYCLE_1)
	s_mul_hi_u32 s43, s36, s39
	s_mul_i32 s42, s36, s39
	s_mul_hi_u32 s2, s36, s38
	s_mul_i32 s27, s37, s38
	s_add_nc_u64 s[42:43], s[2:3], s[42:43]
	s_mul_hi_u32 s0, s37, s38
	s_mul_hi_u32 s41, s37, s39
	s_add_co_u32 s2, s42, s27
	s_add_co_ci_u32 s2, s43, s0
	s_mul_i32 s38, s37, s39
	s_add_co_ci_u32 s39, s41, 0
	s_delay_alu instid0(SALU_CYCLE_1) | instskip(NEXT) | instid1(SALU_CYCLE_1)
	s_add_nc_u64 s[38:39], s[2:3], s[38:39]
	s_add_co_u32 s0, s36, s38
	s_cselect_b32 s2, -1, 0
	v_mul_hi_u32 v18, v10, s0
	s_cmp_lg_u32 s2, 0
	s_add_co_ci_u32 s2, s37, s39
	s_and_b64 s[36:37], s[0:1], s[24:25]
	v_mul_u64_e32 v[12:13], s[2:3], v[10:11]
	v_mul_u64_e32 v[6:7], s[36:37], v[14:15]
	;; [unrolled: 1-line block ×3, first 2 shown]
	s_delay_alu instid0(VALU_DEP_3) | instskip(NEXT) | instid1(VALU_DEP_1)
	v_add_nc_u64_e32 v[12:13], v[18:19], v[12:13]
	v_add_co_u32 v3, vcc_lo, v12, v6
	s_delay_alu instid0(VALU_DEP_2) | instskip(NEXT) | instid1(VALU_DEP_4)
	v_add_co_ci_u32_e32 v18, vcc_lo, v13, v7, vcc_lo
	v_add_co_ci_u32_e32 v17, vcc_lo, 0, v17, vcc_lo
	s_delay_alu instid0(VALU_DEP_1) | instskip(NEXT) | instid1(VALU_DEP_1)
	v_add_nc_u64_e32 v[6:7], v[18:19], v[16:17]
	v_mul_u64_e32 v[12:13], s[30:31], v[6:7]
	s_delay_alu instid0(VALU_DEP_1) | instskip(NEXT) | instid1(VALU_DEP_2)
	v_sub_nc_u32_e32 v3, v14, v13
	v_sub_co_u32 v9, vcc_lo, v10, v12
	s_delay_alu instid0(VALU_DEP_1) | instskip(NEXT) | instid1(VALU_DEP_3)
	v_sub_co_ci_u32_e64 v14, null, v14, v13, vcc_lo
	v_subrev_co_ci_u32_e64 v3, null, s31, v3, vcc_lo
	s_delay_alu instid0(VALU_DEP_3) | instskip(SKIP_1) | instid1(VALU_DEP_3)
	v_sub_co_u32 v10, s0, v9, s30
	v_add_nc_u64_e32 v[12:13], 1, v[6:7]
	v_subrev_co_ci_u32_e64 v3, null, 0, v3, s0
	s_delay_alu instid0(VALU_DEP_3) | instskip(SKIP_1) | instid1(VALU_DEP_3)
	v_cmp_le_u32_e32 vcc_lo, s30, v10
	v_cndmask_b32_e64 v10, 0, -1, vcc_lo
	v_cmp_le_u32_e32 vcc_lo, s31, v3
	v_cndmask_b32_e64 v11, 0, -1, vcc_lo
	;; [unrolled: 2-line block ×4, first 2 shown]
	v_cmp_eq_u32_e32 vcc_lo, s31, v3
	v_cndmask_b32_e32 v3, v11, v10, vcc_lo
	v_cmp_eq_u32_e32 vcc_lo, s31, v14
	v_add_nc_u64_e32 v[10:11], 2, v[6:7]
	v_cndmask_b32_e32 v9, v15, v9, vcc_lo
	s_delay_alu instid0(VALU_DEP_4) | instskip(NEXT) | instid1(VALU_DEP_3)
	v_cmp_ne_u32_e32 vcc_lo, 0, v3
	v_cndmask_b32_e32 v3, v13, v11, vcc_lo
	s_delay_alu instid0(VALU_DEP_3) | instskip(SKIP_1) | instid1(VALU_DEP_1)
	v_cmp_ne_u32_e64 s0, 0, v9
	v_dual_cndmask_b32 v9, v12, v10, vcc_lo :: v_dual_bitop2_b32 v8, s26, v8 bitop3:0x14
	v_dual_cndmask_b32 v3, v7, v3, s0 :: v_dual_cndmask_b32 v6, v6, v9, s0
	s_delay_alu instid0(VALU_DEP_1) | instskip(NEXT) | instid1(VALU_DEP_2)
	v_dual_mov_b32 v9, v8 :: v_dual_bitop2_b32 v7, v3, v8 bitop3:0x14
	v_xor_b32_e32 v6, v6, v8
	s_delay_alu instid0(VALU_DEP_1)
	v_sub_nc_u64_e32 v[8:9], v[6:7], v[8:9]
                                        ; implicit-def: $vgpr6_vgpr7
.LBB19_14:                              ;   in Loop: Header=BB19_4 Depth=1
	s_and_not1_saveexec_b32 s0, s35
	s_cbranch_execz .LBB19_2
; %bb.15:                               ;   in Loop: Header=BB19_4 Depth=1
	v_cvt_f32_u32_e32 v3, s20
	s_sub_co_i32 s2, 0, s20
	s_delay_alu instid0(VALU_DEP_1) | instskip(SKIP_1) | instid1(TRANS32_DEP_1)
	v_rcp_iflag_f32_e32 v3, v3
	v_nop
	v_mul_f32_e32 v3, 0x4f7ffffe, v3
	s_delay_alu instid0(VALU_DEP_1) | instskip(NEXT) | instid1(VALU_DEP_1)
	v_cvt_u32_f32_e32 v3, v3
	v_mul_lo_u32 v7, s2, v3
	s_delay_alu instid0(VALU_DEP_1) | instskip(NEXT) | instid1(VALU_DEP_1)
	v_mul_hi_u32 v7, v3, v7
	v_add_nc_u32_e32 v3, v3, v7
	s_delay_alu instid0(VALU_DEP_1) | instskip(NEXT) | instid1(VALU_DEP_1)
	v_mul_hi_u32 v3, v6, v3
	v_mul_lo_u32 v7, v3, s20
	s_delay_alu instid0(VALU_DEP_1) | instskip(SKIP_1) | instid1(VALU_DEP_2)
	v_sub_nc_u32_e32 v6, v6, v7
	v_add_nc_u32_e32 v7, 1, v3
	v_subrev_nc_u32_e32 v8, s20, v6
	v_cmp_le_u32_e32 vcc_lo, s20, v6
	s_delay_alu instid0(VALU_DEP_2) | instskip(NEXT) | instid1(VALU_DEP_1)
	v_dual_cndmask_b32 v6, v6, v8 :: v_dual_cndmask_b32 v3, v3, v7
	v_cmp_le_u32_e32 vcc_lo, s20, v6
	s_delay_alu instid0(VALU_DEP_2) | instskip(NEXT) | instid1(VALU_DEP_1)
	v_add_nc_u32_e32 v7, 1, v3
	v_cndmask_b32_e32 v8, v3, v7, vcc_lo
	s_branch .LBB19_2
.LBB19_16:
	s_endpgm
	.section	.rodata,"a",@progbits
	.p2align	6, 0x0
	.amdhsa_kernel _ZN2at4cuda17kernelHistogram1DIlalLi1ELi2ELin1ELNS0_23CUDAHistogramMemoryTypeE1EZNS0_21CUDA_tensor_histogramIlaLb0EEEbNS_6TensorES4_S4_lNS_14AccumulateTypeIT0_Lb1EE4typeES8_NS0_13TensorArgTypeES9_S9_EUllE0_EEvNS0_6detail10TensorInfoIT_T1_EESF_NSC_IKS6_SE_EElS8_S8_SE_T6_
		.amdhsa_group_segment_fixed_size 0
		.amdhsa_private_segment_fixed_size 0
		.amdhsa_kernarg_size 1544
		.amdhsa_user_sgpr_count 2
		.amdhsa_user_sgpr_dispatch_ptr 0
		.amdhsa_user_sgpr_queue_ptr 0
		.amdhsa_user_sgpr_kernarg_segment_ptr 1
		.amdhsa_user_sgpr_dispatch_id 0
		.amdhsa_user_sgpr_kernarg_preload_length 0
		.amdhsa_user_sgpr_kernarg_preload_offset 0
		.amdhsa_user_sgpr_private_segment_size 0
		.amdhsa_wavefront_size32 1
		.amdhsa_uses_dynamic_stack 0
		.amdhsa_enable_private_segment 0
		.amdhsa_system_sgpr_workgroup_id_x 1
		.amdhsa_system_sgpr_workgroup_id_y 0
		.amdhsa_system_sgpr_workgroup_id_z 0
		.amdhsa_system_sgpr_workgroup_info 0
		.amdhsa_system_vgpr_workitem_id 0
		.amdhsa_next_free_vgpr 24
		.amdhsa_next_free_sgpr 51
		.amdhsa_named_barrier_count 0
		.amdhsa_reserve_vcc 1
		.amdhsa_float_round_mode_32 0
		.amdhsa_float_round_mode_16_64 0
		.amdhsa_float_denorm_mode_32 3
		.amdhsa_float_denorm_mode_16_64 3
		.amdhsa_fp16_overflow 0
		.amdhsa_memory_ordered 1
		.amdhsa_forward_progress 1
		.amdhsa_inst_pref_size 17
		.amdhsa_round_robin_scheduling 0
		.amdhsa_exception_fp_ieee_invalid_op 0
		.amdhsa_exception_fp_denorm_src 0
		.amdhsa_exception_fp_ieee_div_zero 0
		.amdhsa_exception_fp_ieee_overflow 0
		.amdhsa_exception_fp_ieee_underflow 0
		.amdhsa_exception_fp_ieee_inexact 0
		.amdhsa_exception_int_div_zero 0
	.end_amdhsa_kernel
	.section	.text._ZN2at4cuda17kernelHistogram1DIlalLi1ELi2ELin1ELNS0_23CUDAHistogramMemoryTypeE1EZNS0_21CUDA_tensor_histogramIlaLb0EEEbNS_6TensorES4_S4_lNS_14AccumulateTypeIT0_Lb1EE4typeES8_NS0_13TensorArgTypeES9_S9_EUllE0_EEvNS0_6detail10TensorInfoIT_T1_EESF_NSC_IKS6_SE_EElS8_S8_SE_T6_,"axG",@progbits,_ZN2at4cuda17kernelHistogram1DIlalLi1ELi2ELin1ELNS0_23CUDAHistogramMemoryTypeE1EZNS0_21CUDA_tensor_histogramIlaLb0EEEbNS_6TensorES4_S4_lNS_14AccumulateTypeIT0_Lb1EE4typeES8_NS0_13TensorArgTypeES9_S9_EUllE0_EEvNS0_6detail10TensorInfoIT_T1_EESF_NSC_IKS6_SE_EElS8_S8_SE_T6_,comdat
.Lfunc_end19:
	.size	_ZN2at4cuda17kernelHistogram1DIlalLi1ELi2ELin1ELNS0_23CUDAHistogramMemoryTypeE1EZNS0_21CUDA_tensor_histogramIlaLb0EEEbNS_6TensorES4_S4_lNS_14AccumulateTypeIT0_Lb1EE4typeES8_NS0_13TensorArgTypeES9_S9_EUllE0_EEvNS0_6detail10TensorInfoIT_T1_EESF_NSC_IKS6_SE_EElS8_S8_SE_T6_, .Lfunc_end19-_ZN2at4cuda17kernelHistogram1DIlalLi1ELi2ELin1ELNS0_23CUDAHistogramMemoryTypeE1EZNS0_21CUDA_tensor_histogramIlaLb0EEEbNS_6TensorES4_S4_lNS_14AccumulateTypeIT0_Lb1EE4typeES8_NS0_13TensorArgTypeES9_S9_EUllE0_EEvNS0_6detail10TensorInfoIT_T1_EESF_NSC_IKS6_SE_EElS8_S8_SE_T6_
                                        ; -- End function
	.set _ZN2at4cuda17kernelHistogram1DIlalLi1ELi2ELin1ELNS0_23CUDAHistogramMemoryTypeE1EZNS0_21CUDA_tensor_histogramIlaLb0EEEbNS_6TensorES4_S4_lNS_14AccumulateTypeIT0_Lb1EE4typeES8_NS0_13TensorArgTypeES9_S9_EUllE0_EEvNS0_6detail10TensorInfoIT_T1_EESF_NSC_IKS6_SE_EElS8_S8_SE_T6_.num_vgpr, 24
	.set _ZN2at4cuda17kernelHistogram1DIlalLi1ELi2ELin1ELNS0_23CUDAHistogramMemoryTypeE1EZNS0_21CUDA_tensor_histogramIlaLb0EEEbNS_6TensorES4_S4_lNS_14AccumulateTypeIT0_Lb1EE4typeES8_NS0_13TensorArgTypeES9_S9_EUllE0_EEvNS0_6detail10TensorInfoIT_T1_EESF_NSC_IKS6_SE_EElS8_S8_SE_T6_.num_agpr, 0
	.set _ZN2at4cuda17kernelHistogram1DIlalLi1ELi2ELin1ELNS0_23CUDAHistogramMemoryTypeE1EZNS0_21CUDA_tensor_histogramIlaLb0EEEbNS_6TensorES4_S4_lNS_14AccumulateTypeIT0_Lb1EE4typeES8_NS0_13TensorArgTypeES9_S9_EUllE0_EEvNS0_6detail10TensorInfoIT_T1_EESF_NSC_IKS6_SE_EElS8_S8_SE_T6_.numbered_sgpr, 51
	.set _ZN2at4cuda17kernelHistogram1DIlalLi1ELi2ELin1ELNS0_23CUDAHistogramMemoryTypeE1EZNS0_21CUDA_tensor_histogramIlaLb0EEEbNS_6TensorES4_S4_lNS_14AccumulateTypeIT0_Lb1EE4typeES8_NS0_13TensorArgTypeES9_S9_EUllE0_EEvNS0_6detail10TensorInfoIT_T1_EESF_NSC_IKS6_SE_EElS8_S8_SE_T6_.num_named_barrier, 0
	.set _ZN2at4cuda17kernelHistogram1DIlalLi1ELi2ELin1ELNS0_23CUDAHistogramMemoryTypeE1EZNS0_21CUDA_tensor_histogramIlaLb0EEEbNS_6TensorES4_S4_lNS_14AccumulateTypeIT0_Lb1EE4typeES8_NS0_13TensorArgTypeES9_S9_EUllE0_EEvNS0_6detail10TensorInfoIT_T1_EESF_NSC_IKS6_SE_EElS8_S8_SE_T6_.private_seg_size, 0
	.set _ZN2at4cuda17kernelHistogram1DIlalLi1ELi2ELin1ELNS0_23CUDAHistogramMemoryTypeE1EZNS0_21CUDA_tensor_histogramIlaLb0EEEbNS_6TensorES4_S4_lNS_14AccumulateTypeIT0_Lb1EE4typeES8_NS0_13TensorArgTypeES9_S9_EUllE0_EEvNS0_6detail10TensorInfoIT_T1_EESF_NSC_IKS6_SE_EElS8_S8_SE_T6_.uses_vcc, 1
	.set _ZN2at4cuda17kernelHistogram1DIlalLi1ELi2ELin1ELNS0_23CUDAHistogramMemoryTypeE1EZNS0_21CUDA_tensor_histogramIlaLb0EEEbNS_6TensorES4_S4_lNS_14AccumulateTypeIT0_Lb1EE4typeES8_NS0_13TensorArgTypeES9_S9_EUllE0_EEvNS0_6detail10TensorInfoIT_T1_EESF_NSC_IKS6_SE_EElS8_S8_SE_T6_.uses_flat_scratch, 0
	.set _ZN2at4cuda17kernelHistogram1DIlalLi1ELi2ELin1ELNS0_23CUDAHistogramMemoryTypeE1EZNS0_21CUDA_tensor_histogramIlaLb0EEEbNS_6TensorES4_S4_lNS_14AccumulateTypeIT0_Lb1EE4typeES8_NS0_13TensorArgTypeES9_S9_EUllE0_EEvNS0_6detail10TensorInfoIT_T1_EESF_NSC_IKS6_SE_EElS8_S8_SE_T6_.has_dyn_sized_stack, 0
	.set _ZN2at4cuda17kernelHistogram1DIlalLi1ELi2ELin1ELNS0_23CUDAHistogramMemoryTypeE1EZNS0_21CUDA_tensor_histogramIlaLb0EEEbNS_6TensorES4_S4_lNS_14AccumulateTypeIT0_Lb1EE4typeES8_NS0_13TensorArgTypeES9_S9_EUllE0_EEvNS0_6detail10TensorInfoIT_T1_EESF_NSC_IKS6_SE_EElS8_S8_SE_T6_.has_recursion, 0
	.set _ZN2at4cuda17kernelHistogram1DIlalLi1ELi2ELin1ELNS0_23CUDAHistogramMemoryTypeE1EZNS0_21CUDA_tensor_histogramIlaLb0EEEbNS_6TensorES4_S4_lNS_14AccumulateTypeIT0_Lb1EE4typeES8_NS0_13TensorArgTypeES9_S9_EUllE0_EEvNS0_6detail10TensorInfoIT_T1_EESF_NSC_IKS6_SE_EElS8_S8_SE_T6_.has_indirect_call, 0
	.section	.AMDGPU.csdata,"",@progbits
; Kernel info:
; codeLenInByte = 2052
; TotalNumSgprs: 53
; NumVgprs: 24
; ScratchSize: 0
; MemoryBound: 0
; FloatMode: 240
; IeeeMode: 1
; LDSByteSize: 0 bytes/workgroup (compile time only)
; SGPRBlocks: 0
; VGPRBlocks: 1
; NumSGPRsForWavesPerEU: 53
; NumVGPRsForWavesPerEU: 24
; NamedBarCnt: 0
; Occupancy: 16
; WaveLimiterHint : 1
; COMPUTE_PGM_RSRC2:SCRATCH_EN: 0
; COMPUTE_PGM_RSRC2:USER_SGPR: 2
; COMPUTE_PGM_RSRC2:TRAP_HANDLER: 0
; COMPUTE_PGM_RSRC2:TGID_X_EN: 1
; COMPUTE_PGM_RSRC2:TGID_Y_EN: 0
; COMPUTE_PGM_RSRC2:TGID_Z_EN: 0
; COMPUTE_PGM_RSRC2:TIDIG_COMP_CNT: 0
	.section	.text._ZN2at4cuda17kernelHistogram1DIdalLi1ELi2ELin1ELNS0_23CUDAHistogramMemoryTypeE0EZNS0_21CUDA_tensor_histogramIdaLb1EEEbNS_6TensorES4_S4_lNS_14AccumulateTypeIT0_Lb1EE4typeES8_NS0_13TensorArgTypeES9_S9_EUllE_EEvNS0_6detail10TensorInfoIT_T1_EESF_NSC_IKS6_SE_EElS8_S8_SE_T6_,"axG",@progbits,_ZN2at4cuda17kernelHistogram1DIdalLi1ELi2ELin1ELNS0_23CUDAHistogramMemoryTypeE0EZNS0_21CUDA_tensor_histogramIdaLb1EEEbNS_6TensorES4_S4_lNS_14AccumulateTypeIT0_Lb1EE4typeES8_NS0_13TensorArgTypeES9_S9_EUllE_EEvNS0_6detail10TensorInfoIT_T1_EESF_NSC_IKS6_SE_EElS8_S8_SE_T6_,comdat
	.protected	_ZN2at4cuda17kernelHistogram1DIdalLi1ELi2ELin1ELNS0_23CUDAHistogramMemoryTypeE0EZNS0_21CUDA_tensor_histogramIdaLb1EEEbNS_6TensorES4_S4_lNS_14AccumulateTypeIT0_Lb1EE4typeES8_NS0_13TensorArgTypeES9_S9_EUllE_EEvNS0_6detail10TensorInfoIT_T1_EESF_NSC_IKS6_SE_EElS8_S8_SE_T6_ ; -- Begin function _ZN2at4cuda17kernelHistogram1DIdalLi1ELi2ELin1ELNS0_23CUDAHistogramMemoryTypeE0EZNS0_21CUDA_tensor_histogramIdaLb1EEEbNS_6TensorES4_S4_lNS_14AccumulateTypeIT0_Lb1EE4typeES8_NS0_13TensorArgTypeES9_S9_EUllE_EEvNS0_6detail10TensorInfoIT_T1_EESF_NSC_IKS6_SE_EElS8_S8_SE_T6_
	.globl	_ZN2at4cuda17kernelHistogram1DIdalLi1ELi2ELin1ELNS0_23CUDAHistogramMemoryTypeE0EZNS0_21CUDA_tensor_histogramIdaLb1EEEbNS_6TensorES4_S4_lNS_14AccumulateTypeIT0_Lb1EE4typeES8_NS0_13TensorArgTypeES9_S9_EUllE_EEvNS0_6detail10TensorInfoIT_T1_EESF_NSC_IKS6_SE_EElS8_S8_SE_T6_
	.p2align	8
	.type	_ZN2at4cuda17kernelHistogram1DIdalLi1ELi2ELin1ELNS0_23CUDAHistogramMemoryTypeE0EZNS0_21CUDA_tensor_histogramIdaLb1EEEbNS_6TensorES4_S4_lNS_14AccumulateTypeIT0_Lb1EE4typeES8_NS0_13TensorArgTypeES9_S9_EUllE_EEvNS0_6detail10TensorInfoIT_T1_EESF_NSC_IKS6_SE_EElS8_S8_SE_T6_,@function
_ZN2at4cuda17kernelHistogram1DIdalLi1ELi2ELin1ELNS0_23CUDAHistogramMemoryTypeE0EZNS0_21CUDA_tensor_histogramIdaLb1EEEbNS_6TensorES4_S4_lNS_14AccumulateTypeIT0_Lb1EE4typeES8_NS0_13TensorArgTypeES9_S9_EUllE_EEvNS0_6detail10TensorInfoIT_T1_EESF_NSC_IKS6_SE_EElS8_S8_SE_T6_: ; @_ZN2at4cuda17kernelHistogram1DIdalLi1ELi2ELin1ELNS0_23CUDAHistogramMemoryTypeE0EZNS0_21CUDA_tensor_histogramIdaLb1EEEbNS_6TensorES4_S4_lNS_14AccumulateTypeIT0_Lb1EE4typeES8_NS0_13TensorArgTypeES9_S9_EUllE_EEvNS0_6detail10TensorInfoIT_T1_EESF_NSC_IKS6_SE_EElS8_S8_SE_T6_
; %bb.0:
	s_clause 0x2
	s_load_b128 s[12:15], s[0:1], 0x0
	s_load_b64 s[16:17], s[0:1], 0x500
	s_load_b256 s[4:11], s[0:1], 0x4e0
	v_mov_b32_e32 v1, 0
	s_add_nc_u64 s[28:29], s[0:1], 0x6a0
	s_mov_b32 s3, exec_lo
                                        ; implicit-def: $sgpr18
                                        ; implicit-def: $sgpr19
	s_wait_kmcnt 0x0
	s_delay_alu instid0(VALU_DEP_1)
	v_cmp_gt_i64_e64 s2, s[14:15], v[0:1]
	v_cmpx_le_i64_e64 s[14:15], v[0:1]
	s_xor_b32 s3, exec_lo, s3
	s_cbranch_execz .LBB20_2
; %bb.1:
	s_load_b32 s18, s[28:29], 0xc
	s_wait_kmcnt 0x0
	s_and_b32 s19, s18, 0xffff
.LBB20_2:
	s_or_saveexec_b32 s3, s3
	v_dual_mov_b32 v16, s18 :: v_dual_mov_b32 v15, s19
	v_lshl_add_u32 v14, v0, 3, 0
	s_xor_b32 exec_lo, exec_lo, s3
	s_cbranch_execz .LBB20_6
; %bb.3:
	s_load_b32 s20, s[28:29], 0xc
	v_mov_b64_e32 v[2:3], 0
	v_mov_b64_e32 v[4:5], v[0:1]
	v_lshl_add_u32 v6, v0, 3, 0
	s_mov_b32 s19, 0
	s_delay_alu instid0(SALU_CYCLE_1) | instskip(SKIP_2) | instid1(SALU_CYCLE_1)
	s_mov_b32 s21, s19
	s_wait_kmcnt 0x0
	s_and_b32 s18, s20, 0xffff
	s_lshl_b32 s22, s18, 3
.LBB20_4:                               ; =>This Inner Loop Header: Depth=1
	v_add_nc_u64_e32 v[4:5], s[18:19], v[4:5]
	ds_store_b64 v6, v[2:3]
	v_add_nc_u32_e32 v6, s22, v6
	v_cmp_le_i64_e32 vcc_lo, s[14:15], v[4:5]
	s_or_b32 s21, vcc_lo, s21
	s_delay_alu instid0(SALU_CYCLE_1)
	s_and_not1_b32 exec_lo, exec_lo, s21
	s_cbranch_execnz .LBB20_4
; %bb.5:
	s_or_b32 exec_lo, exec_lo, s21
	v_dual_mov_b32 v16, s20 :: v_dual_mov_b32 v15, s18
.LBB20_6:
	s_or_b32 exec_lo, exec_lo, s3
	s_bfe_u32 s3, ttmp6, 0x4000c
	s_clause 0x1
	s_load_b64 s[18:19], s[0:1], 0xd0
	s_load_b64 s[20:21], s[0:1], 0x5d0
	s_add_co_i32 s3, s3, 1
	s_and_b32 s22, ttmp6, 15
	s_mul_i32 s3, ttmp9, s3
	s_getreg_b32 s23, hwreg(HW_REG_IB_STS2, 6, 4)
	s_add_co_i32 s22, s22, s3
	s_cmp_eq_u32 s23, 0
	v_mov_b32_e32 v4, 0
	s_cselect_b32 s3, ttmp9, s22
	s_mov_b32 s23, 0
	v_mad_u32 v2, s3, v15, v0
	s_mov_b32 s3, exec_lo
	v_mov_b32_e32 v3, v4
	s_wait_dscnt 0x0
	s_barrier_signal -1
	s_barrier_wait -1
	s_delay_alu instid0(VALU_DEP_1)
	v_cmpx_gt_i64_e64 s[10:11], v[2:3]
	s_cbranch_execz .LBB20_22
; %bb.7:
	s_load_b32 s33, s[0:1], 0x4d8
	s_load_b32 s22, s[28:29], 0x0
	s_clause 0x1
	s_load_b64 s[24:25], s[0:1], 0x410
	s_load_b64 s[26:27], s[0:1], 0x340
	s_add_nc_u64 s[34:35], s[0:1], 0x340
	v_mov_b32_e32 v7, v4
	s_wait_xcnt 0x0
	s_sub_nc_u64 s[28:29], s[8:9], s[6:7]
	s_mov_b64 s[30:31], 0xffffffff
	s_mov_b32 s46, 0
	s_wait_kmcnt 0x0
	s_cmp_gt_i32 s33, 1
	v_mul_lo_u32 v6, s22, v15
	s_cselect_b32 s1, -1, 0
	s_add_co_i32 s22, s33, -1
	s_add_co_i32 s33, s33, 1
	s_lshl_b64 s[36:37], s[22:23], 3
	s_delay_alu instid0(SALU_CYCLE_1)
	s_add_nc_u64 s[34:35], s[34:35], s[36:37]
	s_ashr_i32 s36, s29, 31
	s_add_nc_u64 s[34:35], s[34:35], 8
	s_branch .LBB20_10
.LBB20_8:                               ;   in Loop: Header=BB20_10 Depth=1
	s_or_b32 exec_lo, exec_lo, s0
	v_mul_u64_e32 v[8:9], s[20:21], v[2:3]
	s_delay_alu instid0(VALU_DEP_2) | instskip(NEXT) | instid1(VALU_DEP_1)
	v_ashrrev_i32_e32 v11, 31, v10
	v_cmp_eq_u64_e32 vcc_lo, s[4:5], v[10:11]
	v_subrev_co_ci_u32_e64 v5, null, 0, v10, vcc_lo
	s_delay_alu instid0(VALU_DEP_1)
	v_lshl_add_u32 v5, v5, 3, 0
	v_lshl_add_u64 v[8:9], v[8:9], 3, s[16:17]
	global_load_b64 v[8:9], v[8:9], off
	s_wait_loadcnt 0x0
	ds_add_f64 v5, v[8:9]
.LBB20_9:                               ;   in Loop: Header=BB20_10 Depth=1
	s_wait_xcnt 0x0
	s_or_b32 exec_lo, exec_lo, s40
	v_add_nc_u64_e32 v[2:3], v[2:3], v[6:7]
	s_delay_alu instid0(VALU_DEP_1) | instskip(SKIP_1) | instid1(SALU_CYCLE_1)
	v_cmp_le_i64_e32 vcc_lo, s[10:11], v[2:3]
	s_or_b32 s46, vcc_lo, s46
	s_and_not1_b32 exec_lo, exec_lo, s46
	s_cbranch_execz .LBB20_22
.LBB20_10:                              ; =>This Loop Header: Depth=1
                                        ;     Child Loop BB20_11 Depth 2
	v_mov_b64_e32 v[8:9], 0
	v_mov_b64_e32 v[10:11], v[2:3]
	;; [unrolled: 1-line block ×3, first 2 shown]
	s_and_not1_b32 vcc_lo, exec_lo, s1
	s_mov_b64 s[38:39], s[34:35]
	s_mov_b32 s37, s33
	s_cbranch_vccnz .LBB20_17
.LBB20_11:                              ;   Parent Loop BB20_10 Depth=1
                                        ; =>  This Inner Loop Header: Depth=2
	s_load_b64 s[40:41], s[38:39], 0x0
                                        ; implicit-def: $vgpr12_vgpr13
	s_mov_b32 s0, exec_lo
	s_wait_kmcnt 0x0
	s_delay_alu instid0(VALU_DEP_1) | instskip(NEXT) | instid1(VALU_DEP_1)
	v_or_b32_e32 v5, s41, v11
	v_cmpx_ne_u64_e32 0, v[4:5]
	s_xor_b32 s47, exec_lo, s0
	s_cbranch_execz .LBB20_13
; %bb.12:                               ;   in Loop: Header=BB20_11 Depth=2
	s_ashr_i32 s42, s41, 31
	v_dual_mov_b32 v21, v4 :: v_dual_ashrrev_i32 v12, 31, v11
	s_mov_b32 s43, s42
	v_mov_b32_e32 v29, v4
	s_add_nc_u64 s[44:45], s[40:41], s[42:43]
	s_delay_alu instid0(VALU_DEP_2) | instskip(SKIP_1) | instid1(SALU_CYCLE_1)
	v_mov_b32_e32 v13, v12
	s_xor_b64 s[44:45], s[44:45], s[42:43]
	s_cvt_f32_u32 s0, s44
	s_cvt_f32_u32 s22, s45
	s_sub_nc_u64 s[50:51], 0, s[44:45]
	v_add_nc_u64_e32 v[18:19], v[10:11], v[12:13]
	v_mov_b32_e32 v25, v4
	s_fmamk_f32 s0, s22, 0x4f800000, s0
	s_delay_alu instid0(SALU_CYCLE_3) | instskip(NEXT) | instid1(VALU_DEP_2)
	v_s_rcp_f32 s0, s0
	v_xor_b32_e32 v20, v18, v12
	s_delay_alu instid0(VALU_DEP_3) | instskip(SKIP_1) | instid1(TRANS32_DEP_1)
	v_xor_b32_e32 v24, v19, v12
	v_xor_b32_e32 v12, s42, v12
	s_mul_f32 s0, s0, 0x5f7ffffc
	s_delay_alu instid0(SALU_CYCLE_3) | instskip(NEXT) | instid1(SALU_CYCLE_3)
	s_mul_f32 s22, s0, 0x2f800000
	s_trunc_f32 s22, s22
	s_delay_alu instid0(SALU_CYCLE_3) | instskip(SKIP_1) | instid1(SALU_CYCLE_2)
	s_fmamk_f32 s0, s22, 0xcf800000, s0
	s_cvt_u32_f32 s49, s22
	s_cvt_u32_f32 s48, s0
	s_delay_alu instid0(SALU_CYCLE_3) | instskip(NEXT) | instid1(SALU_CYCLE_1)
	s_mul_u64 s[52:53], s[50:51], s[48:49]
	s_mul_hi_u32 s55, s48, s53
	s_mul_i32 s54, s48, s53
	s_mul_hi_u32 s22, s48, s52
	s_mul_i32 s43, s49, s52
	s_add_nc_u64 s[54:55], s[22:23], s[54:55]
	s_mul_hi_u32 s0, s49, s52
	s_mul_hi_u32 s56, s49, s53
	s_add_co_u32 s22, s54, s43
	s_add_co_ci_u32 s22, s55, s0
	s_mul_i32 s52, s49, s53
	s_add_co_ci_u32 s53, s56, 0
	s_delay_alu instid0(SALU_CYCLE_1) | instskip(NEXT) | instid1(SALU_CYCLE_1)
	s_add_nc_u64 s[52:53], s[22:23], s[52:53]
	s_add_co_u32 s48, s48, s52
	s_cselect_b32 s0, -1, 0
	s_delay_alu instid0(SALU_CYCLE_1) | instskip(SKIP_1) | instid1(SALU_CYCLE_1)
	s_cmp_lg_u32 s0, 0
	s_add_co_ci_u32 s49, s49, s53
	s_mul_u64 s[50:51], s[50:51], s[48:49]
	s_delay_alu instid0(SALU_CYCLE_1)
	s_mul_hi_u32 s53, s48, s51
	s_mul_i32 s52, s48, s51
	s_mul_hi_u32 s22, s48, s50
	s_mul_i32 s43, s49, s50
	s_add_nc_u64 s[52:53], s[22:23], s[52:53]
	s_mul_hi_u32 s0, s49, s50
	s_mul_hi_u32 s54, s49, s51
	s_add_co_u32 s22, s52, s43
	s_add_co_ci_u32 s22, s53, s0
	s_mul_i32 s50, s49, s51
	s_add_co_ci_u32 s51, s54, 0
	s_delay_alu instid0(SALU_CYCLE_1) | instskip(NEXT) | instid1(SALU_CYCLE_1)
	s_add_nc_u64 s[50:51], s[22:23], s[50:51]
	s_add_co_u32 s0, s48, s50
	s_cselect_b32 s22, -1, 0
	v_mul_hi_u32 v28, v20, s0
	s_cmp_lg_u32 s22, 0
	s_add_co_ci_u32 s22, s49, s51
	s_and_b64 s[48:49], s[0:1], s[30:31]
	v_mul_u64_e32 v[22:23], s[22:23], v[20:21]
	v_mul_u64_e32 v[18:19], s[48:49], v[24:25]
	v_mul_u64_e32 v[26:27], s[22:23], v[24:25]
	s_delay_alu instid0(VALU_DEP_3) | instskip(NEXT) | instid1(VALU_DEP_1)
	v_add_nc_u64_e32 v[22:23], v[28:29], v[22:23]
	v_add_co_u32 v5, vcc_lo, v22, v18
	s_delay_alu instid0(VALU_DEP_2) | instskip(NEXT) | instid1(VALU_DEP_4)
	v_add_co_ci_u32_e32 v28, vcc_lo, v23, v19, vcc_lo
	v_add_co_ci_u32_e32 v27, vcc_lo, 0, v27, vcc_lo
	s_delay_alu instid0(VALU_DEP_1) | instskip(NEXT) | instid1(VALU_DEP_1)
	v_add_nc_u64_e32 v[18:19], v[28:29], v[26:27]
	v_mul_u64_e32 v[22:23], s[44:45], v[18:19]
	s_delay_alu instid0(VALU_DEP_1) | instskip(NEXT) | instid1(VALU_DEP_2)
	v_sub_nc_u32_e32 v5, v24, v23
	v_sub_co_u32 v13, vcc_lo, v20, v22
	s_delay_alu instid0(VALU_DEP_1) | instskip(NEXT) | instid1(VALU_DEP_3)
	v_sub_co_ci_u32_e64 v24, null, v24, v23, vcc_lo
	v_subrev_co_ci_u32_e64 v5, null, s45, v5, vcc_lo
	s_delay_alu instid0(VALU_DEP_3) | instskip(SKIP_1) | instid1(VALU_DEP_3)
	v_sub_co_u32 v17, s0, v13, s44
	v_add_nc_u64_e32 v[22:23], 1, v[18:19]
	v_subrev_co_ci_u32_e64 v5, null, 0, v5, s0
	s_delay_alu instid0(VALU_DEP_3) | instskip(SKIP_1) | instid1(VALU_DEP_3)
	v_cmp_le_u32_e32 vcc_lo, s44, v17
	v_cndmask_b32_e64 v17, 0, -1, vcc_lo
	v_cmp_le_u32_e32 vcc_lo, s45, v5
	v_cndmask_b32_e64 v20, 0, -1, vcc_lo
	;; [unrolled: 2-line block ×4, first 2 shown]
	v_cmp_eq_u32_e32 vcc_lo, s45, v5
	v_cndmask_b32_e32 v5, v20, v17, vcc_lo
	v_cmp_eq_u32_e32 vcc_lo, s45, v24
	v_add_nc_u64_e32 v[20:21], 2, v[18:19]
	v_cndmask_b32_e32 v13, v25, v13, vcc_lo
	s_delay_alu instid0(VALU_DEP_4) | instskip(NEXT) | instid1(VALU_DEP_2)
	v_cmp_ne_u32_e32 vcc_lo, 0, v5
	v_cmp_ne_u32_e64 s0, 0, v13
	s_delay_alu instid0(VALU_DEP_4) | instskip(NEXT) | instid1(VALU_DEP_1)
	v_dual_cndmask_b32 v5, v23, v21, vcc_lo :: v_dual_cndmask_b32 v13, v22, v20, vcc_lo
	v_dual_cndmask_b32 v17, v18, v13, s0 :: v_dual_mov_b32 v13, v12
	s_delay_alu instid0(VALU_DEP_1) | instskip(NEXT) | instid1(VALU_DEP_1)
	v_dual_cndmask_b32 v5, v19, v5, s0 :: v_dual_bitop2_b32 v18, v17, v12 bitop3:0x14
	v_xor_b32_e32 v19, v5, v12
	s_delay_alu instid0(VALU_DEP_1)
	v_sub_nc_u64_e32 v[12:13], v[18:19], v[12:13]
.LBB20_13:                              ;   in Loop: Header=BB20_11 Depth=2
	s_and_not1_saveexec_b32 s0, s47
	s_cbranch_execz .LBB20_15
; %bb.14:                               ;   in Loop: Header=BB20_11 Depth=2
	v_cvt_f32_u32_e32 v5, s40
	s_sub_co_i32 s22, 0, s40
	s_delay_alu instid0(VALU_DEP_1) | instskip(SKIP_1) | instid1(TRANS32_DEP_1)
	v_rcp_iflag_f32_e32 v5, v5
	v_nop
	v_mul_f32_e32 v5, 0x4f7ffffe, v5
	s_delay_alu instid0(VALU_DEP_1) | instskip(NEXT) | instid1(VALU_DEP_1)
	v_cvt_u32_f32_e32 v5, v5
	v_mul_lo_u32 v12, s22, v5
	s_delay_alu instid0(VALU_DEP_1) | instskip(NEXT) | instid1(VALU_DEP_1)
	v_mul_hi_u32 v12, v5, v12
	v_add_nc_u32_e32 v5, v5, v12
	s_delay_alu instid0(VALU_DEP_1) | instskip(NEXT) | instid1(VALU_DEP_1)
	v_mul_hi_u32 v5, v10, v5
	v_mul_lo_u32 v12, v5, s40
	s_delay_alu instid0(VALU_DEP_1) | instskip(NEXT) | instid1(VALU_DEP_1)
	v_dual_add_nc_u32 v13, 1, v5 :: v_dual_sub_nc_u32 v12, v10, v12
	v_subrev_nc_u32_e32 v17, s40, v12
	v_cmp_le_u32_e32 vcc_lo, s40, v12
	s_delay_alu instid0(VALU_DEP_2) | instskip(NEXT) | instid1(VALU_DEP_4)
	v_cndmask_b32_e32 v12, v12, v17, vcc_lo
	v_cndmask_b32_e32 v5, v5, v13, vcc_lo
	s_delay_alu instid0(VALU_DEP_2) | instskip(NEXT) | instid1(VALU_DEP_2)
	v_cmp_le_u32_e32 vcc_lo, s40, v12
	v_add_nc_u32_e32 v13, 1, v5
	s_delay_alu instid0(VALU_DEP_1)
	v_dual_cndmask_b32 v12, v5, v13 :: v_dual_mov_b32 v13, v4
.LBB20_15:                              ;   in Loop: Header=BB20_11 Depth=2
	s_or_b32 exec_lo, exec_lo, s0
	s_delay_alu instid0(VALU_DEP_1)
	v_mul_u64_e32 v[18:19], s[40:41], v[12:13]
	s_load_b64 s[40:41], s[38:39], 0xc8
	s_add_co_i32 s37, s37, -1
	s_wait_xcnt 0x0
	s_add_nc_u64 s[38:39], s[38:39], -8
	s_cmp_gt_u32 s37, 2
	s_delay_alu instid0(VALU_DEP_1) | instskip(SKIP_1) | instid1(VALU_DEP_1)
	v_sub_nc_u64_e32 v[10:11], v[10:11], v[18:19]
	s_wait_kmcnt 0x0
	v_mad_nc_u64_u32 v[8:9], s40, v10, v[8:9]
	s_delay_alu instid0(VALU_DEP_1) | instskip(NEXT) | instid1(VALU_DEP_1)
	v_mad_u32 v5, s41, v10, v9
	v_mad_u32 v9, s40, v11, v5
	s_cbranch_scc0 .LBB20_17
; %bb.16:                               ;   in Loop: Header=BB20_11 Depth=2
	v_mov_b64_e32 v[10:11], v[12:13]
	s_branch .LBB20_11
.LBB20_17:                              ;   in Loop: Header=BB20_10 Depth=1
	s_delay_alu instid0(VALU_DEP_1) | instskip(NEXT) | instid1(VALU_DEP_1)
	v_mad_nc_u64_u32 v[10:11], s24, v12, s[26:27]
	v_mad_u32 v5, s25, v12, v11
	s_delay_alu instid0(VALU_DEP_1) | instskip(NEXT) | instid1(VALU_DEP_1)
	v_mad_u32 v11, s24, v13, v5
	v_add_nc_u64_e32 v[8:9], v[10:11], v[8:9]
	global_load_i8 v5, v[8:9], off
	s_wait_loadcnt 0x0
	s_wait_xcnt 0x0
	v_bfe_i32 v8, v5, 0, 16
	s_delay_alu instid0(VALU_DEP_1) | instskip(NEXT) | instid1(VALU_DEP_1)
	v_ashrrev_i32_e32 v9, 31, v8
	v_cmp_le_i64_e32 vcc_lo, s[6:7], v[8:9]
	v_cmp_ge_i64_e64 s0, s[8:9], v[8:9]
	s_and_b32 s0, vcc_lo, s0
	s_delay_alu instid0(SALU_CYCLE_1)
	s_and_saveexec_b32 s40, s0
	s_cbranch_execz .LBB20_9
; %bb.18:                               ;   in Loop: Header=BB20_10 Depth=1
	v_sub_nc_u64_e64 v[8:9], v[8:9], s[6:7]
                                        ; implicit-def: $vgpr10_vgpr11
	s_mov_b32 s0, exec_lo
	s_delay_alu instid0(VALU_DEP_1) | instskip(NEXT) | instid1(VALU_DEP_1)
	v_mul_u64_e32 v[8:9], s[4:5], v[8:9]
	v_or_b32_e32 v5, s29, v9
	s_delay_alu instid0(VALU_DEP_1)
	v_cmpx_ne_u64_e32 0, v[4:5]
	s_xor_b32 s41, exec_lo, s0
	s_cbranch_execz .LBB20_20
; %bb.19:                               ;   in Loop: Header=BB20_10 Depth=1
	s_mov_b32 s37, s36
	v_dual_mov_b32 v13, v4 :: v_dual_ashrrev_i32 v10, 31, v9
	s_add_nc_u64 s[38:39], s[28:29], s[36:37]
	v_mov_b32_e32 v25, v4
	s_xor_b64 s[38:39], s[38:39], s[36:37]
	s_delay_alu instid0(VALU_DEP_2) | instskip(SKIP_3) | instid1(VALU_DEP_1)
	v_mov_b32_e32 v11, v10
	s_cvt_f32_u32 s0, s38
	s_cvt_f32_u32 s22, s39
	s_sub_nc_u64 s[44:45], 0, s[38:39]
	v_add_nc_u64_e32 v[8:9], v[8:9], v[10:11]
	s_delay_alu instid0(SALU_CYCLE_1) | instskip(SKIP_1) | instid1(SALU_CYCLE_2)
	s_fmamk_f32 s0, s22, 0x4f800000, s0
	v_mov_b32_e32 v21, v4
	v_s_rcp_f32 s0, s0
	s_delay_alu instid0(VALU_DEP_2) | instskip(NEXT) | instid1(VALU_DEP_3)
	v_xor_b32_e32 v12, v8, v10
	v_xor_b32_e32 v20, v9, v10
	s_delay_alu instid0(TRANS32_DEP_1) | instskip(NEXT) | instid1(SALU_CYCLE_3)
	s_mul_f32 s0, s0, 0x5f7ffffc
	s_mul_f32 s22, s0, 0x2f800000
	s_delay_alu instid0(SALU_CYCLE_3) | instskip(NEXT) | instid1(SALU_CYCLE_3)
	s_trunc_f32 s22, s22
	s_fmamk_f32 s0, s22, 0xcf800000, s0
	s_cvt_u32_f32 s43, s22
	s_delay_alu instid0(SALU_CYCLE_2) | instskip(NEXT) | instid1(SALU_CYCLE_3)
	s_cvt_u32_f32 s42, s0
	s_mul_u64 s[48:49], s[44:45], s[42:43]
	s_delay_alu instid0(SALU_CYCLE_1)
	s_mul_hi_u32 s51, s42, s49
	s_mul_i32 s50, s42, s49
	s_mul_hi_u32 s22, s42, s48
	s_mul_i32 s37, s43, s48
	s_add_nc_u64 s[50:51], s[22:23], s[50:51]
	s_mul_hi_u32 s0, s43, s48
	s_mul_hi_u32 s47, s43, s49
	s_add_co_u32 s22, s50, s37
	s_add_co_ci_u32 s22, s51, s0
	s_mul_i32 s48, s43, s49
	s_add_co_ci_u32 s49, s47, 0
	s_delay_alu instid0(SALU_CYCLE_1) | instskip(NEXT) | instid1(SALU_CYCLE_1)
	s_add_nc_u64 s[48:49], s[22:23], s[48:49]
	s_add_co_u32 s42, s42, s48
	s_cselect_b32 s0, -1, 0
	s_delay_alu instid0(SALU_CYCLE_1) | instskip(SKIP_1) | instid1(SALU_CYCLE_1)
	s_cmp_lg_u32 s0, 0
	s_add_co_ci_u32 s43, s43, s49
	s_mul_u64 s[44:45], s[44:45], s[42:43]
	s_delay_alu instid0(SALU_CYCLE_1)
	s_mul_hi_u32 s49, s42, s45
	s_mul_i32 s48, s42, s45
	s_mul_hi_u32 s22, s42, s44
	s_mul_i32 s37, s43, s44
	s_add_nc_u64 s[48:49], s[22:23], s[48:49]
	s_mul_hi_u32 s0, s43, s44
	s_mul_hi_u32 s47, s43, s45
	s_add_co_u32 s22, s48, s37
	s_add_co_ci_u32 s22, s49, s0
	s_mul_i32 s44, s43, s45
	s_add_co_ci_u32 s45, s47, 0
	s_delay_alu instid0(SALU_CYCLE_1) | instskip(NEXT) | instid1(SALU_CYCLE_1)
	s_add_nc_u64 s[44:45], s[22:23], s[44:45]
	s_add_co_u32 s0, s42, s44
	s_cselect_b32 s22, -1, 0
	v_mul_hi_u32 v24, v12, s0
	s_cmp_lg_u32 s22, 0
	s_add_co_ci_u32 s22, s43, s45
	s_and_b64 s[42:43], s[0:1], s[30:31]
	v_mul_u64_e32 v[18:19], s[22:23], v[12:13]
	v_mul_u64_e32 v[8:9], s[42:43], v[20:21]
	;; [unrolled: 1-line block ×3, first 2 shown]
	s_delay_alu instid0(VALU_DEP_3) | instskip(NEXT) | instid1(VALU_DEP_1)
	v_add_nc_u64_e32 v[18:19], v[24:25], v[18:19]
	v_add_co_u32 v5, vcc_lo, v18, v8
	s_delay_alu instid0(VALU_DEP_2) | instskip(NEXT) | instid1(VALU_DEP_4)
	v_add_co_ci_u32_e32 v24, vcc_lo, v19, v9, vcc_lo
	v_add_co_ci_u32_e32 v23, vcc_lo, 0, v23, vcc_lo
	s_delay_alu instid0(VALU_DEP_1) | instskip(NEXT) | instid1(VALU_DEP_1)
	v_add_nc_u64_e32 v[8:9], v[24:25], v[22:23]
	v_mul_u64_e32 v[18:19], s[38:39], v[8:9]
	s_delay_alu instid0(VALU_DEP_1) | instskip(NEXT) | instid1(VALU_DEP_2)
	v_sub_nc_u32_e32 v5, v20, v19
	v_sub_co_u32 v11, vcc_lo, v12, v18
	s_delay_alu instid0(VALU_DEP_1) | instskip(NEXT) | instid1(VALU_DEP_3)
	v_sub_co_ci_u32_e64 v17, null, v20, v19, vcc_lo
	v_subrev_co_ci_u32_e64 v5, null, s39, v5, vcc_lo
	s_delay_alu instid0(VALU_DEP_3) | instskip(SKIP_1) | instid1(VALU_DEP_3)
	v_sub_co_u32 v12, s0, v11, s38
	v_add_nc_u64_e32 v[18:19], 1, v[8:9]
	v_subrev_co_ci_u32_e64 v5, null, 0, v5, s0
	s_delay_alu instid0(VALU_DEP_3) | instskip(SKIP_1) | instid1(VALU_DEP_3)
	v_cmp_le_u32_e32 vcc_lo, s38, v12
	v_cndmask_b32_e64 v12, 0, -1, vcc_lo
	v_cmp_le_u32_e32 vcc_lo, s39, v5
	v_cndmask_b32_e64 v13, 0, -1, vcc_lo
	;; [unrolled: 2-line block ×4, first 2 shown]
	v_cmp_eq_u32_e32 vcc_lo, s39, v5
	v_cndmask_b32_e32 v5, v13, v12, vcc_lo
	v_cmp_eq_u32_e32 vcc_lo, s39, v17
	v_add_nc_u64_e32 v[12:13], 2, v[8:9]
	v_cndmask_b32_e32 v11, v20, v11, vcc_lo
	s_delay_alu instid0(VALU_DEP_4) | instskip(NEXT) | instid1(VALU_DEP_3)
	v_cmp_ne_u32_e32 vcc_lo, 0, v5
	v_cndmask_b32_e32 v5, v19, v13, vcc_lo
	s_delay_alu instid0(VALU_DEP_3) | instskip(SKIP_1) | instid1(VALU_DEP_1)
	v_cmp_ne_u32_e64 s0, 0, v11
	v_dual_cndmask_b32 v11, v18, v12, vcc_lo :: v_dual_bitop2_b32 v10, s36, v10 bitop3:0x14
	v_dual_cndmask_b32 v5, v9, v5, s0 :: v_dual_cndmask_b32 v8, v8, v11, s0
	s_delay_alu instid0(VALU_DEP_1) | instskip(NEXT) | instid1(VALU_DEP_2)
	v_dual_mov_b32 v11, v10 :: v_dual_bitop2_b32 v9, v5, v10 bitop3:0x14
	v_xor_b32_e32 v8, v8, v10
	s_delay_alu instid0(VALU_DEP_1)
	v_sub_nc_u64_e32 v[10:11], v[8:9], v[10:11]
                                        ; implicit-def: $vgpr8_vgpr9
.LBB20_20:                              ;   in Loop: Header=BB20_10 Depth=1
	s_and_not1_saveexec_b32 s0, s41
	s_cbranch_execz .LBB20_8
; %bb.21:                               ;   in Loop: Header=BB20_10 Depth=1
	v_cvt_f32_u32_e32 v5, s28
	s_sub_co_i32 s22, 0, s28
	s_delay_alu instid0(VALU_DEP_1) | instskip(SKIP_1) | instid1(TRANS32_DEP_1)
	v_rcp_iflag_f32_e32 v5, v5
	v_nop
	v_mul_f32_e32 v5, 0x4f7ffffe, v5
	s_delay_alu instid0(VALU_DEP_1) | instskip(NEXT) | instid1(VALU_DEP_1)
	v_cvt_u32_f32_e32 v5, v5
	v_mul_lo_u32 v9, s22, v5
	s_delay_alu instid0(VALU_DEP_1) | instskip(NEXT) | instid1(VALU_DEP_1)
	v_mul_hi_u32 v9, v5, v9
	v_add_nc_u32_e32 v5, v5, v9
	s_delay_alu instid0(VALU_DEP_1) | instskip(NEXT) | instid1(VALU_DEP_1)
	v_mul_hi_u32 v5, v8, v5
	v_mul_lo_u32 v9, v5, s28
	s_delay_alu instid0(VALU_DEP_1) | instskip(SKIP_1) | instid1(VALU_DEP_2)
	v_sub_nc_u32_e32 v8, v8, v9
	v_add_nc_u32_e32 v9, 1, v5
	v_subrev_nc_u32_e32 v10, s28, v8
	v_cmp_le_u32_e32 vcc_lo, s28, v8
	s_delay_alu instid0(VALU_DEP_2) | instskip(NEXT) | instid1(VALU_DEP_1)
	v_dual_cndmask_b32 v8, v8, v10 :: v_dual_cndmask_b32 v5, v5, v9
	v_cmp_le_u32_e32 vcc_lo, s28, v8
	s_delay_alu instid0(VALU_DEP_2) | instskip(NEXT) | instid1(VALU_DEP_1)
	v_add_nc_u32_e32 v9, 1, v5
	v_cndmask_b32_e32 v10, v5, v9, vcc_lo
	s_branch .LBB20_8
.LBB20_22:
	s_or_b32 exec_lo, exec_lo, s3
; %bb.23:
	s_wait_dscnt 0x0
	s_barrier_signal -1
	s_barrier_wait -1
	s_wait_xcnt 0x0
	s_and_saveexec_b32 s0, s2
	s_cbranch_execz .LBB20_26
; %bb.24:
	s_mov_b32 s0, 0
	v_and_b32_e32 v2, 0xffff, v16
	v_dual_mov_b32 v3, s0 :: v_dual_lshlrev_b32 v8, 3, v15
	s_wait_kmcnt 0x0
	v_mul_u64_e32 v[6:7], s[18:19], v[0:1]
	s_delay_alu instid0(VALU_DEP_2) | instskip(NEXT) | instid1(VALU_DEP_2)
	v_mul_u64_e32 v[4:5], s[18:19], v[2:3]
	v_lshl_add_u64 v[6:7], v[6:7], 3, s[12:13]
	s_delay_alu instid0(VALU_DEP_2)
	v_lshlrev_b64_e32 v[4:5], 3, v[4:5]
.LBB20_25:                              ; =>This Inner Loop Header: Depth=1
	ds_load_b64 v[10:11], v14
	v_add_nc_u64_e32 v[0:1], v[0:1], v[2:3]
	v_add_nc_u32_e32 v14, v14, v8
	s_delay_alu instid0(VALU_DEP_2)
	v_cmp_le_i64_e32 vcc_lo, s[14:15], v[0:1]
	s_or_b32 s0, vcc_lo, s0
	s_wait_dscnt 0x0
	global_atomic_add_f64 v[6:7], v[10:11], off scope:SCOPE_DEV
	s_wait_xcnt 0x0
	v_add_nc_u64_e32 v[6:7], v[6:7], v[4:5]
	s_and_not1_b32 exec_lo, exec_lo, s0
	s_cbranch_execnz .LBB20_25
.LBB20_26:
	s_endpgm
	.section	.rodata,"a",@progbits
	.p2align	6, 0x0
	.amdhsa_kernel _ZN2at4cuda17kernelHistogram1DIdalLi1ELi2ELin1ELNS0_23CUDAHistogramMemoryTypeE0EZNS0_21CUDA_tensor_histogramIdaLb1EEEbNS_6TensorES4_S4_lNS_14AccumulateTypeIT0_Lb1EE4typeES8_NS0_13TensorArgTypeES9_S9_EUllE_EEvNS0_6detail10TensorInfoIT_T1_EESF_NSC_IKS6_SE_EElS8_S8_SE_T6_
		.amdhsa_group_segment_fixed_size 0
		.amdhsa_private_segment_fixed_size 0
		.amdhsa_kernarg_size 1952
		.amdhsa_user_sgpr_count 2
		.amdhsa_user_sgpr_dispatch_ptr 0
		.amdhsa_user_sgpr_queue_ptr 0
		.amdhsa_user_sgpr_kernarg_segment_ptr 1
		.amdhsa_user_sgpr_dispatch_id 0
		.amdhsa_user_sgpr_kernarg_preload_length 0
		.amdhsa_user_sgpr_kernarg_preload_offset 0
		.amdhsa_user_sgpr_private_segment_size 0
		.amdhsa_wavefront_size32 1
		.amdhsa_uses_dynamic_stack 0
		.amdhsa_enable_private_segment 0
		.amdhsa_system_sgpr_workgroup_id_x 1
		.amdhsa_system_sgpr_workgroup_id_y 0
		.amdhsa_system_sgpr_workgroup_id_z 0
		.amdhsa_system_sgpr_workgroup_info 0
		.amdhsa_system_vgpr_workitem_id 0
		.amdhsa_next_free_vgpr 30
		.amdhsa_next_free_sgpr 57
		.amdhsa_named_barrier_count 0
		.amdhsa_reserve_vcc 1
		.amdhsa_float_round_mode_32 0
		.amdhsa_float_round_mode_16_64 0
		.amdhsa_float_denorm_mode_32 3
		.amdhsa_float_denorm_mode_16_64 3
		.amdhsa_fp16_overflow 0
		.amdhsa_memory_ordered 1
		.amdhsa_forward_progress 1
		.amdhsa_inst_pref_size 19
		.amdhsa_round_robin_scheduling 0
		.amdhsa_exception_fp_ieee_invalid_op 0
		.amdhsa_exception_fp_denorm_src 0
		.amdhsa_exception_fp_ieee_div_zero 0
		.amdhsa_exception_fp_ieee_overflow 0
		.amdhsa_exception_fp_ieee_underflow 0
		.amdhsa_exception_fp_ieee_inexact 0
		.amdhsa_exception_int_div_zero 0
	.end_amdhsa_kernel
	.section	.text._ZN2at4cuda17kernelHistogram1DIdalLi1ELi2ELin1ELNS0_23CUDAHistogramMemoryTypeE0EZNS0_21CUDA_tensor_histogramIdaLb1EEEbNS_6TensorES4_S4_lNS_14AccumulateTypeIT0_Lb1EE4typeES8_NS0_13TensorArgTypeES9_S9_EUllE_EEvNS0_6detail10TensorInfoIT_T1_EESF_NSC_IKS6_SE_EElS8_S8_SE_T6_,"axG",@progbits,_ZN2at4cuda17kernelHistogram1DIdalLi1ELi2ELin1ELNS0_23CUDAHistogramMemoryTypeE0EZNS0_21CUDA_tensor_histogramIdaLb1EEEbNS_6TensorES4_S4_lNS_14AccumulateTypeIT0_Lb1EE4typeES8_NS0_13TensorArgTypeES9_S9_EUllE_EEvNS0_6detail10TensorInfoIT_T1_EESF_NSC_IKS6_SE_EElS8_S8_SE_T6_,comdat
.Lfunc_end20:
	.size	_ZN2at4cuda17kernelHistogram1DIdalLi1ELi2ELin1ELNS0_23CUDAHistogramMemoryTypeE0EZNS0_21CUDA_tensor_histogramIdaLb1EEEbNS_6TensorES4_S4_lNS_14AccumulateTypeIT0_Lb1EE4typeES8_NS0_13TensorArgTypeES9_S9_EUllE_EEvNS0_6detail10TensorInfoIT_T1_EESF_NSC_IKS6_SE_EElS8_S8_SE_T6_, .Lfunc_end20-_ZN2at4cuda17kernelHistogram1DIdalLi1ELi2ELin1ELNS0_23CUDAHistogramMemoryTypeE0EZNS0_21CUDA_tensor_histogramIdaLb1EEEbNS_6TensorES4_S4_lNS_14AccumulateTypeIT0_Lb1EE4typeES8_NS0_13TensorArgTypeES9_S9_EUllE_EEvNS0_6detail10TensorInfoIT_T1_EESF_NSC_IKS6_SE_EElS8_S8_SE_T6_
                                        ; -- End function
	.set _ZN2at4cuda17kernelHistogram1DIdalLi1ELi2ELin1ELNS0_23CUDAHistogramMemoryTypeE0EZNS0_21CUDA_tensor_histogramIdaLb1EEEbNS_6TensorES4_S4_lNS_14AccumulateTypeIT0_Lb1EE4typeES8_NS0_13TensorArgTypeES9_S9_EUllE_EEvNS0_6detail10TensorInfoIT_T1_EESF_NSC_IKS6_SE_EElS8_S8_SE_T6_.num_vgpr, 30
	.set _ZN2at4cuda17kernelHistogram1DIdalLi1ELi2ELin1ELNS0_23CUDAHistogramMemoryTypeE0EZNS0_21CUDA_tensor_histogramIdaLb1EEEbNS_6TensorES4_S4_lNS_14AccumulateTypeIT0_Lb1EE4typeES8_NS0_13TensorArgTypeES9_S9_EUllE_EEvNS0_6detail10TensorInfoIT_T1_EESF_NSC_IKS6_SE_EElS8_S8_SE_T6_.num_agpr, 0
	.set _ZN2at4cuda17kernelHistogram1DIdalLi1ELi2ELin1ELNS0_23CUDAHistogramMemoryTypeE0EZNS0_21CUDA_tensor_histogramIdaLb1EEEbNS_6TensorES4_S4_lNS_14AccumulateTypeIT0_Lb1EE4typeES8_NS0_13TensorArgTypeES9_S9_EUllE_EEvNS0_6detail10TensorInfoIT_T1_EESF_NSC_IKS6_SE_EElS8_S8_SE_T6_.numbered_sgpr, 57
	.set _ZN2at4cuda17kernelHistogram1DIdalLi1ELi2ELin1ELNS0_23CUDAHistogramMemoryTypeE0EZNS0_21CUDA_tensor_histogramIdaLb1EEEbNS_6TensorES4_S4_lNS_14AccumulateTypeIT0_Lb1EE4typeES8_NS0_13TensorArgTypeES9_S9_EUllE_EEvNS0_6detail10TensorInfoIT_T1_EESF_NSC_IKS6_SE_EElS8_S8_SE_T6_.num_named_barrier, 0
	.set _ZN2at4cuda17kernelHistogram1DIdalLi1ELi2ELin1ELNS0_23CUDAHistogramMemoryTypeE0EZNS0_21CUDA_tensor_histogramIdaLb1EEEbNS_6TensorES4_S4_lNS_14AccumulateTypeIT0_Lb1EE4typeES8_NS0_13TensorArgTypeES9_S9_EUllE_EEvNS0_6detail10TensorInfoIT_T1_EESF_NSC_IKS6_SE_EElS8_S8_SE_T6_.private_seg_size, 0
	.set _ZN2at4cuda17kernelHistogram1DIdalLi1ELi2ELin1ELNS0_23CUDAHistogramMemoryTypeE0EZNS0_21CUDA_tensor_histogramIdaLb1EEEbNS_6TensorES4_S4_lNS_14AccumulateTypeIT0_Lb1EE4typeES8_NS0_13TensorArgTypeES9_S9_EUllE_EEvNS0_6detail10TensorInfoIT_T1_EESF_NSC_IKS6_SE_EElS8_S8_SE_T6_.uses_vcc, 1
	.set _ZN2at4cuda17kernelHistogram1DIdalLi1ELi2ELin1ELNS0_23CUDAHistogramMemoryTypeE0EZNS0_21CUDA_tensor_histogramIdaLb1EEEbNS_6TensorES4_S4_lNS_14AccumulateTypeIT0_Lb1EE4typeES8_NS0_13TensorArgTypeES9_S9_EUllE_EEvNS0_6detail10TensorInfoIT_T1_EESF_NSC_IKS6_SE_EElS8_S8_SE_T6_.uses_flat_scratch, 0
	.set _ZN2at4cuda17kernelHistogram1DIdalLi1ELi2ELin1ELNS0_23CUDAHistogramMemoryTypeE0EZNS0_21CUDA_tensor_histogramIdaLb1EEEbNS_6TensorES4_S4_lNS_14AccumulateTypeIT0_Lb1EE4typeES8_NS0_13TensorArgTypeES9_S9_EUllE_EEvNS0_6detail10TensorInfoIT_T1_EESF_NSC_IKS6_SE_EElS8_S8_SE_T6_.has_dyn_sized_stack, 0
	.set _ZN2at4cuda17kernelHistogram1DIdalLi1ELi2ELin1ELNS0_23CUDAHistogramMemoryTypeE0EZNS0_21CUDA_tensor_histogramIdaLb1EEEbNS_6TensorES4_S4_lNS_14AccumulateTypeIT0_Lb1EE4typeES8_NS0_13TensorArgTypeES9_S9_EUllE_EEvNS0_6detail10TensorInfoIT_T1_EESF_NSC_IKS6_SE_EElS8_S8_SE_T6_.has_recursion, 0
	.set _ZN2at4cuda17kernelHistogram1DIdalLi1ELi2ELin1ELNS0_23CUDAHistogramMemoryTypeE0EZNS0_21CUDA_tensor_histogramIdaLb1EEEbNS_6TensorES4_S4_lNS_14AccumulateTypeIT0_Lb1EE4typeES8_NS0_13TensorArgTypeES9_S9_EUllE_EEvNS0_6detail10TensorInfoIT_T1_EESF_NSC_IKS6_SE_EElS8_S8_SE_T6_.has_indirect_call, 0
	.section	.AMDGPU.csdata,"",@progbits
; Kernel info:
; codeLenInByte = 2404
; TotalNumSgprs: 59
; NumVgprs: 30
; ScratchSize: 0
; MemoryBound: 0
; FloatMode: 240
; IeeeMode: 1
; LDSByteSize: 0 bytes/workgroup (compile time only)
; SGPRBlocks: 0
; VGPRBlocks: 1
; NumSGPRsForWavesPerEU: 59
; NumVGPRsForWavesPerEU: 30
; NamedBarCnt: 0
; Occupancy: 16
; WaveLimiterHint : 1
; COMPUTE_PGM_RSRC2:SCRATCH_EN: 0
; COMPUTE_PGM_RSRC2:USER_SGPR: 2
; COMPUTE_PGM_RSRC2:TRAP_HANDLER: 0
; COMPUTE_PGM_RSRC2:TGID_X_EN: 1
; COMPUTE_PGM_RSRC2:TGID_Y_EN: 0
; COMPUTE_PGM_RSRC2:TGID_Z_EN: 0
; COMPUTE_PGM_RSRC2:TIDIG_COMP_CNT: 0
	.section	.text._ZN2at4cuda17kernelHistogram1DIdalLi1ELi2ELin1ELNS0_23CUDAHistogramMemoryTypeE1EZNS0_21CUDA_tensor_histogramIdaLb1EEEbNS_6TensorES4_S4_lNS_14AccumulateTypeIT0_Lb1EE4typeES8_NS0_13TensorArgTypeES9_S9_EUllE_EEvNS0_6detail10TensorInfoIT_T1_EESF_NSC_IKS6_SE_EElS8_S8_SE_T6_,"axG",@progbits,_ZN2at4cuda17kernelHistogram1DIdalLi1ELi2ELin1ELNS0_23CUDAHistogramMemoryTypeE1EZNS0_21CUDA_tensor_histogramIdaLb1EEEbNS_6TensorES4_S4_lNS_14AccumulateTypeIT0_Lb1EE4typeES8_NS0_13TensorArgTypeES9_S9_EUllE_EEvNS0_6detail10TensorInfoIT_T1_EESF_NSC_IKS6_SE_EElS8_S8_SE_T6_,comdat
	.protected	_ZN2at4cuda17kernelHistogram1DIdalLi1ELi2ELin1ELNS0_23CUDAHistogramMemoryTypeE1EZNS0_21CUDA_tensor_histogramIdaLb1EEEbNS_6TensorES4_S4_lNS_14AccumulateTypeIT0_Lb1EE4typeES8_NS0_13TensorArgTypeES9_S9_EUllE_EEvNS0_6detail10TensorInfoIT_T1_EESF_NSC_IKS6_SE_EElS8_S8_SE_T6_ ; -- Begin function _ZN2at4cuda17kernelHistogram1DIdalLi1ELi2ELin1ELNS0_23CUDAHistogramMemoryTypeE1EZNS0_21CUDA_tensor_histogramIdaLb1EEEbNS_6TensorES4_S4_lNS_14AccumulateTypeIT0_Lb1EE4typeES8_NS0_13TensorArgTypeES9_S9_EUllE_EEvNS0_6detail10TensorInfoIT_T1_EESF_NSC_IKS6_SE_EElS8_S8_SE_T6_
	.globl	_ZN2at4cuda17kernelHistogram1DIdalLi1ELi2ELin1ELNS0_23CUDAHistogramMemoryTypeE1EZNS0_21CUDA_tensor_histogramIdaLb1EEEbNS_6TensorES4_S4_lNS_14AccumulateTypeIT0_Lb1EE4typeES8_NS0_13TensorArgTypeES9_S9_EUllE_EEvNS0_6detail10TensorInfoIT_T1_EESF_NSC_IKS6_SE_EElS8_S8_SE_T6_
	.p2align	8
	.type	_ZN2at4cuda17kernelHistogram1DIdalLi1ELi2ELin1ELNS0_23CUDAHistogramMemoryTypeE1EZNS0_21CUDA_tensor_histogramIdaLb1EEEbNS_6TensorES4_S4_lNS_14AccumulateTypeIT0_Lb1EE4typeES8_NS0_13TensorArgTypeES9_S9_EUllE_EEvNS0_6detail10TensorInfoIT_T1_EESF_NSC_IKS6_SE_EElS8_S8_SE_T6_,@function
_ZN2at4cuda17kernelHistogram1DIdalLi1ELi2ELin1ELNS0_23CUDAHistogramMemoryTypeE1EZNS0_21CUDA_tensor_histogramIdaLb1EEEbNS_6TensorES4_S4_lNS_14AccumulateTypeIT0_Lb1EE4typeES8_NS0_13TensorArgTypeES9_S9_EUllE_EEvNS0_6detail10TensorInfoIT_T1_EESF_NSC_IKS6_SE_EElS8_S8_SE_T6_: ; @_ZN2at4cuda17kernelHistogram1DIdalLi1ELi2ELin1ELNS0_23CUDAHistogramMemoryTypeE1EZNS0_21CUDA_tensor_histogramIdaLb1EEEbNS_6TensorES4_S4_lNS_14AccumulateTypeIT0_Lb1EE4typeES8_NS0_13TensorArgTypeES9_S9_EUllE_EEvNS0_6detail10TensorInfoIT_T1_EESF_NSC_IKS6_SE_EElS8_S8_SE_T6_
; %bb.0:
	s_load_b32 s2, s[0:1], 0x6ac
	s_bfe_u32 s12, ttmp6, 0x4000c
	s_load_b256 s[4:11], s[0:1], 0x4e0
	s_add_co_i32 s12, s12, 1
	s_and_b32 s3, ttmp6, 15
	s_mul_i32 s12, ttmp9, s12
	s_getreg_b32 s13, hwreg(HW_REG_IB_STS2, 6, 4)
	s_add_co_i32 s3, s3, s12
	v_mov_b32_e32 v2, 0
	s_mov_b32 s12, exec_lo
	s_delay_alu instid0(VALU_DEP_1) | instskip(SKIP_4) | instid1(SALU_CYCLE_1)
	v_mov_b32_e32 v1, v2
	s_wait_kmcnt 0x0
	s_and_b32 s2, s2, 0xffff
	s_cmp_eq_u32 s13, 0
	s_cselect_b32 s3, ttmp9, s3
	v_mad_u32 v0, s3, s2, v0
	s_mov_b32 s3, 0
	s_delay_alu instid0(VALU_DEP_1)
	v_cmpx_gt_i64_e64 s[10:11], v[0:1]
	s_cbranch_execz .LBB21_16
; %bb.1:
	s_clause 0x1
	s_load_b64 s[12:13], s[0:1], 0x5d0
	s_load_b32 s33, s[0:1], 0x4d8
	s_add_nc_u64 s[24:25], s[0:1], 0x6a0
	s_load_b32 s26, s[24:25], 0x0
	s_clause 0x4
	s_load_b64 s[14:15], s[0:1], 0x500
	s_load_b64 s[16:17], s[0:1], 0x0
	;; [unrolled: 1-line block ×5, first 2 shown]
	s_add_nc_u64 s[30:31], s[0:1], 0x340
	s_wait_xcnt 0x0
	s_sub_nc_u64 s[24:25], s[8:9], s[6:7]
	s_mov_b32 s27, s3
	s_mov_b64 s[28:29], 0xffffffff
	s_mov_b32 s44, 0
	s_wait_kmcnt 0x0
	s_mul_i32 s26, s26, s2
	s_cmp_gt_i32 s33, 1
	s_cselect_b32 s1, -1, 0
	s_add_co_i32 s2, s33, -1
	s_add_co_i32 s33, s33, 1
	s_lshl_b64 s[34:35], s[2:3], 3
	s_delay_alu instid0(SALU_CYCLE_1)
	s_add_nc_u64 s[34:35], s[30:31], s[34:35]
	s_ashr_i32 s30, s25, 31
	s_add_nc_u64 s[34:35], s[34:35], 8
	s_branch .LBB21_4
.LBB21_2:                               ;   in Loop: Header=BB21_4 Depth=1
	s_or_b32 exec_lo, exec_lo, s0
	v_mul_u64_e32 v[4:5], s[12:13], v[0:1]
	s_delay_alu instid0(VALU_DEP_2) | instskip(NEXT) | instid1(VALU_DEP_1)
	v_dual_ashrrev_i32 v7, 31, v6 :: v_dual_mov_b32 v9, s3
	v_cmp_eq_u64_e32 vcc_lo, s[4:5], v[6:7]
	v_cndmask_b32_e64 v8, 0, 1, vcc_lo
	s_delay_alu instid0(VALU_DEP_1) | instskip(NEXT) | instid1(VALU_DEP_1)
	v_sub_nc_u64_e32 v[6:7], v[6:7], v[8:9]
	v_mul_u64_e32 v[6:7], s[18:19], v[6:7]
	v_lshl_add_u64 v[4:5], v[4:5], 3, s[14:15]
	global_load_b64 v[4:5], v[4:5], off
	v_lshl_add_u64 v[6:7], v[6:7], 3, s[16:17]
	s_wait_xcnt 0x0
	s_wait_loadcnt 0x0
	global_atomic_add_f64 v[6:7], v[4:5], off scope:SCOPE_DEV
.LBB21_3:                               ;   in Loop: Header=BB21_4 Depth=1
	s_wait_xcnt 0x0
	s_or_b32 exec_lo, exec_lo, s38
	v_add_nc_u64_e32 v[0:1], s[26:27], v[0:1]
	s_delay_alu instid0(VALU_DEP_1) | instskip(SKIP_1) | instid1(SALU_CYCLE_1)
	v_cmp_le_i64_e32 vcc_lo, s[10:11], v[0:1]
	s_or_b32 s44, vcc_lo, s44
	s_and_not1_b32 exec_lo, exec_lo, s44
	s_cbranch_execz .LBB21_16
.LBB21_4:                               ; =>This Loop Header: Depth=1
                                        ;     Child Loop BB21_5 Depth 2
	v_mov_b64_e32 v[4:5], 0
	v_mov_b64_e32 v[6:7], v[0:1]
	v_mov_b64_e32 v[8:9], v[0:1]
	s_and_not1_b32 vcc_lo, exec_lo, s1
	s_mov_b64 s[36:37], s[34:35]
	s_mov_b32 s31, s33
	s_cbranch_vccnz .LBB21_11
.LBB21_5:                               ;   Parent Loop BB21_4 Depth=1
                                        ; =>  This Inner Loop Header: Depth=2
	s_load_b64 s[38:39], s[36:37], 0x0
                                        ; implicit-def: $vgpr8_vgpr9
	s_mov_b32 s0, exec_lo
	s_wait_kmcnt 0x0
	s_delay_alu instid0(VALU_DEP_1) | instskip(NEXT) | instid1(VALU_DEP_1)
	v_or_b32_e32 v3, s39, v7
	v_cmpx_ne_u64_e32 0, v[2:3]
	s_xor_b32 s45, exec_lo, s0
	s_cbranch_execz .LBB21_7
; %bb.6:                                ;   in Loop: Header=BB21_5 Depth=2
	s_ashr_i32 s40, s39, 31
	v_dual_mov_b32 v13, v2 :: v_dual_ashrrev_i32 v8, 31, v7
	s_mov_b32 s41, s40
	s_delay_alu instid0(SALU_CYCLE_1) | instskip(NEXT) | instid1(VALU_DEP_1)
	s_add_nc_u64 s[42:43], s[38:39], s[40:41]
	v_mov_b32_e32 v9, v8
	s_xor_b64 s[42:43], s[42:43], s[40:41]
	s_delay_alu instid0(SALU_CYCLE_1)
	s_cvt_f32_u32 s0, s42
	s_cvt_f32_u32 s2, s43
	s_sub_nc_u64 s[48:49], 0, s[42:43]
	v_add_nc_u64_e32 v[10:11], v[6:7], v[8:9]
	v_mov_b32_e32 v17, v2
	s_fmamk_f32 s0, s2, 0x4f800000, s0
	s_delay_alu instid0(SALU_CYCLE_3) | instskip(NEXT) | instid1(VALU_DEP_2)
	v_s_rcp_f32 s0, s0
	v_xor_b32_e32 v12, v10, v8
	s_delay_alu instid0(VALU_DEP_3) | instskip(SKIP_1) | instid1(TRANS32_DEP_1)
	v_dual_mov_b32 v21, v2 :: v_dual_bitop2_b32 v16, v11, v8 bitop3:0x14
	v_xor_b32_e32 v8, s40, v8
	s_mul_f32 s0, s0, 0x5f7ffffc
	s_delay_alu instid0(SALU_CYCLE_3) | instskip(NEXT) | instid1(SALU_CYCLE_3)
	s_mul_f32 s2, s0, 0x2f800000
	s_trunc_f32 s2, s2
	s_delay_alu instid0(SALU_CYCLE_3) | instskip(SKIP_1) | instid1(SALU_CYCLE_2)
	s_fmamk_f32 s0, s2, 0xcf800000, s0
	s_cvt_u32_f32 s47, s2
	s_cvt_u32_f32 s46, s0
	s_delay_alu instid0(SALU_CYCLE_3) | instskip(NEXT) | instid1(SALU_CYCLE_1)
	s_mul_u64 s[50:51], s[48:49], s[46:47]
	s_mul_hi_u32 s53, s46, s51
	s_mul_i32 s52, s46, s51
	s_mul_hi_u32 s2, s46, s50
	s_mul_i32 s41, s47, s50
	s_add_nc_u64 s[52:53], s[2:3], s[52:53]
	s_mul_hi_u32 s0, s47, s50
	s_mul_hi_u32 s54, s47, s51
	s_add_co_u32 s2, s52, s41
	s_add_co_ci_u32 s2, s53, s0
	s_mul_i32 s50, s47, s51
	s_add_co_ci_u32 s51, s54, 0
	s_delay_alu instid0(SALU_CYCLE_1) | instskip(NEXT) | instid1(SALU_CYCLE_1)
	s_add_nc_u64 s[50:51], s[2:3], s[50:51]
	s_add_co_u32 s46, s46, s50
	s_cselect_b32 s0, -1, 0
	s_delay_alu instid0(SALU_CYCLE_1) | instskip(SKIP_1) | instid1(SALU_CYCLE_1)
	s_cmp_lg_u32 s0, 0
	s_add_co_ci_u32 s47, s47, s51
	s_mul_u64 s[48:49], s[48:49], s[46:47]
	s_delay_alu instid0(SALU_CYCLE_1)
	s_mul_hi_u32 s51, s46, s49
	s_mul_i32 s50, s46, s49
	s_mul_hi_u32 s2, s46, s48
	s_mul_i32 s41, s47, s48
	s_add_nc_u64 s[50:51], s[2:3], s[50:51]
	s_mul_hi_u32 s0, s47, s48
	s_mul_hi_u32 s52, s47, s49
	s_add_co_u32 s2, s50, s41
	s_add_co_ci_u32 s2, s51, s0
	s_mul_i32 s48, s47, s49
	s_add_co_ci_u32 s49, s52, 0
	s_delay_alu instid0(SALU_CYCLE_1) | instskip(NEXT) | instid1(SALU_CYCLE_1)
	s_add_nc_u64 s[48:49], s[2:3], s[48:49]
	s_add_co_u32 s0, s46, s48
	s_cselect_b32 s2, -1, 0
	v_mul_hi_u32 v20, v12, s0
	s_cmp_lg_u32 s2, 0
	s_add_co_ci_u32 s2, s47, s49
	s_and_b64 s[46:47], s[0:1], s[28:29]
	v_mul_u64_e32 v[14:15], s[2:3], v[12:13]
	v_mul_u64_e32 v[10:11], s[46:47], v[16:17]
	;; [unrolled: 1-line block ×3, first 2 shown]
	s_delay_alu instid0(VALU_DEP_3) | instskip(NEXT) | instid1(VALU_DEP_1)
	v_add_nc_u64_e32 v[14:15], v[20:21], v[14:15]
	v_add_co_u32 v3, vcc_lo, v14, v10
	s_delay_alu instid0(VALU_DEP_2) | instskip(NEXT) | instid1(VALU_DEP_4)
	v_add_co_ci_u32_e32 v20, vcc_lo, v15, v11, vcc_lo
	v_add_co_ci_u32_e32 v19, vcc_lo, 0, v19, vcc_lo
	s_delay_alu instid0(VALU_DEP_1) | instskip(NEXT) | instid1(VALU_DEP_1)
	v_add_nc_u64_e32 v[10:11], v[20:21], v[18:19]
	v_mul_u64_e32 v[14:15], s[42:43], v[10:11]
	s_delay_alu instid0(VALU_DEP_1) | instskip(NEXT) | instid1(VALU_DEP_2)
	v_sub_nc_u32_e32 v3, v16, v15
	v_sub_co_u32 v9, vcc_lo, v12, v14
	s_delay_alu instid0(VALU_DEP_1) | instskip(NEXT) | instid1(VALU_DEP_3)
	v_sub_co_ci_u32_e64 v16, null, v16, v15, vcc_lo
	v_subrev_co_ci_u32_e64 v3, null, s43, v3, vcc_lo
	s_delay_alu instid0(VALU_DEP_3) | instskip(SKIP_1) | instid1(VALU_DEP_3)
	v_sub_co_u32 v12, s0, v9, s42
	v_add_nc_u64_e32 v[14:15], 1, v[10:11]
	v_subrev_co_ci_u32_e64 v3, null, 0, v3, s0
	s_delay_alu instid0(VALU_DEP_3) | instskip(SKIP_1) | instid1(VALU_DEP_3)
	v_cmp_le_u32_e32 vcc_lo, s42, v12
	v_cndmask_b32_e64 v12, 0, -1, vcc_lo
	v_cmp_le_u32_e32 vcc_lo, s43, v3
	v_cndmask_b32_e64 v13, 0, -1, vcc_lo
	;; [unrolled: 2-line block ×4, first 2 shown]
	v_cmp_eq_u32_e32 vcc_lo, s43, v3
	v_cndmask_b32_e32 v3, v13, v12, vcc_lo
	v_cmp_eq_u32_e32 vcc_lo, s43, v16
	v_add_nc_u64_e32 v[12:13], 2, v[10:11]
	v_cndmask_b32_e32 v9, v17, v9, vcc_lo
	s_delay_alu instid0(VALU_DEP_4) | instskip(NEXT) | instid1(VALU_DEP_2)
	v_cmp_ne_u32_e32 vcc_lo, 0, v3
	v_cmp_ne_u32_e64 s0, 0, v9
	s_delay_alu instid0(VALU_DEP_4) | instskip(NEXT) | instid1(VALU_DEP_1)
	v_dual_cndmask_b32 v3, v15, v13, vcc_lo :: v_dual_cndmask_b32 v9, v14, v12, vcc_lo
	v_dual_cndmask_b32 v10, v10, v9, s0 :: v_dual_mov_b32 v9, v8
	s_delay_alu instid0(VALU_DEP_1) | instskip(NEXT) | instid1(VALU_DEP_1)
	v_dual_cndmask_b32 v3, v11, v3, s0 :: v_dual_bitop2_b32 v10, v10, v8 bitop3:0x14
	v_xor_b32_e32 v11, v3, v8
	s_delay_alu instid0(VALU_DEP_1)
	v_sub_nc_u64_e32 v[8:9], v[10:11], v[8:9]
.LBB21_7:                               ;   in Loop: Header=BB21_5 Depth=2
	s_and_not1_saveexec_b32 s0, s45
	s_cbranch_execz .LBB21_9
; %bb.8:                                ;   in Loop: Header=BB21_5 Depth=2
	v_cvt_f32_u32_e32 v3, s38
	s_sub_co_i32 s2, 0, s38
	s_delay_alu instid0(VALU_DEP_1) | instskip(SKIP_1) | instid1(TRANS32_DEP_1)
	v_rcp_iflag_f32_e32 v3, v3
	v_nop
	v_mul_f32_e32 v3, 0x4f7ffffe, v3
	s_delay_alu instid0(VALU_DEP_1) | instskip(NEXT) | instid1(VALU_DEP_1)
	v_cvt_u32_f32_e32 v3, v3
	v_mul_lo_u32 v8, s2, v3
	s_delay_alu instid0(VALU_DEP_1) | instskip(NEXT) | instid1(VALU_DEP_1)
	v_mul_hi_u32 v8, v3, v8
	v_add_nc_u32_e32 v3, v3, v8
	s_delay_alu instid0(VALU_DEP_1) | instskip(NEXT) | instid1(VALU_DEP_1)
	v_mul_hi_u32 v3, v6, v3
	v_mul_lo_u32 v8, v3, s38
	s_delay_alu instid0(VALU_DEP_1) | instskip(NEXT) | instid1(VALU_DEP_1)
	v_dual_add_nc_u32 v9, 1, v3 :: v_dual_sub_nc_u32 v8, v6, v8
	v_subrev_nc_u32_e32 v10, s38, v8
	v_cmp_le_u32_e32 vcc_lo, s38, v8
	s_delay_alu instid0(VALU_DEP_2) | instskip(NEXT) | instid1(VALU_DEP_1)
	v_dual_cndmask_b32 v8, v8, v10 :: v_dual_cndmask_b32 v3, v3, v9
	v_cmp_le_u32_e32 vcc_lo, s38, v8
	s_delay_alu instid0(VALU_DEP_2) | instskip(NEXT) | instid1(VALU_DEP_1)
	v_add_nc_u32_e32 v9, 1, v3
	v_dual_cndmask_b32 v8, v3, v9 :: v_dual_mov_b32 v9, v2
.LBB21_9:                               ;   in Loop: Header=BB21_5 Depth=2
	s_or_b32 exec_lo, exec_lo, s0
	s_delay_alu instid0(VALU_DEP_1)
	v_mul_u64_e32 v[10:11], s[38:39], v[8:9]
	s_load_b64 s[38:39], s[36:37], 0xc8
	s_add_co_i32 s31, s31, -1
	s_wait_xcnt 0x0
	s_add_nc_u64 s[36:37], s[36:37], -8
	s_cmp_gt_u32 s31, 2
	s_delay_alu instid0(VALU_DEP_1) | instskip(SKIP_1) | instid1(VALU_DEP_1)
	v_sub_nc_u64_e32 v[6:7], v[6:7], v[10:11]
	s_wait_kmcnt 0x0
	v_mad_nc_u64_u32 v[4:5], s38, v6, v[4:5]
	s_delay_alu instid0(VALU_DEP_1) | instskip(NEXT) | instid1(VALU_DEP_1)
	v_mad_u32 v3, s39, v6, v5
	v_mad_u32 v5, s38, v7, v3
	s_cbranch_scc0 .LBB21_11
; %bb.10:                               ;   in Loop: Header=BB21_5 Depth=2
	v_mov_b64_e32 v[6:7], v[8:9]
	s_branch .LBB21_5
.LBB21_11:                              ;   in Loop: Header=BB21_4 Depth=1
	s_delay_alu instid0(VALU_DEP_1) | instskip(NEXT) | instid1(VALU_DEP_1)
	v_mad_nc_u64_u32 v[6:7], s20, v8, s[22:23]
	v_mad_u32 v3, s21, v8, v7
	s_delay_alu instid0(VALU_DEP_1) | instskip(NEXT) | instid1(VALU_DEP_1)
	v_mad_u32 v7, s20, v9, v3
	v_add_nc_u64_e32 v[4:5], v[6:7], v[4:5]
	global_load_i8 v3, v[4:5], off
	s_wait_loadcnt 0x0
	s_wait_xcnt 0x0
	v_bfe_i32 v4, v3, 0, 16
	s_delay_alu instid0(VALU_DEP_1) | instskip(NEXT) | instid1(VALU_DEP_1)
	v_ashrrev_i32_e32 v5, 31, v4
	v_cmp_le_i64_e32 vcc_lo, s[6:7], v[4:5]
	v_cmp_ge_i64_e64 s0, s[8:9], v[4:5]
	s_and_b32 s0, vcc_lo, s0
	s_delay_alu instid0(SALU_CYCLE_1)
	s_and_saveexec_b32 s38, s0
	s_cbranch_execz .LBB21_3
; %bb.12:                               ;   in Loop: Header=BB21_4 Depth=1
	v_sub_nc_u64_e64 v[4:5], v[4:5], s[6:7]
                                        ; implicit-def: $vgpr6_vgpr7
	s_mov_b32 s0, exec_lo
	s_delay_alu instid0(VALU_DEP_1) | instskip(NEXT) | instid1(VALU_DEP_1)
	v_mul_u64_e32 v[4:5], s[4:5], v[4:5]
	v_or_b32_e32 v3, s25, v5
	s_delay_alu instid0(VALU_DEP_1)
	v_cmpx_ne_u64_e32 0, v[2:3]
	s_xor_b32 s39, exec_lo, s0
	s_cbranch_execz .LBB21_14
; %bb.13:                               ;   in Loop: Header=BB21_4 Depth=1
	s_mov_b32 s31, s30
	v_dual_mov_b32 v9, v2 :: v_dual_ashrrev_i32 v6, 31, v5
	s_add_nc_u64 s[36:37], s[24:25], s[30:31]
	s_delay_alu instid0(SALU_CYCLE_1) | instskip(NEXT) | instid1(VALU_DEP_1)
	s_xor_b64 s[36:37], s[36:37], s[30:31]
	v_mov_b32_e32 v7, v6
	s_cvt_f32_u32 s0, s36
	s_cvt_f32_u32 s2, s37
	s_sub_nc_u64 s[42:43], 0, s[36:37]
	s_delay_alu instid0(VALU_DEP_1) | instskip(NEXT) | instid1(SALU_CYCLE_1)
	v_add_nc_u64_e32 v[4:5], v[4:5], v[6:7]
	s_fmamk_f32 s0, s2, 0x4f800000, s0
	v_mov_b32_e32 v13, v2
	s_delay_alu instid0(SALU_CYCLE_2) | instskip(NEXT) | instid1(VALU_DEP_2)
	v_s_rcp_f32 s0, s0
	v_xor_b32_e32 v8, v4, v6
	s_delay_alu instid0(VALU_DEP_3) | instskip(NEXT) | instid1(TRANS32_DEP_1)
	v_dual_mov_b32 v17, v2 :: v_dual_bitop2_b32 v12, v5, v6 bitop3:0x14
	s_mul_f32 s0, s0, 0x5f7ffffc
	s_delay_alu instid0(SALU_CYCLE_3) | instskip(NEXT) | instid1(SALU_CYCLE_3)
	s_mul_f32 s2, s0, 0x2f800000
	s_trunc_f32 s2, s2
	s_delay_alu instid0(SALU_CYCLE_3) | instskip(SKIP_1) | instid1(SALU_CYCLE_2)
	s_fmamk_f32 s0, s2, 0xcf800000, s0
	s_cvt_u32_f32 s41, s2
	s_cvt_u32_f32 s40, s0
	s_delay_alu instid0(SALU_CYCLE_3) | instskip(NEXT) | instid1(SALU_CYCLE_1)
	s_mul_u64 s[46:47], s[42:43], s[40:41]
	s_mul_hi_u32 s49, s40, s47
	s_mul_i32 s48, s40, s47
	s_mul_hi_u32 s2, s40, s46
	s_mul_i32 s31, s41, s46
	s_add_nc_u64 s[48:49], s[2:3], s[48:49]
	s_mul_hi_u32 s0, s41, s46
	s_mul_hi_u32 s45, s41, s47
	s_add_co_u32 s2, s48, s31
	s_add_co_ci_u32 s2, s49, s0
	s_mul_i32 s46, s41, s47
	s_add_co_ci_u32 s47, s45, 0
	s_delay_alu instid0(SALU_CYCLE_1) | instskip(NEXT) | instid1(SALU_CYCLE_1)
	s_add_nc_u64 s[46:47], s[2:3], s[46:47]
	s_add_co_u32 s40, s40, s46
	s_cselect_b32 s0, -1, 0
	s_delay_alu instid0(SALU_CYCLE_1) | instskip(SKIP_1) | instid1(SALU_CYCLE_1)
	s_cmp_lg_u32 s0, 0
	s_add_co_ci_u32 s41, s41, s47
	s_mul_u64 s[42:43], s[42:43], s[40:41]
	s_delay_alu instid0(SALU_CYCLE_1)
	s_mul_hi_u32 s47, s40, s43
	s_mul_i32 s46, s40, s43
	s_mul_hi_u32 s2, s40, s42
	s_mul_i32 s31, s41, s42
	s_add_nc_u64 s[46:47], s[2:3], s[46:47]
	s_mul_hi_u32 s0, s41, s42
	s_mul_hi_u32 s45, s41, s43
	s_add_co_u32 s2, s46, s31
	s_add_co_ci_u32 s2, s47, s0
	s_mul_i32 s42, s41, s43
	s_add_co_ci_u32 s43, s45, 0
	s_delay_alu instid0(SALU_CYCLE_1) | instskip(NEXT) | instid1(SALU_CYCLE_1)
	s_add_nc_u64 s[42:43], s[2:3], s[42:43]
	s_add_co_u32 s0, s40, s42
	s_cselect_b32 s2, -1, 0
	v_mul_hi_u32 v16, v8, s0
	s_cmp_lg_u32 s2, 0
	s_add_co_ci_u32 s2, s41, s43
	s_and_b64 s[40:41], s[0:1], s[28:29]
	v_mul_u64_e32 v[10:11], s[2:3], v[8:9]
	v_mul_u64_e32 v[4:5], s[40:41], v[12:13]
	;; [unrolled: 1-line block ×3, first 2 shown]
	s_delay_alu instid0(VALU_DEP_3) | instskip(NEXT) | instid1(VALU_DEP_1)
	v_add_nc_u64_e32 v[10:11], v[16:17], v[10:11]
	v_add_co_u32 v3, vcc_lo, v10, v4
	s_delay_alu instid0(VALU_DEP_2) | instskip(NEXT) | instid1(VALU_DEP_4)
	v_add_co_ci_u32_e32 v16, vcc_lo, v11, v5, vcc_lo
	v_add_co_ci_u32_e32 v15, vcc_lo, 0, v15, vcc_lo
	s_delay_alu instid0(VALU_DEP_1) | instskip(NEXT) | instid1(VALU_DEP_1)
	v_add_nc_u64_e32 v[4:5], v[16:17], v[14:15]
	v_mul_u64_e32 v[10:11], s[36:37], v[4:5]
	s_delay_alu instid0(VALU_DEP_1) | instskip(NEXT) | instid1(VALU_DEP_2)
	v_sub_nc_u32_e32 v3, v12, v11
	v_sub_co_u32 v7, vcc_lo, v8, v10
	s_delay_alu instid0(VALU_DEP_1) | instskip(NEXT) | instid1(VALU_DEP_3)
	v_sub_co_ci_u32_e64 v12, null, v12, v11, vcc_lo
	v_subrev_co_ci_u32_e64 v3, null, s37, v3, vcc_lo
	s_delay_alu instid0(VALU_DEP_3) | instskip(SKIP_1) | instid1(VALU_DEP_3)
	v_sub_co_u32 v8, s0, v7, s36
	v_add_nc_u64_e32 v[10:11], 1, v[4:5]
	v_subrev_co_ci_u32_e64 v3, null, 0, v3, s0
	s_delay_alu instid0(VALU_DEP_3) | instskip(SKIP_1) | instid1(VALU_DEP_3)
	v_cmp_le_u32_e32 vcc_lo, s36, v8
	v_cndmask_b32_e64 v8, 0, -1, vcc_lo
	v_cmp_le_u32_e32 vcc_lo, s37, v3
	v_cndmask_b32_e64 v9, 0, -1, vcc_lo
	;; [unrolled: 2-line block ×4, first 2 shown]
	v_cmp_eq_u32_e32 vcc_lo, s37, v3
	v_cndmask_b32_e32 v3, v9, v8, vcc_lo
	v_cmp_eq_u32_e32 vcc_lo, s37, v12
	v_add_nc_u64_e32 v[8:9], 2, v[4:5]
	v_cndmask_b32_e32 v7, v13, v7, vcc_lo
	s_delay_alu instid0(VALU_DEP_4) | instskip(NEXT) | instid1(VALU_DEP_3)
	v_cmp_ne_u32_e32 vcc_lo, 0, v3
	v_cndmask_b32_e32 v3, v11, v9, vcc_lo
	s_delay_alu instid0(VALU_DEP_3) | instskip(SKIP_1) | instid1(VALU_DEP_2)
	v_cmp_ne_u32_e64 s0, 0, v7
	v_dual_cndmask_b32 v7, v10, v8, vcc_lo :: v_dual_bitop2_b32 v6, s30, v6 bitop3:0x14
	v_cndmask_b32_e64 v3, v5, v3, s0
	s_delay_alu instid0(VALU_DEP_2) | instskip(NEXT) | instid1(VALU_DEP_2)
	v_dual_cndmask_b32 v4, v4, v7, s0 :: v_dual_mov_b32 v7, v6
	v_xor_b32_e32 v5, v3, v6
	s_delay_alu instid0(VALU_DEP_2) | instskip(NEXT) | instid1(VALU_DEP_1)
	v_xor_b32_e32 v4, v4, v6
	v_sub_nc_u64_e32 v[6:7], v[4:5], v[6:7]
                                        ; implicit-def: $vgpr4_vgpr5
.LBB21_14:                              ;   in Loop: Header=BB21_4 Depth=1
	s_and_not1_saveexec_b32 s0, s39
	s_cbranch_execz .LBB21_2
; %bb.15:                               ;   in Loop: Header=BB21_4 Depth=1
	v_cvt_f32_u32_e32 v3, s24
	s_sub_co_i32 s2, 0, s24
	s_delay_alu instid0(VALU_DEP_1) | instskip(SKIP_1) | instid1(TRANS32_DEP_1)
	v_rcp_iflag_f32_e32 v3, v3
	v_nop
	v_mul_f32_e32 v3, 0x4f7ffffe, v3
	s_delay_alu instid0(VALU_DEP_1) | instskip(NEXT) | instid1(VALU_DEP_1)
	v_cvt_u32_f32_e32 v3, v3
	v_mul_lo_u32 v5, s2, v3
	s_delay_alu instid0(VALU_DEP_1) | instskip(NEXT) | instid1(VALU_DEP_1)
	v_mul_hi_u32 v5, v3, v5
	v_add_nc_u32_e32 v3, v3, v5
	s_delay_alu instid0(VALU_DEP_1) | instskip(NEXT) | instid1(VALU_DEP_1)
	v_mul_hi_u32 v3, v4, v3
	v_mul_lo_u32 v5, v3, s24
	s_delay_alu instid0(VALU_DEP_1) | instskip(NEXT) | instid1(VALU_DEP_1)
	v_dual_sub_nc_u32 v4, v4, v5 :: v_dual_add_nc_u32 v5, 1, v3
	v_subrev_nc_u32_e32 v6, s24, v4
	v_cmp_le_u32_e32 vcc_lo, s24, v4
	s_delay_alu instid0(VALU_DEP_2) | instskip(NEXT) | instid1(VALU_DEP_1)
	v_dual_cndmask_b32 v4, v4, v6 :: v_dual_cndmask_b32 v3, v3, v5
	v_cmp_le_u32_e32 vcc_lo, s24, v4
	s_delay_alu instid0(VALU_DEP_2) | instskip(NEXT) | instid1(VALU_DEP_1)
	v_add_nc_u32_e32 v5, 1, v3
	v_cndmask_b32_e32 v6, v3, v5, vcc_lo
	s_branch .LBB21_2
.LBB21_16:
	s_endpgm
	.section	.rodata,"a",@progbits
	.p2align	6, 0x0
	.amdhsa_kernel _ZN2at4cuda17kernelHistogram1DIdalLi1ELi2ELin1ELNS0_23CUDAHistogramMemoryTypeE1EZNS0_21CUDA_tensor_histogramIdaLb1EEEbNS_6TensorES4_S4_lNS_14AccumulateTypeIT0_Lb1EE4typeES8_NS0_13TensorArgTypeES9_S9_EUllE_EEvNS0_6detail10TensorInfoIT_T1_EESF_NSC_IKS6_SE_EElS8_S8_SE_T6_
		.amdhsa_group_segment_fixed_size 0
		.amdhsa_private_segment_fixed_size 0
		.amdhsa_kernarg_size 1952
		.amdhsa_user_sgpr_count 2
		.amdhsa_user_sgpr_dispatch_ptr 0
		.amdhsa_user_sgpr_queue_ptr 0
		.amdhsa_user_sgpr_kernarg_segment_ptr 1
		.amdhsa_user_sgpr_dispatch_id 0
		.amdhsa_user_sgpr_kernarg_preload_length 0
		.amdhsa_user_sgpr_kernarg_preload_offset 0
		.amdhsa_user_sgpr_private_segment_size 0
		.amdhsa_wavefront_size32 1
		.amdhsa_uses_dynamic_stack 0
		.amdhsa_enable_private_segment 0
		.amdhsa_system_sgpr_workgroup_id_x 1
		.amdhsa_system_sgpr_workgroup_id_y 0
		.amdhsa_system_sgpr_workgroup_id_z 0
		.amdhsa_system_sgpr_workgroup_info 0
		.amdhsa_system_vgpr_workitem_id 0
		.amdhsa_next_free_vgpr 22
		.amdhsa_next_free_sgpr 55
		.amdhsa_named_barrier_count 0
		.amdhsa_reserve_vcc 1
		.amdhsa_float_round_mode_32 0
		.amdhsa_float_round_mode_16_64 0
		.amdhsa_float_denorm_mode_32 3
		.amdhsa_float_denorm_mode_16_64 3
		.amdhsa_fp16_overflow 0
		.amdhsa_memory_ordered 1
		.amdhsa_forward_progress 1
		.amdhsa_inst_pref_size 17
		.amdhsa_round_robin_scheduling 0
		.amdhsa_exception_fp_ieee_invalid_op 0
		.amdhsa_exception_fp_denorm_src 0
		.amdhsa_exception_fp_ieee_div_zero 0
		.amdhsa_exception_fp_ieee_overflow 0
		.amdhsa_exception_fp_ieee_underflow 0
		.amdhsa_exception_fp_ieee_inexact 0
		.amdhsa_exception_int_div_zero 0
	.end_amdhsa_kernel
	.section	.text._ZN2at4cuda17kernelHistogram1DIdalLi1ELi2ELin1ELNS0_23CUDAHistogramMemoryTypeE1EZNS0_21CUDA_tensor_histogramIdaLb1EEEbNS_6TensorES4_S4_lNS_14AccumulateTypeIT0_Lb1EE4typeES8_NS0_13TensorArgTypeES9_S9_EUllE_EEvNS0_6detail10TensorInfoIT_T1_EESF_NSC_IKS6_SE_EElS8_S8_SE_T6_,"axG",@progbits,_ZN2at4cuda17kernelHistogram1DIdalLi1ELi2ELin1ELNS0_23CUDAHistogramMemoryTypeE1EZNS0_21CUDA_tensor_histogramIdaLb1EEEbNS_6TensorES4_S4_lNS_14AccumulateTypeIT0_Lb1EE4typeES8_NS0_13TensorArgTypeES9_S9_EUllE_EEvNS0_6detail10TensorInfoIT_T1_EESF_NSC_IKS6_SE_EElS8_S8_SE_T6_,comdat
.Lfunc_end21:
	.size	_ZN2at4cuda17kernelHistogram1DIdalLi1ELi2ELin1ELNS0_23CUDAHistogramMemoryTypeE1EZNS0_21CUDA_tensor_histogramIdaLb1EEEbNS_6TensorES4_S4_lNS_14AccumulateTypeIT0_Lb1EE4typeES8_NS0_13TensorArgTypeES9_S9_EUllE_EEvNS0_6detail10TensorInfoIT_T1_EESF_NSC_IKS6_SE_EElS8_S8_SE_T6_, .Lfunc_end21-_ZN2at4cuda17kernelHistogram1DIdalLi1ELi2ELin1ELNS0_23CUDAHistogramMemoryTypeE1EZNS0_21CUDA_tensor_histogramIdaLb1EEEbNS_6TensorES4_S4_lNS_14AccumulateTypeIT0_Lb1EE4typeES8_NS0_13TensorArgTypeES9_S9_EUllE_EEvNS0_6detail10TensorInfoIT_T1_EESF_NSC_IKS6_SE_EElS8_S8_SE_T6_
                                        ; -- End function
	.set _ZN2at4cuda17kernelHistogram1DIdalLi1ELi2ELin1ELNS0_23CUDAHistogramMemoryTypeE1EZNS0_21CUDA_tensor_histogramIdaLb1EEEbNS_6TensorES4_S4_lNS_14AccumulateTypeIT0_Lb1EE4typeES8_NS0_13TensorArgTypeES9_S9_EUllE_EEvNS0_6detail10TensorInfoIT_T1_EESF_NSC_IKS6_SE_EElS8_S8_SE_T6_.num_vgpr, 22
	.set _ZN2at4cuda17kernelHistogram1DIdalLi1ELi2ELin1ELNS0_23CUDAHistogramMemoryTypeE1EZNS0_21CUDA_tensor_histogramIdaLb1EEEbNS_6TensorES4_S4_lNS_14AccumulateTypeIT0_Lb1EE4typeES8_NS0_13TensorArgTypeES9_S9_EUllE_EEvNS0_6detail10TensorInfoIT_T1_EESF_NSC_IKS6_SE_EElS8_S8_SE_T6_.num_agpr, 0
	.set _ZN2at4cuda17kernelHistogram1DIdalLi1ELi2ELin1ELNS0_23CUDAHistogramMemoryTypeE1EZNS0_21CUDA_tensor_histogramIdaLb1EEEbNS_6TensorES4_S4_lNS_14AccumulateTypeIT0_Lb1EE4typeES8_NS0_13TensorArgTypeES9_S9_EUllE_EEvNS0_6detail10TensorInfoIT_T1_EESF_NSC_IKS6_SE_EElS8_S8_SE_T6_.numbered_sgpr, 55
	.set _ZN2at4cuda17kernelHistogram1DIdalLi1ELi2ELin1ELNS0_23CUDAHistogramMemoryTypeE1EZNS0_21CUDA_tensor_histogramIdaLb1EEEbNS_6TensorES4_S4_lNS_14AccumulateTypeIT0_Lb1EE4typeES8_NS0_13TensorArgTypeES9_S9_EUllE_EEvNS0_6detail10TensorInfoIT_T1_EESF_NSC_IKS6_SE_EElS8_S8_SE_T6_.num_named_barrier, 0
	.set _ZN2at4cuda17kernelHistogram1DIdalLi1ELi2ELin1ELNS0_23CUDAHistogramMemoryTypeE1EZNS0_21CUDA_tensor_histogramIdaLb1EEEbNS_6TensorES4_S4_lNS_14AccumulateTypeIT0_Lb1EE4typeES8_NS0_13TensorArgTypeES9_S9_EUllE_EEvNS0_6detail10TensorInfoIT_T1_EESF_NSC_IKS6_SE_EElS8_S8_SE_T6_.private_seg_size, 0
	.set _ZN2at4cuda17kernelHistogram1DIdalLi1ELi2ELin1ELNS0_23CUDAHistogramMemoryTypeE1EZNS0_21CUDA_tensor_histogramIdaLb1EEEbNS_6TensorES4_S4_lNS_14AccumulateTypeIT0_Lb1EE4typeES8_NS0_13TensorArgTypeES9_S9_EUllE_EEvNS0_6detail10TensorInfoIT_T1_EESF_NSC_IKS6_SE_EElS8_S8_SE_T6_.uses_vcc, 1
	.set _ZN2at4cuda17kernelHistogram1DIdalLi1ELi2ELin1ELNS0_23CUDAHistogramMemoryTypeE1EZNS0_21CUDA_tensor_histogramIdaLb1EEEbNS_6TensorES4_S4_lNS_14AccumulateTypeIT0_Lb1EE4typeES8_NS0_13TensorArgTypeES9_S9_EUllE_EEvNS0_6detail10TensorInfoIT_T1_EESF_NSC_IKS6_SE_EElS8_S8_SE_T6_.uses_flat_scratch, 0
	.set _ZN2at4cuda17kernelHistogram1DIdalLi1ELi2ELin1ELNS0_23CUDAHistogramMemoryTypeE1EZNS0_21CUDA_tensor_histogramIdaLb1EEEbNS_6TensorES4_S4_lNS_14AccumulateTypeIT0_Lb1EE4typeES8_NS0_13TensorArgTypeES9_S9_EUllE_EEvNS0_6detail10TensorInfoIT_T1_EESF_NSC_IKS6_SE_EElS8_S8_SE_T6_.has_dyn_sized_stack, 0
	.set _ZN2at4cuda17kernelHistogram1DIdalLi1ELi2ELin1ELNS0_23CUDAHistogramMemoryTypeE1EZNS0_21CUDA_tensor_histogramIdaLb1EEEbNS_6TensorES4_S4_lNS_14AccumulateTypeIT0_Lb1EE4typeES8_NS0_13TensorArgTypeES9_S9_EUllE_EEvNS0_6detail10TensorInfoIT_T1_EESF_NSC_IKS6_SE_EElS8_S8_SE_T6_.has_recursion, 0
	.set _ZN2at4cuda17kernelHistogram1DIdalLi1ELi2ELin1ELNS0_23CUDAHistogramMemoryTypeE1EZNS0_21CUDA_tensor_histogramIdaLb1EEEbNS_6TensorES4_S4_lNS_14AccumulateTypeIT0_Lb1EE4typeES8_NS0_13TensorArgTypeES9_S9_EUllE_EEvNS0_6detail10TensorInfoIT_T1_EESF_NSC_IKS6_SE_EElS8_S8_SE_T6_.has_indirect_call, 0
	.section	.AMDGPU.csdata,"",@progbits
; Kernel info:
; codeLenInByte = 2112
; TotalNumSgprs: 57
; NumVgprs: 22
; ScratchSize: 0
; MemoryBound: 0
; FloatMode: 240
; IeeeMode: 1
; LDSByteSize: 0 bytes/workgroup (compile time only)
; SGPRBlocks: 0
; VGPRBlocks: 1
; NumSGPRsForWavesPerEU: 57
; NumVGPRsForWavesPerEU: 22
; NamedBarCnt: 0
; Occupancy: 16
; WaveLimiterHint : 1
; COMPUTE_PGM_RSRC2:SCRATCH_EN: 0
; COMPUTE_PGM_RSRC2:USER_SGPR: 2
; COMPUTE_PGM_RSRC2:TRAP_HANDLER: 0
; COMPUTE_PGM_RSRC2:TGID_X_EN: 1
; COMPUTE_PGM_RSRC2:TGID_Y_EN: 0
; COMPUTE_PGM_RSRC2:TGID_Z_EN: 0
; COMPUTE_PGM_RSRC2:TIDIG_COMP_CNT: 0
	.section	.text._ZN2at4cuda17kernelHistogram1DIdalLi1ELi2ELin1ELNS0_23CUDAHistogramMemoryTypeE0EZNS0_21CUDA_tensor_histogramIdaLb1EEEbNS_6TensorES4_S4_lNS_14AccumulateTypeIT0_Lb1EE4typeES8_NS0_13TensorArgTypeES9_S9_EUllE0_EEvNS0_6detail10TensorInfoIT_T1_EESF_NSC_IKS6_SE_EElS8_S8_SE_T6_,"axG",@progbits,_ZN2at4cuda17kernelHistogram1DIdalLi1ELi2ELin1ELNS0_23CUDAHistogramMemoryTypeE0EZNS0_21CUDA_tensor_histogramIdaLb1EEEbNS_6TensorES4_S4_lNS_14AccumulateTypeIT0_Lb1EE4typeES8_NS0_13TensorArgTypeES9_S9_EUllE0_EEvNS0_6detail10TensorInfoIT_T1_EESF_NSC_IKS6_SE_EElS8_S8_SE_T6_,comdat
	.protected	_ZN2at4cuda17kernelHistogram1DIdalLi1ELi2ELin1ELNS0_23CUDAHistogramMemoryTypeE0EZNS0_21CUDA_tensor_histogramIdaLb1EEEbNS_6TensorES4_S4_lNS_14AccumulateTypeIT0_Lb1EE4typeES8_NS0_13TensorArgTypeES9_S9_EUllE0_EEvNS0_6detail10TensorInfoIT_T1_EESF_NSC_IKS6_SE_EElS8_S8_SE_T6_ ; -- Begin function _ZN2at4cuda17kernelHistogram1DIdalLi1ELi2ELin1ELNS0_23CUDAHistogramMemoryTypeE0EZNS0_21CUDA_tensor_histogramIdaLb1EEEbNS_6TensorES4_S4_lNS_14AccumulateTypeIT0_Lb1EE4typeES8_NS0_13TensorArgTypeES9_S9_EUllE0_EEvNS0_6detail10TensorInfoIT_T1_EESF_NSC_IKS6_SE_EElS8_S8_SE_T6_
	.globl	_ZN2at4cuda17kernelHistogram1DIdalLi1ELi2ELin1ELNS0_23CUDAHistogramMemoryTypeE0EZNS0_21CUDA_tensor_histogramIdaLb1EEEbNS_6TensorES4_S4_lNS_14AccumulateTypeIT0_Lb1EE4typeES8_NS0_13TensorArgTypeES9_S9_EUllE0_EEvNS0_6detail10TensorInfoIT_T1_EESF_NSC_IKS6_SE_EElS8_S8_SE_T6_
	.p2align	8
	.type	_ZN2at4cuda17kernelHistogram1DIdalLi1ELi2ELin1ELNS0_23CUDAHistogramMemoryTypeE0EZNS0_21CUDA_tensor_histogramIdaLb1EEEbNS_6TensorES4_S4_lNS_14AccumulateTypeIT0_Lb1EE4typeES8_NS0_13TensorArgTypeES9_S9_EUllE0_EEvNS0_6detail10TensorInfoIT_T1_EESF_NSC_IKS6_SE_EElS8_S8_SE_T6_,@function
_ZN2at4cuda17kernelHistogram1DIdalLi1ELi2ELin1ELNS0_23CUDAHistogramMemoryTypeE0EZNS0_21CUDA_tensor_histogramIdaLb1EEEbNS_6TensorES4_S4_lNS_14AccumulateTypeIT0_Lb1EE4typeES8_NS0_13TensorArgTypeES9_S9_EUllE0_EEvNS0_6detail10TensorInfoIT_T1_EESF_NSC_IKS6_SE_EElS8_S8_SE_T6_: ; @_ZN2at4cuda17kernelHistogram1DIdalLi1ELi2ELin1ELNS0_23CUDAHistogramMemoryTypeE0EZNS0_21CUDA_tensor_histogramIdaLb1EEEbNS_6TensorES4_S4_lNS_14AccumulateTypeIT0_Lb1EE4typeES8_NS0_13TensorArgTypeES9_S9_EUllE0_EEvNS0_6detail10TensorInfoIT_T1_EESF_NSC_IKS6_SE_EElS8_S8_SE_T6_
; %bb.0:
	s_load_b128 s[12:15], s[0:1], 0x0
	v_mov_b32_e32 v1, 0
	s_add_nc_u64 s[24:25], s[0:1], 0x508
	s_mov_b32 s3, exec_lo
                                        ; implicit-def: $sgpr4
                                        ; implicit-def: $sgpr5
	s_wait_kmcnt 0x0
	s_delay_alu instid0(VALU_DEP_1)
	v_cmp_gt_i64_e64 s2, s[14:15], v[0:1]
	v_cmpx_le_i64_e64 s[14:15], v[0:1]
	s_xor_b32 s3, exec_lo, s3
	s_cbranch_execz .LBB22_2
; %bb.1:
	s_load_b32 s4, s[24:25], 0xc
	s_wait_kmcnt 0x0
	s_and_b32 s5, s4, 0xffff
.LBB22_2:
	s_or_saveexec_b32 s3, s3
	v_dual_mov_b32 v18, s4 :: v_dual_mov_b32 v17, s5
	v_lshl_add_u32 v16, v0, 3, 0
	s_xor_b32 exec_lo, exec_lo, s3
	s_cbranch_execz .LBB22_6
; %bb.3:
	s_load_b32 s6, s[24:25], 0xc
	v_mov_b64_e32 v[2:3], 0
	v_mov_b64_e32 v[4:5], v[0:1]
	v_lshl_add_u32 v6, v0, 3, 0
	s_mov_b32 s5, 0
	s_delay_alu instid0(SALU_CYCLE_1) | instskip(SKIP_2) | instid1(SALU_CYCLE_1)
	s_mov_b32 s7, s5
	s_wait_kmcnt 0x0
	s_and_b32 s4, s6, 0xffff
	s_lshl_b32 s8, s4, 3
.LBB22_4:                               ; =>This Inner Loop Header: Depth=1
	v_add_nc_u64_e32 v[4:5], s[4:5], v[4:5]
	ds_store_b64 v6, v[2:3]
	v_add_nc_u32_e32 v6, s8, v6
	v_cmp_le_i64_e32 vcc_lo, s[14:15], v[4:5]
	s_or_b32 s7, vcc_lo, s7
	s_delay_alu instid0(SALU_CYCLE_1)
	s_and_not1_b32 exec_lo, exec_lo, s7
	s_cbranch_execnz .LBB22_4
; %bb.5:
	s_or_b32 exec_lo, exec_lo, s7
	v_dual_mov_b32 v18, s6 :: v_dual_mov_b32 v17, s4
.LBB22_6:
	s_or_b32 exec_lo, exec_lo, s3
	s_bfe_u32 s3, ttmp6, 0x4000c
	s_clause 0x1
	s_load_b64 s[16:17], s[0:1], 0xd0
	s_load_b256 s[4:11], s[0:1], 0x4e0
	s_add_co_i32 s3, s3, 1
	s_and_b32 s18, ttmp6, 15
	s_mul_i32 s3, ttmp9, s3
	s_getreg_b32 s19, hwreg(HW_REG_IB_STS2, 6, 4)
	s_add_co_i32 s18, s18, s3
	s_cmp_eq_u32 s19, 0
	v_mov_b32_e32 v4, 0
	s_cselect_b32 s3, ttmp9, s18
	s_mov_b32 s19, 0
	v_mad_u32 v2, s3, v17, v0
	s_mov_b32 s3, exec_lo
	v_mov_b32_e32 v3, v4
	s_wait_dscnt 0x0
	s_barrier_signal -1
	s_barrier_wait -1
	s_wait_kmcnt 0x0
	s_delay_alu instid0(VALU_DEP_2)
	v_cmpx_gt_i64_e64 s[10:11], v[2:3]
	s_cbranch_execz .LBB22_22
; %bb.7:
	s_load_b32 s33, s[0:1], 0x4d8
	s_load_b32 s18, s[24:25], 0x0
	s_clause 0x1
	s_load_b64 s[20:21], s[0:1], 0x410
	s_load_b64 s[22:23], s[0:1], 0x340
	s_add_nc_u64 s[28:29], s[0:1], 0x340
	v_mov_b64_e32 v[8:9], 1.0
	v_mov_b32_e32 v7, v4
	s_wait_xcnt 0x0
	s_sub_nc_u64 s[24:25], s[8:9], s[6:7]
	s_mov_b64 s[26:27], 0xffffffff
	s_mov_b32 s42, 0
	s_wait_kmcnt 0x0
	s_cmp_gt_i32 s33, 1
	v_mul_lo_u32 v6, s18, v17
	s_cselect_b32 s1, -1, 0
	s_add_co_i32 s18, s33, -1
	s_add_co_i32 s33, s33, 1
	s_lshl_b64 s[30:31], s[18:19], 3
	s_delay_alu instid0(SALU_CYCLE_1)
	s_add_nc_u64 s[28:29], s[28:29], s[30:31]
	s_ashr_i32 s30, s25, 31
	s_add_nc_u64 s[28:29], s[28:29], 8
	s_branch .LBB22_10
.LBB22_8:                               ;   in Loop: Header=BB22_10 Depth=1
	s_or_b32 exec_lo, exec_lo, s0
	s_delay_alu instid0(VALU_DEP_1) | instskip(NEXT) | instid1(VALU_DEP_1)
	v_ashrrev_i32_e32 v13, 31, v12
	v_cmp_eq_u64_e32 vcc_lo, s[4:5], v[12:13]
	v_subrev_co_ci_u32_e64 v5, null, 0, v12, vcc_lo
	s_delay_alu instid0(VALU_DEP_1)
	v_lshl_add_u32 v5, v5, 3, 0
	ds_add_f64 v5, v[8:9]
.LBB22_9:                               ;   in Loop: Header=BB22_10 Depth=1
	s_or_b32 exec_lo, exec_lo, s36
	v_add_nc_u64_e32 v[2:3], v[2:3], v[6:7]
	s_delay_alu instid0(VALU_DEP_1) | instskip(SKIP_1) | instid1(SALU_CYCLE_1)
	v_cmp_le_i64_e32 vcc_lo, s[10:11], v[2:3]
	s_or_b32 s42, vcc_lo, s42
	s_and_not1_b32 exec_lo, exec_lo, s42
	s_cbranch_execz .LBB22_22
.LBB22_10:                              ; =>This Loop Header: Depth=1
                                        ;     Child Loop BB22_11 Depth 2
	v_mov_b64_e32 v[10:11], 0
	v_mov_b64_e32 v[12:13], v[2:3]
	;; [unrolled: 1-line block ×3, first 2 shown]
	s_and_not1_b32 vcc_lo, exec_lo, s1
	s_mov_b64 s[34:35], s[28:29]
	s_mov_b32 s31, s33
	s_cbranch_vccnz .LBB22_17
.LBB22_11:                              ;   Parent Loop BB22_10 Depth=1
                                        ; =>  This Inner Loop Header: Depth=2
	s_load_b64 s[36:37], s[34:35], 0x0
                                        ; implicit-def: $vgpr14_vgpr15
	s_mov_b32 s0, exec_lo
	s_wait_kmcnt 0x0
	s_delay_alu instid0(VALU_DEP_1) | instskip(NEXT) | instid1(VALU_DEP_1)
	v_or_b32_e32 v5, s37, v13
	v_cmpx_ne_u64_e32 0, v[4:5]
	s_xor_b32 s43, exec_lo, s0
	s_cbranch_execz .LBB22_13
; %bb.12:                               ;   in Loop: Header=BB22_11 Depth=2
	s_ashr_i32 s38, s37, 31
	v_dual_mov_b32 v23, v4 :: v_dual_ashrrev_i32 v14, 31, v13
	s_mov_b32 s39, s38
	s_delay_alu instid0(SALU_CYCLE_1) | instskip(NEXT) | instid1(VALU_DEP_1)
	s_add_nc_u64 s[40:41], s[36:37], s[38:39]
	v_mov_b32_e32 v15, v14
	s_xor_b64 s[40:41], s[40:41], s[38:39]
	s_delay_alu instid0(SALU_CYCLE_1)
	s_cvt_f32_u32 s0, s40
	s_cvt_f32_u32 s18, s41
	s_sub_nc_u64 s[46:47], 0, s[40:41]
	v_add_nc_u64_e32 v[20:21], v[12:13], v[14:15]
	v_mov_b32_e32 v27, v4
	s_fmamk_f32 s0, s18, 0x4f800000, s0
	s_delay_alu instid0(SALU_CYCLE_3) | instskip(NEXT) | instid1(VALU_DEP_2)
	v_s_rcp_f32 s0, s0
	v_xor_b32_e32 v22, v20, v14
	s_delay_alu instid0(VALU_DEP_3) | instskip(SKIP_1) | instid1(TRANS32_DEP_1)
	v_dual_mov_b32 v31, v4 :: v_dual_bitop2_b32 v26, v21, v14 bitop3:0x14
	v_xor_b32_e32 v14, s38, v14
	s_mul_f32 s0, s0, 0x5f7ffffc
	s_delay_alu instid0(SALU_CYCLE_3) | instskip(NEXT) | instid1(SALU_CYCLE_3)
	s_mul_f32 s18, s0, 0x2f800000
	s_trunc_f32 s18, s18
	s_delay_alu instid0(SALU_CYCLE_3) | instskip(SKIP_1) | instid1(SALU_CYCLE_2)
	s_fmamk_f32 s0, s18, 0xcf800000, s0
	s_cvt_u32_f32 s45, s18
	s_cvt_u32_f32 s44, s0
	s_delay_alu instid0(SALU_CYCLE_3) | instskip(NEXT) | instid1(SALU_CYCLE_1)
	s_mul_u64 s[48:49], s[46:47], s[44:45]
	s_mul_hi_u32 s51, s44, s49
	s_mul_i32 s50, s44, s49
	s_mul_hi_u32 s18, s44, s48
	s_mul_i32 s39, s45, s48
	s_add_nc_u64 s[50:51], s[18:19], s[50:51]
	s_mul_hi_u32 s0, s45, s48
	s_mul_hi_u32 s52, s45, s49
	s_add_co_u32 s18, s50, s39
	s_add_co_ci_u32 s18, s51, s0
	s_mul_i32 s48, s45, s49
	s_add_co_ci_u32 s49, s52, 0
	s_delay_alu instid0(SALU_CYCLE_1) | instskip(NEXT) | instid1(SALU_CYCLE_1)
	s_add_nc_u64 s[48:49], s[18:19], s[48:49]
	s_add_co_u32 s44, s44, s48
	s_cselect_b32 s0, -1, 0
	s_delay_alu instid0(SALU_CYCLE_1) | instskip(SKIP_1) | instid1(SALU_CYCLE_1)
	s_cmp_lg_u32 s0, 0
	s_add_co_ci_u32 s45, s45, s49
	s_mul_u64 s[46:47], s[46:47], s[44:45]
	s_delay_alu instid0(SALU_CYCLE_1)
	s_mul_hi_u32 s49, s44, s47
	s_mul_i32 s48, s44, s47
	s_mul_hi_u32 s18, s44, s46
	s_mul_i32 s39, s45, s46
	s_add_nc_u64 s[48:49], s[18:19], s[48:49]
	s_mul_hi_u32 s0, s45, s46
	s_mul_hi_u32 s50, s45, s47
	s_add_co_u32 s18, s48, s39
	s_add_co_ci_u32 s18, s49, s0
	s_mul_i32 s46, s45, s47
	s_add_co_ci_u32 s47, s50, 0
	s_delay_alu instid0(SALU_CYCLE_1) | instskip(NEXT) | instid1(SALU_CYCLE_1)
	s_add_nc_u64 s[46:47], s[18:19], s[46:47]
	s_add_co_u32 s0, s44, s46
	s_cselect_b32 s18, -1, 0
	v_mul_hi_u32 v30, v22, s0
	s_cmp_lg_u32 s18, 0
	s_add_co_ci_u32 s18, s45, s47
	s_and_b64 s[44:45], s[0:1], s[26:27]
	v_mul_u64_e32 v[24:25], s[18:19], v[22:23]
	v_mul_u64_e32 v[20:21], s[44:45], v[26:27]
	;; [unrolled: 1-line block ×3, first 2 shown]
	s_delay_alu instid0(VALU_DEP_3) | instskip(NEXT) | instid1(VALU_DEP_1)
	v_add_nc_u64_e32 v[24:25], v[30:31], v[24:25]
	v_add_co_u32 v5, vcc_lo, v24, v20
	s_delay_alu instid0(VALU_DEP_2) | instskip(NEXT) | instid1(VALU_DEP_4)
	v_add_co_ci_u32_e32 v30, vcc_lo, v25, v21, vcc_lo
	v_add_co_ci_u32_e32 v29, vcc_lo, 0, v29, vcc_lo
	s_delay_alu instid0(VALU_DEP_1) | instskip(NEXT) | instid1(VALU_DEP_1)
	v_add_nc_u64_e32 v[20:21], v[30:31], v[28:29]
	v_mul_u64_e32 v[24:25], s[40:41], v[20:21]
	s_delay_alu instid0(VALU_DEP_1) | instskip(NEXT) | instid1(VALU_DEP_2)
	v_sub_nc_u32_e32 v5, v26, v25
	v_sub_co_u32 v15, vcc_lo, v22, v24
	s_delay_alu instid0(VALU_DEP_1) | instskip(NEXT) | instid1(VALU_DEP_3)
	v_sub_co_ci_u32_e64 v26, null, v26, v25, vcc_lo
	v_subrev_co_ci_u32_e64 v5, null, s41, v5, vcc_lo
	s_delay_alu instid0(VALU_DEP_3) | instskip(SKIP_1) | instid1(VALU_DEP_3)
	v_sub_co_u32 v19, s0, v15, s40
	v_add_nc_u64_e32 v[24:25], 1, v[20:21]
	v_subrev_co_ci_u32_e64 v5, null, 0, v5, s0
	s_delay_alu instid0(VALU_DEP_3) | instskip(SKIP_1) | instid1(VALU_DEP_3)
	v_cmp_le_u32_e32 vcc_lo, s40, v19
	v_cndmask_b32_e64 v19, 0, -1, vcc_lo
	v_cmp_le_u32_e32 vcc_lo, s41, v5
	v_cndmask_b32_e64 v22, 0, -1, vcc_lo
	;; [unrolled: 2-line block ×4, first 2 shown]
	v_cmp_eq_u32_e32 vcc_lo, s41, v5
	v_cndmask_b32_e32 v5, v22, v19, vcc_lo
	v_cmp_eq_u32_e32 vcc_lo, s41, v26
	v_add_nc_u64_e32 v[22:23], 2, v[20:21]
	v_cndmask_b32_e32 v15, v27, v15, vcc_lo
	s_delay_alu instid0(VALU_DEP_4) | instskip(NEXT) | instid1(VALU_DEP_2)
	v_cmp_ne_u32_e32 vcc_lo, 0, v5
	v_cmp_ne_u32_e64 s0, 0, v15
	s_delay_alu instid0(VALU_DEP_4) | instskip(NEXT) | instid1(VALU_DEP_1)
	v_dual_cndmask_b32 v5, v25, v23, vcc_lo :: v_dual_cndmask_b32 v15, v24, v22, vcc_lo
	v_dual_cndmask_b32 v19, v20, v15, s0 :: v_dual_mov_b32 v15, v14
	s_delay_alu instid0(VALU_DEP_1) | instskip(NEXT) | instid1(VALU_DEP_1)
	v_dual_cndmask_b32 v5, v21, v5, s0 :: v_dual_bitop2_b32 v20, v19, v14 bitop3:0x14
	v_xor_b32_e32 v21, v5, v14
	s_delay_alu instid0(VALU_DEP_1)
	v_sub_nc_u64_e32 v[14:15], v[20:21], v[14:15]
.LBB22_13:                              ;   in Loop: Header=BB22_11 Depth=2
	s_and_not1_saveexec_b32 s0, s43
	s_cbranch_execz .LBB22_15
; %bb.14:                               ;   in Loop: Header=BB22_11 Depth=2
	v_cvt_f32_u32_e32 v5, s36
	s_sub_co_i32 s18, 0, s36
	s_delay_alu instid0(VALU_DEP_1) | instskip(SKIP_1) | instid1(TRANS32_DEP_1)
	v_rcp_iflag_f32_e32 v5, v5
	v_nop
	v_mul_f32_e32 v5, 0x4f7ffffe, v5
	s_delay_alu instid0(VALU_DEP_1) | instskip(NEXT) | instid1(VALU_DEP_1)
	v_cvt_u32_f32_e32 v5, v5
	v_mul_lo_u32 v14, s18, v5
	s_delay_alu instid0(VALU_DEP_1) | instskip(NEXT) | instid1(VALU_DEP_1)
	v_mul_hi_u32 v14, v5, v14
	v_add_nc_u32_e32 v5, v5, v14
	s_delay_alu instid0(VALU_DEP_1) | instskip(NEXT) | instid1(VALU_DEP_1)
	v_mul_hi_u32 v5, v12, v5
	v_mul_lo_u32 v14, v5, s36
	s_delay_alu instid0(VALU_DEP_1) | instskip(NEXT) | instid1(VALU_DEP_1)
	v_dual_add_nc_u32 v15, 1, v5 :: v_dual_sub_nc_u32 v14, v12, v14
	v_subrev_nc_u32_e32 v19, s36, v14
	v_cmp_le_u32_e32 vcc_lo, s36, v14
	s_delay_alu instid0(VALU_DEP_2) | instskip(NEXT) | instid1(VALU_DEP_4)
	v_cndmask_b32_e32 v14, v14, v19, vcc_lo
	v_cndmask_b32_e32 v5, v5, v15, vcc_lo
	s_delay_alu instid0(VALU_DEP_2) | instskip(NEXT) | instid1(VALU_DEP_2)
	v_cmp_le_u32_e32 vcc_lo, s36, v14
	v_add_nc_u32_e32 v15, 1, v5
	s_delay_alu instid0(VALU_DEP_1)
	v_dual_cndmask_b32 v14, v5, v15 :: v_dual_mov_b32 v15, v4
.LBB22_15:                              ;   in Loop: Header=BB22_11 Depth=2
	s_or_b32 exec_lo, exec_lo, s0
	s_delay_alu instid0(VALU_DEP_1)
	v_mul_u64_e32 v[20:21], s[36:37], v[14:15]
	s_load_b64 s[36:37], s[34:35], 0xc8
	s_add_co_i32 s31, s31, -1
	s_wait_xcnt 0x0
	s_add_nc_u64 s[34:35], s[34:35], -8
	s_cmp_gt_u32 s31, 2
	s_delay_alu instid0(VALU_DEP_1) | instskip(SKIP_1) | instid1(VALU_DEP_1)
	v_sub_nc_u64_e32 v[12:13], v[12:13], v[20:21]
	s_wait_kmcnt 0x0
	v_mad_nc_u64_u32 v[10:11], s36, v12, v[10:11]
	s_delay_alu instid0(VALU_DEP_1) | instskip(NEXT) | instid1(VALU_DEP_1)
	v_mad_u32 v5, s37, v12, v11
	v_mad_u32 v11, s36, v13, v5
	s_cbranch_scc0 .LBB22_17
; %bb.16:                               ;   in Loop: Header=BB22_11 Depth=2
	v_mov_b64_e32 v[12:13], v[14:15]
	s_branch .LBB22_11
.LBB22_17:                              ;   in Loop: Header=BB22_10 Depth=1
	s_delay_alu instid0(VALU_DEP_1) | instskip(NEXT) | instid1(VALU_DEP_1)
	v_mad_nc_u64_u32 v[12:13], s20, v14, s[22:23]
	v_mad_u32 v5, s21, v14, v13
	s_delay_alu instid0(VALU_DEP_1) | instskip(NEXT) | instid1(VALU_DEP_1)
	v_mad_u32 v13, s20, v15, v5
	v_add_nc_u64_e32 v[10:11], v[12:13], v[10:11]
	global_load_i8 v5, v[10:11], off
	s_wait_loadcnt 0x0
	s_wait_xcnt 0x0
	v_bfe_i32 v10, v5, 0, 16
	s_delay_alu instid0(VALU_DEP_1) | instskip(NEXT) | instid1(VALU_DEP_1)
	v_ashrrev_i32_e32 v11, 31, v10
	v_cmp_le_i64_e32 vcc_lo, s[6:7], v[10:11]
	v_cmp_ge_i64_e64 s0, s[8:9], v[10:11]
	s_and_b32 s0, vcc_lo, s0
	s_delay_alu instid0(SALU_CYCLE_1)
	s_and_saveexec_b32 s36, s0
	s_cbranch_execz .LBB22_9
; %bb.18:                               ;   in Loop: Header=BB22_10 Depth=1
	v_sub_nc_u64_e64 v[10:11], v[10:11], s[6:7]
                                        ; implicit-def: $vgpr12_vgpr13
	s_mov_b32 s0, exec_lo
	s_delay_alu instid0(VALU_DEP_1) | instskip(NEXT) | instid1(VALU_DEP_1)
	v_mul_u64_e32 v[10:11], s[4:5], v[10:11]
	v_or_b32_e32 v5, s25, v11
	s_delay_alu instid0(VALU_DEP_1)
	v_cmpx_ne_u64_e32 0, v[4:5]
	s_xor_b32 s37, exec_lo, s0
	s_cbranch_execz .LBB22_20
; %bb.19:                               ;   in Loop: Header=BB22_10 Depth=1
	s_mov_b32 s31, s30
	v_dual_mov_b32 v15, v4 :: v_dual_ashrrev_i32 v12, 31, v11
	s_add_nc_u64 s[34:35], s[24:25], s[30:31]
	s_delay_alu instid0(SALU_CYCLE_1) | instskip(NEXT) | instid1(VALU_DEP_1)
	s_xor_b64 s[34:35], s[34:35], s[30:31]
	v_mov_b32_e32 v13, v12
	s_cvt_f32_u32 s0, s34
	s_cvt_f32_u32 s18, s35
	s_sub_nc_u64 s[40:41], 0, s[34:35]
	s_delay_alu instid0(VALU_DEP_1) | instskip(NEXT) | instid1(SALU_CYCLE_1)
	v_add_nc_u64_e32 v[10:11], v[10:11], v[12:13]
	s_fmamk_f32 s0, s18, 0x4f800000, s0
	v_mov_b32_e32 v23, v4
	s_delay_alu instid0(SALU_CYCLE_2) | instskip(NEXT) | instid1(VALU_DEP_2)
	v_s_rcp_f32 s0, s0
	v_xor_b32_e32 v14, v10, v12
	s_delay_alu instid0(VALU_DEP_3) | instskip(NEXT) | instid1(TRANS32_DEP_1)
	v_dual_mov_b32 v27, v4 :: v_dual_bitop2_b32 v22, v11, v12 bitop3:0x14
	s_mul_f32 s0, s0, 0x5f7ffffc
	s_delay_alu instid0(SALU_CYCLE_3) | instskip(NEXT) | instid1(SALU_CYCLE_3)
	s_mul_f32 s18, s0, 0x2f800000
	s_trunc_f32 s18, s18
	s_delay_alu instid0(SALU_CYCLE_3) | instskip(SKIP_1) | instid1(SALU_CYCLE_2)
	s_fmamk_f32 s0, s18, 0xcf800000, s0
	s_cvt_u32_f32 s39, s18
	s_cvt_u32_f32 s38, s0
	s_delay_alu instid0(SALU_CYCLE_3) | instskip(NEXT) | instid1(SALU_CYCLE_1)
	s_mul_u64 s[44:45], s[40:41], s[38:39]
	s_mul_hi_u32 s47, s38, s45
	s_mul_i32 s46, s38, s45
	s_mul_hi_u32 s18, s38, s44
	s_mul_i32 s31, s39, s44
	s_add_nc_u64 s[46:47], s[18:19], s[46:47]
	s_mul_hi_u32 s0, s39, s44
	s_mul_hi_u32 s43, s39, s45
	s_add_co_u32 s18, s46, s31
	s_add_co_ci_u32 s18, s47, s0
	s_mul_i32 s44, s39, s45
	s_add_co_ci_u32 s45, s43, 0
	s_delay_alu instid0(SALU_CYCLE_1) | instskip(NEXT) | instid1(SALU_CYCLE_1)
	s_add_nc_u64 s[44:45], s[18:19], s[44:45]
	s_add_co_u32 s38, s38, s44
	s_cselect_b32 s0, -1, 0
	s_delay_alu instid0(SALU_CYCLE_1) | instskip(SKIP_1) | instid1(SALU_CYCLE_1)
	s_cmp_lg_u32 s0, 0
	s_add_co_ci_u32 s39, s39, s45
	s_mul_u64 s[40:41], s[40:41], s[38:39]
	s_delay_alu instid0(SALU_CYCLE_1)
	s_mul_hi_u32 s45, s38, s41
	s_mul_i32 s44, s38, s41
	s_mul_hi_u32 s18, s38, s40
	s_mul_i32 s31, s39, s40
	s_add_nc_u64 s[44:45], s[18:19], s[44:45]
	s_mul_hi_u32 s0, s39, s40
	s_mul_hi_u32 s43, s39, s41
	s_add_co_u32 s18, s44, s31
	s_add_co_ci_u32 s18, s45, s0
	s_mul_i32 s40, s39, s41
	s_add_co_ci_u32 s41, s43, 0
	s_delay_alu instid0(SALU_CYCLE_1) | instskip(NEXT) | instid1(SALU_CYCLE_1)
	s_add_nc_u64 s[40:41], s[18:19], s[40:41]
	s_add_co_u32 s0, s38, s40
	s_cselect_b32 s18, -1, 0
	v_mul_hi_u32 v26, v14, s0
	s_cmp_lg_u32 s18, 0
	s_add_co_ci_u32 s18, s39, s41
	s_and_b64 s[38:39], s[0:1], s[26:27]
	v_mul_u64_e32 v[20:21], s[18:19], v[14:15]
	v_mul_u64_e32 v[10:11], s[38:39], v[22:23]
	;; [unrolled: 1-line block ×3, first 2 shown]
	s_delay_alu instid0(VALU_DEP_3) | instskip(NEXT) | instid1(VALU_DEP_1)
	v_add_nc_u64_e32 v[20:21], v[26:27], v[20:21]
	v_add_co_u32 v5, vcc_lo, v20, v10
	s_delay_alu instid0(VALU_DEP_2) | instskip(NEXT) | instid1(VALU_DEP_4)
	v_add_co_ci_u32_e32 v26, vcc_lo, v21, v11, vcc_lo
	v_add_co_ci_u32_e32 v25, vcc_lo, 0, v25, vcc_lo
	s_delay_alu instid0(VALU_DEP_1) | instskip(NEXT) | instid1(VALU_DEP_1)
	v_add_nc_u64_e32 v[10:11], v[26:27], v[24:25]
	v_mul_u64_e32 v[20:21], s[34:35], v[10:11]
	s_delay_alu instid0(VALU_DEP_1) | instskip(NEXT) | instid1(VALU_DEP_2)
	v_sub_nc_u32_e32 v5, v22, v21
	v_sub_co_u32 v13, vcc_lo, v14, v20
	s_delay_alu instid0(VALU_DEP_1) | instskip(NEXT) | instid1(VALU_DEP_3)
	v_sub_co_ci_u32_e64 v19, null, v22, v21, vcc_lo
	v_subrev_co_ci_u32_e64 v5, null, s35, v5, vcc_lo
	s_delay_alu instid0(VALU_DEP_3) | instskip(SKIP_1) | instid1(VALU_DEP_3)
	v_sub_co_u32 v14, s0, v13, s34
	v_add_nc_u64_e32 v[20:21], 1, v[10:11]
	v_subrev_co_ci_u32_e64 v5, null, 0, v5, s0
	s_delay_alu instid0(VALU_DEP_3) | instskip(SKIP_1) | instid1(VALU_DEP_3)
	v_cmp_le_u32_e32 vcc_lo, s34, v14
	v_cndmask_b32_e64 v14, 0, -1, vcc_lo
	v_cmp_le_u32_e32 vcc_lo, s35, v5
	v_cndmask_b32_e64 v15, 0, -1, vcc_lo
	v_cmp_le_u32_e32 vcc_lo, s34, v13
	v_cndmask_b32_e64 v13, 0, -1, vcc_lo
	v_cmp_le_u32_e32 vcc_lo, s35, v19
	v_cndmask_b32_e64 v22, 0, -1, vcc_lo
	v_cmp_eq_u32_e32 vcc_lo, s35, v5
	v_cndmask_b32_e32 v5, v15, v14, vcc_lo
	v_cmp_eq_u32_e32 vcc_lo, s35, v19
	v_add_nc_u64_e32 v[14:15], 2, v[10:11]
	v_cndmask_b32_e32 v13, v22, v13, vcc_lo
	s_delay_alu instid0(VALU_DEP_4) | instskip(NEXT) | instid1(VALU_DEP_2)
	v_cmp_ne_u32_e32 vcc_lo, 0, v5
	v_cmp_ne_u32_e64 s0, 0, v13
	s_delay_alu instid0(VALU_DEP_4) | instskip(NEXT) | instid1(VALU_DEP_1)
	v_dual_cndmask_b32 v5, v21, v15, vcc_lo :: v_dual_cndmask_b32 v13, v20, v14, vcc_lo
	v_dual_cndmask_b32 v5, v11, v5, s0 :: v_dual_bitop2_b32 v12, s30, v12 bitop3:0x14
	s_delay_alu instid0(VALU_DEP_1) | instskip(NEXT) | instid1(VALU_DEP_2)
	v_dual_cndmask_b32 v10, v10, v13, s0 :: v_dual_mov_b32 v13, v12
	v_xor_b32_e32 v11, v5, v12
	s_delay_alu instid0(VALU_DEP_2) | instskip(NEXT) | instid1(VALU_DEP_1)
	v_xor_b32_e32 v10, v10, v12
	v_sub_nc_u64_e32 v[12:13], v[10:11], v[12:13]
                                        ; implicit-def: $vgpr10_vgpr11
.LBB22_20:                              ;   in Loop: Header=BB22_10 Depth=1
	s_and_not1_saveexec_b32 s0, s37
	s_cbranch_execz .LBB22_8
; %bb.21:                               ;   in Loop: Header=BB22_10 Depth=1
	v_cvt_f32_u32_e32 v5, s24
	s_sub_co_i32 s18, 0, s24
	s_delay_alu instid0(VALU_DEP_1) | instskip(SKIP_1) | instid1(TRANS32_DEP_1)
	v_rcp_iflag_f32_e32 v5, v5
	v_nop
	v_mul_f32_e32 v5, 0x4f7ffffe, v5
	s_delay_alu instid0(VALU_DEP_1) | instskip(NEXT) | instid1(VALU_DEP_1)
	v_cvt_u32_f32_e32 v5, v5
	v_mul_lo_u32 v11, s18, v5
	s_delay_alu instid0(VALU_DEP_1) | instskip(NEXT) | instid1(VALU_DEP_1)
	v_mul_hi_u32 v11, v5, v11
	v_add_nc_u32_e32 v5, v5, v11
	s_delay_alu instid0(VALU_DEP_1) | instskip(NEXT) | instid1(VALU_DEP_1)
	v_mul_hi_u32 v5, v10, v5
	v_mul_lo_u32 v11, v5, s24
	s_delay_alu instid0(VALU_DEP_1) | instskip(NEXT) | instid1(VALU_DEP_1)
	v_dual_sub_nc_u32 v10, v10, v11 :: v_dual_add_nc_u32 v11, 1, v5
	v_subrev_nc_u32_e32 v12, s24, v10
	v_cmp_le_u32_e32 vcc_lo, s24, v10
	s_delay_alu instid0(VALU_DEP_2) | instskip(NEXT) | instid1(VALU_DEP_1)
	v_dual_cndmask_b32 v10, v10, v12 :: v_dual_cndmask_b32 v5, v5, v11
	v_cmp_le_u32_e32 vcc_lo, s24, v10
	s_delay_alu instid0(VALU_DEP_2) | instskip(NEXT) | instid1(VALU_DEP_1)
	v_add_nc_u32_e32 v11, 1, v5
	v_cndmask_b32_e32 v12, v5, v11, vcc_lo
	s_branch .LBB22_8
.LBB22_22:
	s_or_b32 exec_lo, exec_lo, s3
; %bb.23:
	s_wait_dscnt 0x0
	s_barrier_signal -1
	s_barrier_wait -1
	s_and_saveexec_b32 s0, s2
	s_cbranch_execz .LBB22_26
; %bb.24:
	s_mov_b32 s0, 0
	v_and_b32_e32 v2, 0xffff, v18
	v_dual_mov_b32 v3, s0 :: v_dual_lshlrev_b32 v8, 3, v17
	v_mul_u64_e32 v[6:7], s[16:17], v[0:1]
	s_delay_alu instid0(VALU_DEP_2) | instskip(NEXT) | instid1(VALU_DEP_2)
	v_mul_u64_e32 v[4:5], s[16:17], v[2:3]
	v_lshl_add_u64 v[6:7], v[6:7], 3, s[12:13]
	s_delay_alu instid0(VALU_DEP_2)
	v_lshlrev_b64_e32 v[4:5], 3, v[4:5]
.LBB22_25:                              ; =>This Inner Loop Header: Depth=1
	ds_load_b64 v[10:11], v16
	v_add_nc_u64_e32 v[0:1], v[0:1], v[2:3]
	v_add_nc_u32_e32 v16, v16, v8
	s_delay_alu instid0(VALU_DEP_2)
	v_cmp_le_i64_e32 vcc_lo, s[14:15], v[0:1]
	s_or_b32 s0, vcc_lo, s0
	s_wait_dscnt 0x0
	global_atomic_add_f64 v[6:7], v[10:11], off scope:SCOPE_DEV
	s_wait_xcnt 0x0
	v_add_nc_u64_e32 v[6:7], v[6:7], v[4:5]
	s_and_not1_b32 exec_lo, exec_lo, s0
	s_cbranch_execnz .LBB22_25
.LBB22_26:
	s_endpgm
	.section	.rodata,"a",@progbits
	.p2align	6, 0x0
	.amdhsa_kernel _ZN2at4cuda17kernelHistogram1DIdalLi1ELi2ELin1ELNS0_23CUDAHistogramMemoryTypeE0EZNS0_21CUDA_tensor_histogramIdaLb1EEEbNS_6TensorES4_S4_lNS_14AccumulateTypeIT0_Lb1EE4typeES8_NS0_13TensorArgTypeES9_S9_EUllE0_EEvNS0_6detail10TensorInfoIT_T1_EESF_NSC_IKS6_SE_EElS8_S8_SE_T6_
		.amdhsa_group_segment_fixed_size 0
		.amdhsa_private_segment_fixed_size 0
		.amdhsa_kernarg_size 1544
		.amdhsa_user_sgpr_count 2
		.amdhsa_user_sgpr_dispatch_ptr 0
		.amdhsa_user_sgpr_queue_ptr 0
		.amdhsa_user_sgpr_kernarg_segment_ptr 1
		.amdhsa_user_sgpr_dispatch_id 0
		.amdhsa_user_sgpr_kernarg_preload_length 0
		.amdhsa_user_sgpr_kernarg_preload_offset 0
		.amdhsa_user_sgpr_private_segment_size 0
		.amdhsa_wavefront_size32 1
		.amdhsa_uses_dynamic_stack 0
		.amdhsa_enable_private_segment 0
		.amdhsa_system_sgpr_workgroup_id_x 1
		.amdhsa_system_sgpr_workgroup_id_y 0
		.amdhsa_system_sgpr_workgroup_id_z 0
		.amdhsa_system_sgpr_workgroup_info 0
		.amdhsa_system_vgpr_workitem_id 0
		.amdhsa_next_free_vgpr 32
		.amdhsa_next_free_sgpr 53
		.amdhsa_named_barrier_count 0
		.amdhsa_reserve_vcc 1
		.amdhsa_float_round_mode_32 0
		.amdhsa_float_round_mode_16_64 0
		.amdhsa_float_denorm_mode_32 3
		.amdhsa_float_denorm_mode_16_64 3
		.amdhsa_fp16_overflow 0
		.amdhsa_memory_ordered 1
		.amdhsa_forward_progress 1
		.amdhsa_inst_pref_size 19
		.amdhsa_round_robin_scheduling 0
		.amdhsa_exception_fp_ieee_invalid_op 0
		.amdhsa_exception_fp_denorm_src 0
		.amdhsa_exception_fp_ieee_div_zero 0
		.amdhsa_exception_fp_ieee_overflow 0
		.amdhsa_exception_fp_ieee_underflow 0
		.amdhsa_exception_fp_ieee_inexact 0
		.amdhsa_exception_int_div_zero 0
	.end_amdhsa_kernel
	.section	.text._ZN2at4cuda17kernelHistogram1DIdalLi1ELi2ELin1ELNS0_23CUDAHistogramMemoryTypeE0EZNS0_21CUDA_tensor_histogramIdaLb1EEEbNS_6TensorES4_S4_lNS_14AccumulateTypeIT0_Lb1EE4typeES8_NS0_13TensorArgTypeES9_S9_EUllE0_EEvNS0_6detail10TensorInfoIT_T1_EESF_NSC_IKS6_SE_EElS8_S8_SE_T6_,"axG",@progbits,_ZN2at4cuda17kernelHistogram1DIdalLi1ELi2ELin1ELNS0_23CUDAHistogramMemoryTypeE0EZNS0_21CUDA_tensor_histogramIdaLb1EEEbNS_6TensorES4_S4_lNS_14AccumulateTypeIT0_Lb1EE4typeES8_NS0_13TensorArgTypeES9_S9_EUllE0_EEvNS0_6detail10TensorInfoIT_T1_EESF_NSC_IKS6_SE_EElS8_S8_SE_T6_,comdat
.Lfunc_end22:
	.size	_ZN2at4cuda17kernelHistogram1DIdalLi1ELi2ELin1ELNS0_23CUDAHistogramMemoryTypeE0EZNS0_21CUDA_tensor_histogramIdaLb1EEEbNS_6TensorES4_S4_lNS_14AccumulateTypeIT0_Lb1EE4typeES8_NS0_13TensorArgTypeES9_S9_EUllE0_EEvNS0_6detail10TensorInfoIT_T1_EESF_NSC_IKS6_SE_EElS8_S8_SE_T6_, .Lfunc_end22-_ZN2at4cuda17kernelHistogram1DIdalLi1ELi2ELin1ELNS0_23CUDAHistogramMemoryTypeE0EZNS0_21CUDA_tensor_histogramIdaLb1EEEbNS_6TensorES4_S4_lNS_14AccumulateTypeIT0_Lb1EE4typeES8_NS0_13TensorArgTypeES9_S9_EUllE0_EEvNS0_6detail10TensorInfoIT_T1_EESF_NSC_IKS6_SE_EElS8_S8_SE_T6_
                                        ; -- End function
	.set _ZN2at4cuda17kernelHistogram1DIdalLi1ELi2ELin1ELNS0_23CUDAHistogramMemoryTypeE0EZNS0_21CUDA_tensor_histogramIdaLb1EEEbNS_6TensorES4_S4_lNS_14AccumulateTypeIT0_Lb1EE4typeES8_NS0_13TensorArgTypeES9_S9_EUllE0_EEvNS0_6detail10TensorInfoIT_T1_EESF_NSC_IKS6_SE_EElS8_S8_SE_T6_.num_vgpr, 32
	.set _ZN2at4cuda17kernelHistogram1DIdalLi1ELi2ELin1ELNS0_23CUDAHistogramMemoryTypeE0EZNS0_21CUDA_tensor_histogramIdaLb1EEEbNS_6TensorES4_S4_lNS_14AccumulateTypeIT0_Lb1EE4typeES8_NS0_13TensorArgTypeES9_S9_EUllE0_EEvNS0_6detail10TensorInfoIT_T1_EESF_NSC_IKS6_SE_EElS8_S8_SE_T6_.num_agpr, 0
	.set _ZN2at4cuda17kernelHistogram1DIdalLi1ELi2ELin1ELNS0_23CUDAHistogramMemoryTypeE0EZNS0_21CUDA_tensor_histogramIdaLb1EEEbNS_6TensorES4_S4_lNS_14AccumulateTypeIT0_Lb1EE4typeES8_NS0_13TensorArgTypeES9_S9_EUllE0_EEvNS0_6detail10TensorInfoIT_T1_EESF_NSC_IKS6_SE_EElS8_S8_SE_T6_.numbered_sgpr, 53
	.set _ZN2at4cuda17kernelHistogram1DIdalLi1ELi2ELin1ELNS0_23CUDAHistogramMemoryTypeE0EZNS0_21CUDA_tensor_histogramIdaLb1EEEbNS_6TensorES4_S4_lNS_14AccumulateTypeIT0_Lb1EE4typeES8_NS0_13TensorArgTypeES9_S9_EUllE0_EEvNS0_6detail10TensorInfoIT_T1_EESF_NSC_IKS6_SE_EElS8_S8_SE_T6_.num_named_barrier, 0
	.set _ZN2at4cuda17kernelHistogram1DIdalLi1ELi2ELin1ELNS0_23CUDAHistogramMemoryTypeE0EZNS0_21CUDA_tensor_histogramIdaLb1EEEbNS_6TensorES4_S4_lNS_14AccumulateTypeIT0_Lb1EE4typeES8_NS0_13TensorArgTypeES9_S9_EUllE0_EEvNS0_6detail10TensorInfoIT_T1_EESF_NSC_IKS6_SE_EElS8_S8_SE_T6_.private_seg_size, 0
	.set _ZN2at4cuda17kernelHistogram1DIdalLi1ELi2ELin1ELNS0_23CUDAHistogramMemoryTypeE0EZNS0_21CUDA_tensor_histogramIdaLb1EEEbNS_6TensorES4_S4_lNS_14AccumulateTypeIT0_Lb1EE4typeES8_NS0_13TensorArgTypeES9_S9_EUllE0_EEvNS0_6detail10TensorInfoIT_T1_EESF_NSC_IKS6_SE_EElS8_S8_SE_T6_.uses_vcc, 1
	.set _ZN2at4cuda17kernelHistogram1DIdalLi1ELi2ELin1ELNS0_23CUDAHistogramMemoryTypeE0EZNS0_21CUDA_tensor_histogramIdaLb1EEEbNS_6TensorES4_S4_lNS_14AccumulateTypeIT0_Lb1EE4typeES8_NS0_13TensorArgTypeES9_S9_EUllE0_EEvNS0_6detail10TensorInfoIT_T1_EESF_NSC_IKS6_SE_EElS8_S8_SE_T6_.uses_flat_scratch, 0
	.set _ZN2at4cuda17kernelHistogram1DIdalLi1ELi2ELin1ELNS0_23CUDAHistogramMemoryTypeE0EZNS0_21CUDA_tensor_histogramIdaLb1EEEbNS_6TensorES4_S4_lNS_14AccumulateTypeIT0_Lb1EE4typeES8_NS0_13TensorArgTypeES9_S9_EUllE0_EEvNS0_6detail10TensorInfoIT_T1_EESF_NSC_IKS6_SE_EElS8_S8_SE_T6_.has_dyn_sized_stack, 0
	.set _ZN2at4cuda17kernelHistogram1DIdalLi1ELi2ELin1ELNS0_23CUDAHistogramMemoryTypeE0EZNS0_21CUDA_tensor_histogramIdaLb1EEEbNS_6TensorES4_S4_lNS_14AccumulateTypeIT0_Lb1EE4typeES8_NS0_13TensorArgTypeES9_S9_EUllE0_EEvNS0_6detail10TensorInfoIT_T1_EESF_NSC_IKS6_SE_EElS8_S8_SE_T6_.has_recursion, 0
	.set _ZN2at4cuda17kernelHistogram1DIdalLi1ELi2ELin1ELNS0_23CUDAHistogramMemoryTypeE0EZNS0_21CUDA_tensor_histogramIdaLb1EEEbNS_6TensorES4_S4_lNS_14AccumulateTypeIT0_Lb1EE4typeES8_NS0_13TensorArgTypeES9_S9_EUllE0_EEvNS0_6detail10TensorInfoIT_T1_EESF_NSC_IKS6_SE_EElS8_S8_SE_T6_.has_indirect_call, 0
	.section	.AMDGPU.csdata,"",@progbits
; Kernel info:
; codeLenInByte = 2368
; TotalNumSgprs: 55
; NumVgprs: 32
; ScratchSize: 0
; MemoryBound: 0
; FloatMode: 240
; IeeeMode: 1
; LDSByteSize: 0 bytes/workgroup (compile time only)
; SGPRBlocks: 0
; VGPRBlocks: 1
; NumSGPRsForWavesPerEU: 55
; NumVGPRsForWavesPerEU: 32
; NamedBarCnt: 0
; Occupancy: 16
; WaveLimiterHint : 1
; COMPUTE_PGM_RSRC2:SCRATCH_EN: 0
; COMPUTE_PGM_RSRC2:USER_SGPR: 2
; COMPUTE_PGM_RSRC2:TRAP_HANDLER: 0
; COMPUTE_PGM_RSRC2:TGID_X_EN: 1
; COMPUTE_PGM_RSRC2:TGID_Y_EN: 0
; COMPUTE_PGM_RSRC2:TGID_Z_EN: 0
; COMPUTE_PGM_RSRC2:TIDIG_COMP_CNT: 0
	.section	.text._ZN2at4cuda17kernelHistogram1DIdalLi1ELi2ELin1ELNS0_23CUDAHistogramMemoryTypeE1EZNS0_21CUDA_tensor_histogramIdaLb1EEEbNS_6TensorES4_S4_lNS_14AccumulateTypeIT0_Lb1EE4typeES8_NS0_13TensorArgTypeES9_S9_EUllE0_EEvNS0_6detail10TensorInfoIT_T1_EESF_NSC_IKS6_SE_EElS8_S8_SE_T6_,"axG",@progbits,_ZN2at4cuda17kernelHistogram1DIdalLi1ELi2ELin1ELNS0_23CUDAHistogramMemoryTypeE1EZNS0_21CUDA_tensor_histogramIdaLb1EEEbNS_6TensorES4_S4_lNS_14AccumulateTypeIT0_Lb1EE4typeES8_NS0_13TensorArgTypeES9_S9_EUllE0_EEvNS0_6detail10TensorInfoIT_T1_EESF_NSC_IKS6_SE_EElS8_S8_SE_T6_,comdat
	.protected	_ZN2at4cuda17kernelHistogram1DIdalLi1ELi2ELin1ELNS0_23CUDAHistogramMemoryTypeE1EZNS0_21CUDA_tensor_histogramIdaLb1EEEbNS_6TensorES4_S4_lNS_14AccumulateTypeIT0_Lb1EE4typeES8_NS0_13TensorArgTypeES9_S9_EUllE0_EEvNS0_6detail10TensorInfoIT_T1_EESF_NSC_IKS6_SE_EElS8_S8_SE_T6_ ; -- Begin function _ZN2at4cuda17kernelHistogram1DIdalLi1ELi2ELin1ELNS0_23CUDAHistogramMemoryTypeE1EZNS0_21CUDA_tensor_histogramIdaLb1EEEbNS_6TensorES4_S4_lNS_14AccumulateTypeIT0_Lb1EE4typeES8_NS0_13TensorArgTypeES9_S9_EUllE0_EEvNS0_6detail10TensorInfoIT_T1_EESF_NSC_IKS6_SE_EElS8_S8_SE_T6_
	.globl	_ZN2at4cuda17kernelHistogram1DIdalLi1ELi2ELin1ELNS0_23CUDAHistogramMemoryTypeE1EZNS0_21CUDA_tensor_histogramIdaLb1EEEbNS_6TensorES4_S4_lNS_14AccumulateTypeIT0_Lb1EE4typeES8_NS0_13TensorArgTypeES9_S9_EUllE0_EEvNS0_6detail10TensorInfoIT_T1_EESF_NSC_IKS6_SE_EElS8_S8_SE_T6_
	.p2align	8
	.type	_ZN2at4cuda17kernelHistogram1DIdalLi1ELi2ELin1ELNS0_23CUDAHistogramMemoryTypeE1EZNS0_21CUDA_tensor_histogramIdaLb1EEEbNS_6TensorES4_S4_lNS_14AccumulateTypeIT0_Lb1EE4typeES8_NS0_13TensorArgTypeES9_S9_EUllE0_EEvNS0_6detail10TensorInfoIT_T1_EESF_NSC_IKS6_SE_EElS8_S8_SE_T6_,@function
_ZN2at4cuda17kernelHistogram1DIdalLi1ELi2ELin1ELNS0_23CUDAHistogramMemoryTypeE1EZNS0_21CUDA_tensor_histogramIdaLb1EEEbNS_6TensorES4_S4_lNS_14AccumulateTypeIT0_Lb1EE4typeES8_NS0_13TensorArgTypeES9_S9_EUllE0_EEvNS0_6detail10TensorInfoIT_T1_EESF_NSC_IKS6_SE_EElS8_S8_SE_T6_: ; @_ZN2at4cuda17kernelHistogram1DIdalLi1ELi2ELin1ELNS0_23CUDAHistogramMemoryTypeE1EZNS0_21CUDA_tensor_histogramIdaLb1EEEbNS_6TensorES4_S4_lNS_14AccumulateTypeIT0_Lb1EE4typeES8_NS0_13TensorArgTypeES9_S9_EUllE0_EEvNS0_6detail10TensorInfoIT_T1_EESF_NSC_IKS6_SE_EElS8_S8_SE_T6_
; %bb.0:
	s_load_b32 s2, s[0:1], 0x514
	s_bfe_u32 s12, ttmp6, 0x4000c
	s_load_b256 s[4:11], s[0:1], 0x4e0
	s_add_co_i32 s12, s12, 1
	s_and_b32 s3, ttmp6, 15
	s_mul_i32 s12, ttmp9, s12
	s_getreg_b32 s13, hwreg(HW_REG_IB_STS2, 6, 4)
	s_add_co_i32 s3, s3, s12
	v_mov_b32_e32 v2, 0
	s_mov_b32 s12, exec_lo
	s_delay_alu instid0(VALU_DEP_1) | instskip(SKIP_4) | instid1(SALU_CYCLE_1)
	v_mov_b32_e32 v1, v2
	s_wait_kmcnt 0x0
	s_and_b32 s2, s2, 0xffff
	s_cmp_eq_u32 s13, 0
	s_cselect_b32 s3, ttmp9, s3
	v_mad_u32 v0, s3, s2, v0
	s_mov_b32 s3, 0
	s_delay_alu instid0(VALU_DEP_1)
	v_cmpx_gt_i64_e64 s[10:11], v[0:1]
	s_cbranch_execz .LBB23_16
; %bb.1:
	s_load_b32 s28, s[0:1], 0x4d8
	s_add_nc_u64 s[20:21], s[0:1], 0x508
	s_load_b32 s22, s[20:21], 0x0
	s_clause 0x3
	s_load_b64 s[12:13], s[0:1], 0x0
	s_load_b64 s[14:15], s[0:1], 0xd0
	;; [unrolled: 1-line block ×4, first 2 shown]
	s_add_nc_u64 s[26:27], s[0:1], 0x340
	v_mov_b64_e32 v[4:5], 1.0
	s_wait_xcnt 0x0
	s_sub_nc_u64 s[20:21], s[8:9], s[6:7]
	s_mov_b32 s23, s3
	s_mov_b64 s[24:25], 0xffffffff
	s_mov_b32 s40, 0
	s_wait_kmcnt 0x0
	s_mul_i32 s22, s22, s2
	s_cmp_gt_i32 s28, 1
	s_cselect_b32 s1, -1, 0
	s_add_co_i32 s2, s28, -1
	s_add_co_i32 s33, s28, 1
	s_lshl_b64 s[28:29], s[2:3], 3
	s_delay_alu instid0(SALU_CYCLE_1)
	s_add_nc_u64 s[28:29], s[26:27], s[28:29]
	s_ashr_i32 s26, s21, 31
	s_add_nc_u64 s[28:29], s[28:29], 8
	s_branch .LBB23_4
.LBB23_2:                               ;   in Loop: Header=BB23_4 Depth=1
	s_or_b32 exec_lo, exec_lo, s0
	s_delay_alu instid0(VALU_DEP_1) | instskip(NEXT) | instid1(VALU_DEP_1)
	v_dual_ashrrev_i32 v9, 31, v8 :: v_dual_mov_b32 v7, s3
	v_cmp_eq_u64_e32 vcc_lo, s[4:5], v[8:9]
	v_cndmask_b32_e64 v6, 0, 1, vcc_lo
	s_delay_alu instid0(VALU_DEP_1) | instskip(NEXT) | instid1(VALU_DEP_1)
	v_sub_nc_u64_e32 v[6:7], v[8:9], v[6:7]
	v_mul_u64_e32 v[6:7], s[14:15], v[6:7]
	s_delay_alu instid0(VALU_DEP_1)
	v_lshl_add_u64 v[6:7], v[6:7], 3, s[12:13]
	global_atomic_add_f64 v[6:7], v[4:5], off scope:SCOPE_DEV
.LBB23_3:                               ;   in Loop: Header=BB23_4 Depth=1
	s_wait_xcnt 0x0
	s_or_b32 exec_lo, exec_lo, s34
	v_add_nc_u64_e32 v[0:1], s[22:23], v[0:1]
	s_delay_alu instid0(VALU_DEP_1) | instskip(SKIP_1) | instid1(SALU_CYCLE_1)
	v_cmp_le_i64_e32 vcc_lo, s[10:11], v[0:1]
	s_or_b32 s40, vcc_lo, s40
	s_and_not1_b32 exec_lo, exec_lo, s40
	s_cbranch_execz .LBB23_16
.LBB23_4:                               ; =>This Loop Header: Depth=1
                                        ;     Child Loop BB23_5 Depth 2
	v_mov_b64_e32 v[6:7], 0
	v_mov_b64_e32 v[8:9], v[0:1]
	;; [unrolled: 1-line block ×3, first 2 shown]
	s_and_not1_b32 vcc_lo, exec_lo, s1
	s_mov_b64 s[30:31], s[28:29]
	s_mov_b32 s27, s33
	s_cbranch_vccnz .LBB23_11
.LBB23_5:                               ;   Parent Loop BB23_4 Depth=1
                                        ; =>  This Inner Loop Header: Depth=2
	s_load_b64 s[34:35], s[30:31], 0x0
                                        ; implicit-def: $vgpr10_vgpr11
	s_mov_b32 s0, exec_lo
	s_wait_kmcnt 0x0
	s_delay_alu instid0(VALU_DEP_1) | instskip(NEXT) | instid1(VALU_DEP_1)
	v_or_b32_e32 v3, s35, v9
	v_cmpx_ne_u64_e32 0, v[2:3]
	s_xor_b32 s41, exec_lo, s0
	s_cbranch_execz .LBB23_7
; %bb.6:                                ;   in Loop: Header=BB23_5 Depth=2
	s_ashr_i32 s36, s35, 31
	v_dual_mov_b32 v15, v2 :: v_dual_ashrrev_i32 v10, 31, v9
	s_mov_b32 s37, s36
	v_mov_b32_e32 v23, v2
	s_add_nc_u64 s[38:39], s[34:35], s[36:37]
	s_delay_alu instid0(VALU_DEP_2) | instskip(SKIP_1) | instid1(SALU_CYCLE_1)
	v_mov_b32_e32 v11, v10
	s_xor_b64 s[38:39], s[38:39], s[36:37]
	s_cvt_f32_u32 s0, s38
	s_cvt_f32_u32 s2, s39
	s_sub_nc_u64 s[44:45], 0, s[38:39]
	v_add_nc_u64_e32 v[12:13], v[8:9], v[10:11]
	v_mov_b32_e32 v19, v2
	s_fmamk_f32 s0, s2, 0x4f800000, s0
	s_delay_alu instid0(SALU_CYCLE_3) | instskip(NEXT) | instid1(VALU_DEP_2)
	v_s_rcp_f32 s0, s0
	v_xor_b32_e32 v14, v12, v10
	s_delay_alu instid0(VALU_DEP_3) | instskip(NEXT) | instid1(TRANS32_DEP_1)
	v_xor_b32_e32 v18, v13, v10
	s_mul_f32 s0, s0, 0x5f7ffffc
	s_delay_alu instid0(SALU_CYCLE_3) | instskip(NEXT) | instid1(SALU_CYCLE_3)
	s_mul_f32 s2, s0, 0x2f800000
	s_trunc_f32 s2, s2
	s_delay_alu instid0(SALU_CYCLE_3) | instskip(SKIP_1) | instid1(SALU_CYCLE_2)
	s_fmamk_f32 s0, s2, 0xcf800000, s0
	s_cvt_u32_f32 s43, s2
	s_cvt_u32_f32 s42, s0
	s_delay_alu instid0(SALU_CYCLE_3) | instskip(NEXT) | instid1(SALU_CYCLE_1)
	s_mul_u64 s[46:47], s[44:45], s[42:43]
	s_mul_hi_u32 s49, s42, s47
	s_mul_i32 s48, s42, s47
	s_mul_hi_u32 s2, s42, s46
	s_mul_i32 s37, s43, s46
	s_add_nc_u64 s[48:49], s[2:3], s[48:49]
	s_mul_hi_u32 s0, s43, s46
	s_mul_hi_u32 s50, s43, s47
	s_add_co_u32 s2, s48, s37
	s_add_co_ci_u32 s2, s49, s0
	s_mul_i32 s46, s43, s47
	s_add_co_ci_u32 s47, s50, 0
	s_delay_alu instid0(SALU_CYCLE_1) | instskip(NEXT) | instid1(SALU_CYCLE_1)
	s_add_nc_u64 s[46:47], s[2:3], s[46:47]
	s_add_co_u32 s42, s42, s46
	s_cselect_b32 s0, -1, 0
	s_delay_alu instid0(SALU_CYCLE_1) | instskip(SKIP_1) | instid1(SALU_CYCLE_1)
	s_cmp_lg_u32 s0, 0
	s_add_co_ci_u32 s43, s43, s47
	s_mul_u64 s[44:45], s[44:45], s[42:43]
	s_delay_alu instid0(SALU_CYCLE_1)
	s_mul_hi_u32 s47, s42, s45
	s_mul_i32 s46, s42, s45
	s_mul_hi_u32 s2, s42, s44
	s_mul_i32 s37, s43, s44
	s_add_nc_u64 s[46:47], s[2:3], s[46:47]
	s_mul_hi_u32 s0, s43, s44
	s_mul_hi_u32 s48, s43, s45
	s_add_co_u32 s2, s46, s37
	s_add_co_ci_u32 s2, s47, s0
	s_mul_i32 s44, s43, s45
	s_add_co_ci_u32 s45, s48, 0
	s_delay_alu instid0(SALU_CYCLE_1) | instskip(NEXT) | instid1(SALU_CYCLE_1)
	s_add_nc_u64 s[44:45], s[2:3], s[44:45]
	s_add_co_u32 s0, s42, s44
	s_cselect_b32 s2, -1, 0
	v_mul_hi_u32 v22, v14, s0
	s_cmp_lg_u32 s2, 0
	s_add_co_ci_u32 s2, s43, s45
	s_and_b64 s[42:43], s[0:1], s[24:25]
	v_mul_u64_e32 v[16:17], s[2:3], v[14:15]
	v_mul_u64_e32 v[12:13], s[42:43], v[18:19]
	;; [unrolled: 1-line block ×3, first 2 shown]
	s_delay_alu instid0(VALU_DEP_3) | instskip(NEXT) | instid1(VALU_DEP_1)
	v_add_nc_u64_e32 v[16:17], v[22:23], v[16:17]
	v_add_co_u32 v3, vcc_lo, v16, v12
	s_delay_alu instid0(VALU_DEP_2) | instskip(NEXT) | instid1(VALU_DEP_4)
	v_add_co_ci_u32_e32 v22, vcc_lo, v17, v13, vcc_lo
	v_add_co_ci_u32_e32 v21, vcc_lo, 0, v21, vcc_lo
	s_delay_alu instid0(VALU_DEP_1) | instskip(NEXT) | instid1(VALU_DEP_1)
	v_add_nc_u64_e32 v[12:13], v[22:23], v[20:21]
	v_mul_u64_e32 v[16:17], s[38:39], v[12:13]
	s_delay_alu instid0(VALU_DEP_1) | instskip(NEXT) | instid1(VALU_DEP_2)
	v_sub_nc_u32_e32 v3, v18, v17
	v_sub_co_u32 v11, vcc_lo, v14, v16
	s_delay_alu instid0(VALU_DEP_1) | instskip(NEXT) | instid1(VALU_DEP_3)
	v_sub_co_ci_u32_e64 v18, null, v18, v17, vcc_lo
	v_subrev_co_ci_u32_e64 v3, null, s39, v3, vcc_lo
	s_delay_alu instid0(VALU_DEP_3) | instskip(SKIP_1) | instid1(VALU_DEP_3)
	v_sub_co_u32 v14, s0, v11, s38
	v_add_nc_u64_e32 v[16:17], 1, v[12:13]
	v_subrev_co_ci_u32_e64 v3, null, 0, v3, s0
	s_delay_alu instid0(VALU_DEP_3) | instskip(SKIP_1) | instid1(VALU_DEP_3)
	v_cmp_le_u32_e32 vcc_lo, s38, v14
	v_cndmask_b32_e64 v14, 0, -1, vcc_lo
	v_cmp_le_u32_e32 vcc_lo, s39, v3
	v_cndmask_b32_e64 v15, 0, -1, vcc_lo
	;; [unrolled: 2-line block ×4, first 2 shown]
	v_cmp_eq_u32_e32 vcc_lo, s39, v3
	v_cndmask_b32_e32 v3, v15, v14, vcc_lo
	v_cmp_eq_u32_e32 vcc_lo, s39, v18
	v_add_nc_u64_e32 v[14:15], 2, v[12:13]
	v_cndmask_b32_e32 v11, v19, v11, vcc_lo
	s_delay_alu instid0(VALU_DEP_4) | instskip(NEXT) | instid1(VALU_DEP_2)
	v_cmp_ne_u32_e32 vcc_lo, 0, v3
	v_cmp_ne_u32_e64 s0, 0, v11
	s_delay_alu instid0(VALU_DEP_4) | instskip(NEXT) | instid1(VALU_DEP_1)
	v_dual_cndmask_b32 v3, v17, v15, vcc_lo :: v_dual_cndmask_b32 v11, v16, v14, vcc_lo
	v_dual_cndmask_b32 v3, v13, v3, s0 :: v_dual_bitop2_b32 v10, s36, v10 bitop3:0x14
	s_delay_alu instid0(VALU_DEP_1) | instskip(NEXT) | instid1(VALU_DEP_2)
	v_dual_cndmask_b32 v12, v12, v11, s0 :: v_dual_mov_b32 v11, v10
	v_xor_b32_e32 v13, v3, v10
	s_delay_alu instid0(VALU_DEP_2) | instskip(NEXT) | instid1(VALU_DEP_1)
	v_xor_b32_e32 v12, v12, v10
	v_sub_nc_u64_e32 v[10:11], v[12:13], v[10:11]
.LBB23_7:                               ;   in Loop: Header=BB23_5 Depth=2
	s_and_not1_saveexec_b32 s0, s41
	s_cbranch_execz .LBB23_9
; %bb.8:                                ;   in Loop: Header=BB23_5 Depth=2
	v_cvt_f32_u32_e32 v3, s34
	s_sub_co_i32 s2, 0, s34
	s_delay_alu instid0(VALU_DEP_1) | instskip(SKIP_1) | instid1(TRANS32_DEP_1)
	v_rcp_iflag_f32_e32 v3, v3
	v_nop
	v_mul_f32_e32 v3, 0x4f7ffffe, v3
	s_delay_alu instid0(VALU_DEP_1) | instskip(NEXT) | instid1(VALU_DEP_1)
	v_cvt_u32_f32_e32 v3, v3
	v_mul_lo_u32 v10, s2, v3
	s_delay_alu instid0(VALU_DEP_1) | instskip(NEXT) | instid1(VALU_DEP_1)
	v_mul_hi_u32 v10, v3, v10
	v_add_nc_u32_e32 v3, v3, v10
	s_delay_alu instid0(VALU_DEP_1) | instskip(NEXT) | instid1(VALU_DEP_1)
	v_mul_hi_u32 v3, v8, v3
	v_mul_lo_u32 v10, v3, s34
	s_delay_alu instid0(VALU_DEP_1) | instskip(NEXT) | instid1(VALU_DEP_1)
	v_dual_add_nc_u32 v11, 1, v3 :: v_dual_sub_nc_u32 v10, v8, v10
	v_subrev_nc_u32_e32 v12, s34, v10
	v_cmp_le_u32_e32 vcc_lo, s34, v10
	s_delay_alu instid0(VALU_DEP_2) | instskip(NEXT) | instid1(VALU_DEP_1)
	v_dual_cndmask_b32 v10, v10, v12 :: v_dual_cndmask_b32 v3, v3, v11
	v_cmp_le_u32_e32 vcc_lo, s34, v10
	s_delay_alu instid0(VALU_DEP_2) | instskip(NEXT) | instid1(VALU_DEP_1)
	v_add_nc_u32_e32 v11, 1, v3
	v_dual_cndmask_b32 v10, v3, v11 :: v_dual_mov_b32 v11, v2
.LBB23_9:                               ;   in Loop: Header=BB23_5 Depth=2
	s_or_b32 exec_lo, exec_lo, s0
	s_delay_alu instid0(VALU_DEP_1)
	v_mul_u64_e32 v[12:13], s[34:35], v[10:11]
	s_load_b64 s[34:35], s[30:31], 0xc8
	s_add_co_i32 s27, s27, -1
	s_wait_xcnt 0x0
	s_add_nc_u64 s[30:31], s[30:31], -8
	s_cmp_gt_u32 s27, 2
	s_delay_alu instid0(VALU_DEP_1) | instskip(SKIP_1) | instid1(VALU_DEP_1)
	v_sub_nc_u64_e32 v[8:9], v[8:9], v[12:13]
	s_wait_kmcnt 0x0
	v_mad_nc_u64_u32 v[6:7], s34, v8, v[6:7]
	s_delay_alu instid0(VALU_DEP_1) | instskip(NEXT) | instid1(VALU_DEP_1)
	v_mad_u32 v3, s35, v8, v7
	v_mad_u32 v7, s34, v9, v3
	s_cbranch_scc0 .LBB23_11
; %bb.10:                               ;   in Loop: Header=BB23_5 Depth=2
	v_mov_b64_e32 v[8:9], v[10:11]
	s_branch .LBB23_5
.LBB23_11:                              ;   in Loop: Header=BB23_4 Depth=1
	s_delay_alu instid0(VALU_DEP_1) | instskip(NEXT) | instid1(VALU_DEP_1)
	v_mad_nc_u64_u32 v[8:9], s16, v10, s[18:19]
	v_mad_u32 v3, s17, v10, v9
	s_delay_alu instid0(VALU_DEP_1) | instskip(NEXT) | instid1(VALU_DEP_1)
	v_mad_u32 v9, s16, v11, v3
	v_add_nc_u64_e32 v[6:7], v[8:9], v[6:7]
	global_load_i8 v3, v[6:7], off
	s_wait_loadcnt 0x0
	s_wait_xcnt 0x0
	v_bfe_i32 v6, v3, 0, 16
	s_delay_alu instid0(VALU_DEP_1) | instskip(NEXT) | instid1(VALU_DEP_1)
	v_ashrrev_i32_e32 v7, 31, v6
	v_cmp_le_i64_e32 vcc_lo, s[6:7], v[6:7]
	v_cmp_ge_i64_e64 s0, s[8:9], v[6:7]
	s_and_b32 s0, vcc_lo, s0
	s_delay_alu instid0(SALU_CYCLE_1)
	s_and_saveexec_b32 s34, s0
	s_cbranch_execz .LBB23_3
; %bb.12:                               ;   in Loop: Header=BB23_4 Depth=1
	v_sub_nc_u64_e64 v[6:7], v[6:7], s[6:7]
                                        ; implicit-def: $vgpr8_vgpr9
	s_mov_b32 s0, exec_lo
	s_delay_alu instid0(VALU_DEP_1) | instskip(NEXT) | instid1(VALU_DEP_1)
	v_mul_u64_e32 v[6:7], s[4:5], v[6:7]
	v_or_b32_e32 v3, s21, v7
	s_delay_alu instid0(VALU_DEP_1)
	v_cmpx_ne_u64_e32 0, v[2:3]
	s_xor_b32 s35, exec_lo, s0
	s_cbranch_execz .LBB23_14
; %bb.13:                               ;   in Loop: Header=BB23_4 Depth=1
	s_mov_b32 s27, s26
	v_dual_mov_b32 v11, v2 :: v_dual_ashrrev_i32 v8, 31, v7
	s_add_nc_u64 s[30:31], s[20:21], s[26:27]
	v_mov_b32_e32 v19, v2
	s_xor_b64 s[30:31], s[30:31], s[26:27]
	s_delay_alu instid0(VALU_DEP_2) | instskip(SKIP_3) | instid1(VALU_DEP_1)
	v_mov_b32_e32 v9, v8
	s_cvt_f32_u32 s0, s30
	s_cvt_f32_u32 s2, s31
	s_sub_nc_u64 s[38:39], 0, s[30:31]
	v_add_nc_u64_e32 v[6:7], v[6:7], v[8:9]
	s_delay_alu instid0(SALU_CYCLE_1) | instskip(SKIP_1) | instid1(SALU_CYCLE_2)
	s_fmamk_f32 s0, s2, 0x4f800000, s0
	v_mov_b32_e32 v15, v2
	v_s_rcp_f32 s0, s0
	s_delay_alu instid0(VALU_DEP_2) | instskip(NEXT) | instid1(VALU_DEP_3)
	v_xor_b32_e32 v10, v6, v8
	v_xor_b32_e32 v14, v7, v8
	s_delay_alu instid0(TRANS32_DEP_1) | instskip(NEXT) | instid1(SALU_CYCLE_3)
	s_mul_f32 s0, s0, 0x5f7ffffc
	s_mul_f32 s2, s0, 0x2f800000
	s_delay_alu instid0(SALU_CYCLE_3) | instskip(NEXT) | instid1(SALU_CYCLE_3)
	s_trunc_f32 s2, s2
	s_fmamk_f32 s0, s2, 0xcf800000, s0
	s_cvt_u32_f32 s37, s2
	s_delay_alu instid0(SALU_CYCLE_2) | instskip(NEXT) | instid1(SALU_CYCLE_3)
	s_cvt_u32_f32 s36, s0
	s_mul_u64 s[42:43], s[38:39], s[36:37]
	s_delay_alu instid0(SALU_CYCLE_1)
	s_mul_hi_u32 s45, s36, s43
	s_mul_i32 s44, s36, s43
	s_mul_hi_u32 s2, s36, s42
	s_mul_i32 s27, s37, s42
	s_add_nc_u64 s[44:45], s[2:3], s[44:45]
	s_mul_hi_u32 s0, s37, s42
	s_mul_hi_u32 s41, s37, s43
	s_add_co_u32 s2, s44, s27
	s_add_co_ci_u32 s2, s45, s0
	s_mul_i32 s42, s37, s43
	s_add_co_ci_u32 s43, s41, 0
	s_delay_alu instid0(SALU_CYCLE_1) | instskip(NEXT) | instid1(SALU_CYCLE_1)
	s_add_nc_u64 s[42:43], s[2:3], s[42:43]
	s_add_co_u32 s36, s36, s42
	s_cselect_b32 s0, -1, 0
	s_delay_alu instid0(SALU_CYCLE_1) | instskip(SKIP_1) | instid1(SALU_CYCLE_1)
	s_cmp_lg_u32 s0, 0
	s_add_co_ci_u32 s37, s37, s43
	s_mul_u64 s[38:39], s[38:39], s[36:37]
	s_delay_alu instid0(SALU_CYCLE_1)
	s_mul_hi_u32 s43, s36, s39
	s_mul_i32 s42, s36, s39
	s_mul_hi_u32 s2, s36, s38
	s_mul_i32 s27, s37, s38
	s_add_nc_u64 s[42:43], s[2:3], s[42:43]
	s_mul_hi_u32 s0, s37, s38
	s_mul_hi_u32 s41, s37, s39
	s_add_co_u32 s2, s42, s27
	s_add_co_ci_u32 s2, s43, s0
	s_mul_i32 s38, s37, s39
	s_add_co_ci_u32 s39, s41, 0
	s_delay_alu instid0(SALU_CYCLE_1) | instskip(NEXT) | instid1(SALU_CYCLE_1)
	s_add_nc_u64 s[38:39], s[2:3], s[38:39]
	s_add_co_u32 s0, s36, s38
	s_cselect_b32 s2, -1, 0
	v_mul_hi_u32 v18, v10, s0
	s_cmp_lg_u32 s2, 0
	s_add_co_ci_u32 s2, s37, s39
	s_and_b64 s[36:37], s[0:1], s[24:25]
	v_mul_u64_e32 v[12:13], s[2:3], v[10:11]
	v_mul_u64_e32 v[6:7], s[36:37], v[14:15]
	;; [unrolled: 1-line block ×3, first 2 shown]
	s_delay_alu instid0(VALU_DEP_3) | instskip(NEXT) | instid1(VALU_DEP_1)
	v_add_nc_u64_e32 v[12:13], v[18:19], v[12:13]
	v_add_co_u32 v3, vcc_lo, v12, v6
	s_delay_alu instid0(VALU_DEP_2) | instskip(NEXT) | instid1(VALU_DEP_4)
	v_add_co_ci_u32_e32 v18, vcc_lo, v13, v7, vcc_lo
	v_add_co_ci_u32_e32 v17, vcc_lo, 0, v17, vcc_lo
	s_delay_alu instid0(VALU_DEP_1) | instskip(NEXT) | instid1(VALU_DEP_1)
	v_add_nc_u64_e32 v[6:7], v[18:19], v[16:17]
	v_mul_u64_e32 v[12:13], s[30:31], v[6:7]
	s_delay_alu instid0(VALU_DEP_1) | instskip(NEXT) | instid1(VALU_DEP_2)
	v_sub_nc_u32_e32 v3, v14, v13
	v_sub_co_u32 v9, vcc_lo, v10, v12
	s_delay_alu instid0(VALU_DEP_1) | instskip(NEXT) | instid1(VALU_DEP_3)
	v_sub_co_ci_u32_e64 v14, null, v14, v13, vcc_lo
	v_subrev_co_ci_u32_e64 v3, null, s31, v3, vcc_lo
	s_delay_alu instid0(VALU_DEP_3) | instskip(SKIP_1) | instid1(VALU_DEP_3)
	v_sub_co_u32 v10, s0, v9, s30
	v_add_nc_u64_e32 v[12:13], 1, v[6:7]
	v_subrev_co_ci_u32_e64 v3, null, 0, v3, s0
	s_delay_alu instid0(VALU_DEP_3) | instskip(SKIP_1) | instid1(VALU_DEP_3)
	v_cmp_le_u32_e32 vcc_lo, s30, v10
	v_cndmask_b32_e64 v10, 0, -1, vcc_lo
	v_cmp_le_u32_e32 vcc_lo, s31, v3
	v_cndmask_b32_e64 v11, 0, -1, vcc_lo
	;; [unrolled: 2-line block ×4, first 2 shown]
	v_cmp_eq_u32_e32 vcc_lo, s31, v3
	v_cndmask_b32_e32 v3, v11, v10, vcc_lo
	v_cmp_eq_u32_e32 vcc_lo, s31, v14
	v_add_nc_u64_e32 v[10:11], 2, v[6:7]
	v_cndmask_b32_e32 v9, v15, v9, vcc_lo
	s_delay_alu instid0(VALU_DEP_4) | instskip(NEXT) | instid1(VALU_DEP_3)
	v_cmp_ne_u32_e32 vcc_lo, 0, v3
	v_cndmask_b32_e32 v3, v13, v11, vcc_lo
	s_delay_alu instid0(VALU_DEP_3) | instskip(SKIP_1) | instid1(VALU_DEP_1)
	v_cmp_ne_u32_e64 s0, 0, v9
	v_dual_cndmask_b32 v9, v12, v10, vcc_lo :: v_dual_bitop2_b32 v8, s26, v8 bitop3:0x14
	v_dual_cndmask_b32 v3, v7, v3, s0 :: v_dual_cndmask_b32 v6, v6, v9, s0
	s_delay_alu instid0(VALU_DEP_1) | instskip(NEXT) | instid1(VALU_DEP_2)
	v_dual_mov_b32 v9, v8 :: v_dual_bitop2_b32 v7, v3, v8 bitop3:0x14
	v_xor_b32_e32 v6, v6, v8
	s_delay_alu instid0(VALU_DEP_1)
	v_sub_nc_u64_e32 v[8:9], v[6:7], v[8:9]
                                        ; implicit-def: $vgpr6_vgpr7
.LBB23_14:                              ;   in Loop: Header=BB23_4 Depth=1
	s_and_not1_saveexec_b32 s0, s35
	s_cbranch_execz .LBB23_2
; %bb.15:                               ;   in Loop: Header=BB23_4 Depth=1
	v_cvt_f32_u32_e32 v3, s20
	s_sub_co_i32 s2, 0, s20
	s_delay_alu instid0(VALU_DEP_1) | instskip(SKIP_1) | instid1(TRANS32_DEP_1)
	v_rcp_iflag_f32_e32 v3, v3
	v_nop
	v_mul_f32_e32 v3, 0x4f7ffffe, v3
	s_delay_alu instid0(VALU_DEP_1) | instskip(NEXT) | instid1(VALU_DEP_1)
	v_cvt_u32_f32_e32 v3, v3
	v_mul_lo_u32 v7, s2, v3
	s_delay_alu instid0(VALU_DEP_1) | instskip(NEXT) | instid1(VALU_DEP_1)
	v_mul_hi_u32 v7, v3, v7
	v_add_nc_u32_e32 v3, v3, v7
	s_delay_alu instid0(VALU_DEP_1) | instskip(NEXT) | instid1(VALU_DEP_1)
	v_mul_hi_u32 v3, v6, v3
	v_mul_lo_u32 v7, v3, s20
	s_delay_alu instid0(VALU_DEP_1) | instskip(SKIP_1) | instid1(VALU_DEP_2)
	v_sub_nc_u32_e32 v6, v6, v7
	v_add_nc_u32_e32 v7, 1, v3
	v_subrev_nc_u32_e32 v8, s20, v6
	v_cmp_le_u32_e32 vcc_lo, s20, v6
	s_delay_alu instid0(VALU_DEP_2) | instskip(NEXT) | instid1(VALU_DEP_1)
	v_dual_cndmask_b32 v6, v6, v8 :: v_dual_cndmask_b32 v3, v3, v7
	v_cmp_le_u32_e32 vcc_lo, s20, v6
	s_delay_alu instid0(VALU_DEP_2) | instskip(NEXT) | instid1(VALU_DEP_1)
	v_add_nc_u32_e32 v7, 1, v3
	v_cndmask_b32_e32 v8, v3, v7, vcc_lo
	s_branch .LBB23_2
.LBB23_16:
	s_endpgm
	.section	.rodata,"a",@progbits
	.p2align	6, 0x0
	.amdhsa_kernel _ZN2at4cuda17kernelHistogram1DIdalLi1ELi2ELin1ELNS0_23CUDAHistogramMemoryTypeE1EZNS0_21CUDA_tensor_histogramIdaLb1EEEbNS_6TensorES4_S4_lNS_14AccumulateTypeIT0_Lb1EE4typeES8_NS0_13TensorArgTypeES9_S9_EUllE0_EEvNS0_6detail10TensorInfoIT_T1_EESF_NSC_IKS6_SE_EElS8_S8_SE_T6_
		.amdhsa_group_segment_fixed_size 0
		.amdhsa_private_segment_fixed_size 0
		.amdhsa_kernarg_size 1544
		.amdhsa_user_sgpr_count 2
		.amdhsa_user_sgpr_dispatch_ptr 0
		.amdhsa_user_sgpr_queue_ptr 0
		.amdhsa_user_sgpr_kernarg_segment_ptr 1
		.amdhsa_user_sgpr_dispatch_id 0
		.amdhsa_user_sgpr_kernarg_preload_length 0
		.amdhsa_user_sgpr_kernarg_preload_offset 0
		.amdhsa_user_sgpr_private_segment_size 0
		.amdhsa_wavefront_size32 1
		.amdhsa_uses_dynamic_stack 0
		.amdhsa_enable_private_segment 0
		.amdhsa_system_sgpr_workgroup_id_x 1
		.amdhsa_system_sgpr_workgroup_id_y 0
		.amdhsa_system_sgpr_workgroup_id_z 0
		.amdhsa_system_sgpr_workgroup_info 0
		.amdhsa_system_vgpr_workitem_id 0
		.amdhsa_next_free_vgpr 24
		.amdhsa_next_free_sgpr 51
		.amdhsa_named_barrier_count 0
		.amdhsa_reserve_vcc 1
		.amdhsa_float_round_mode_32 0
		.amdhsa_float_round_mode_16_64 0
		.amdhsa_float_denorm_mode_32 3
		.amdhsa_float_denorm_mode_16_64 3
		.amdhsa_fp16_overflow 0
		.amdhsa_memory_ordered 1
		.amdhsa_forward_progress 1
		.amdhsa_inst_pref_size 17
		.amdhsa_round_robin_scheduling 0
		.amdhsa_exception_fp_ieee_invalid_op 0
		.amdhsa_exception_fp_denorm_src 0
		.amdhsa_exception_fp_ieee_div_zero 0
		.amdhsa_exception_fp_ieee_overflow 0
		.amdhsa_exception_fp_ieee_underflow 0
		.amdhsa_exception_fp_ieee_inexact 0
		.amdhsa_exception_int_div_zero 0
	.end_amdhsa_kernel
	.section	.text._ZN2at4cuda17kernelHistogram1DIdalLi1ELi2ELin1ELNS0_23CUDAHistogramMemoryTypeE1EZNS0_21CUDA_tensor_histogramIdaLb1EEEbNS_6TensorES4_S4_lNS_14AccumulateTypeIT0_Lb1EE4typeES8_NS0_13TensorArgTypeES9_S9_EUllE0_EEvNS0_6detail10TensorInfoIT_T1_EESF_NSC_IKS6_SE_EElS8_S8_SE_T6_,"axG",@progbits,_ZN2at4cuda17kernelHistogram1DIdalLi1ELi2ELin1ELNS0_23CUDAHistogramMemoryTypeE1EZNS0_21CUDA_tensor_histogramIdaLb1EEEbNS_6TensorES4_S4_lNS_14AccumulateTypeIT0_Lb1EE4typeES8_NS0_13TensorArgTypeES9_S9_EUllE0_EEvNS0_6detail10TensorInfoIT_T1_EESF_NSC_IKS6_SE_EElS8_S8_SE_T6_,comdat
.Lfunc_end23:
	.size	_ZN2at4cuda17kernelHistogram1DIdalLi1ELi2ELin1ELNS0_23CUDAHistogramMemoryTypeE1EZNS0_21CUDA_tensor_histogramIdaLb1EEEbNS_6TensorES4_S4_lNS_14AccumulateTypeIT0_Lb1EE4typeES8_NS0_13TensorArgTypeES9_S9_EUllE0_EEvNS0_6detail10TensorInfoIT_T1_EESF_NSC_IKS6_SE_EElS8_S8_SE_T6_, .Lfunc_end23-_ZN2at4cuda17kernelHistogram1DIdalLi1ELi2ELin1ELNS0_23CUDAHistogramMemoryTypeE1EZNS0_21CUDA_tensor_histogramIdaLb1EEEbNS_6TensorES4_S4_lNS_14AccumulateTypeIT0_Lb1EE4typeES8_NS0_13TensorArgTypeES9_S9_EUllE0_EEvNS0_6detail10TensorInfoIT_T1_EESF_NSC_IKS6_SE_EElS8_S8_SE_T6_
                                        ; -- End function
	.set _ZN2at4cuda17kernelHistogram1DIdalLi1ELi2ELin1ELNS0_23CUDAHistogramMemoryTypeE1EZNS0_21CUDA_tensor_histogramIdaLb1EEEbNS_6TensorES4_S4_lNS_14AccumulateTypeIT0_Lb1EE4typeES8_NS0_13TensorArgTypeES9_S9_EUllE0_EEvNS0_6detail10TensorInfoIT_T1_EESF_NSC_IKS6_SE_EElS8_S8_SE_T6_.num_vgpr, 24
	.set _ZN2at4cuda17kernelHistogram1DIdalLi1ELi2ELin1ELNS0_23CUDAHistogramMemoryTypeE1EZNS0_21CUDA_tensor_histogramIdaLb1EEEbNS_6TensorES4_S4_lNS_14AccumulateTypeIT0_Lb1EE4typeES8_NS0_13TensorArgTypeES9_S9_EUllE0_EEvNS0_6detail10TensorInfoIT_T1_EESF_NSC_IKS6_SE_EElS8_S8_SE_T6_.num_agpr, 0
	.set _ZN2at4cuda17kernelHistogram1DIdalLi1ELi2ELin1ELNS0_23CUDAHistogramMemoryTypeE1EZNS0_21CUDA_tensor_histogramIdaLb1EEEbNS_6TensorES4_S4_lNS_14AccumulateTypeIT0_Lb1EE4typeES8_NS0_13TensorArgTypeES9_S9_EUllE0_EEvNS0_6detail10TensorInfoIT_T1_EESF_NSC_IKS6_SE_EElS8_S8_SE_T6_.numbered_sgpr, 51
	.set _ZN2at4cuda17kernelHistogram1DIdalLi1ELi2ELin1ELNS0_23CUDAHistogramMemoryTypeE1EZNS0_21CUDA_tensor_histogramIdaLb1EEEbNS_6TensorES4_S4_lNS_14AccumulateTypeIT0_Lb1EE4typeES8_NS0_13TensorArgTypeES9_S9_EUllE0_EEvNS0_6detail10TensorInfoIT_T1_EESF_NSC_IKS6_SE_EElS8_S8_SE_T6_.num_named_barrier, 0
	.set _ZN2at4cuda17kernelHistogram1DIdalLi1ELi2ELin1ELNS0_23CUDAHistogramMemoryTypeE1EZNS0_21CUDA_tensor_histogramIdaLb1EEEbNS_6TensorES4_S4_lNS_14AccumulateTypeIT0_Lb1EE4typeES8_NS0_13TensorArgTypeES9_S9_EUllE0_EEvNS0_6detail10TensorInfoIT_T1_EESF_NSC_IKS6_SE_EElS8_S8_SE_T6_.private_seg_size, 0
	.set _ZN2at4cuda17kernelHistogram1DIdalLi1ELi2ELin1ELNS0_23CUDAHistogramMemoryTypeE1EZNS0_21CUDA_tensor_histogramIdaLb1EEEbNS_6TensorES4_S4_lNS_14AccumulateTypeIT0_Lb1EE4typeES8_NS0_13TensorArgTypeES9_S9_EUllE0_EEvNS0_6detail10TensorInfoIT_T1_EESF_NSC_IKS6_SE_EElS8_S8_SE_T6_.uses_vcc, 1
	.set _ZN2at4cuda17kernelHistogram1DIdalLi1ELi2ELin1ELNS0_23CUDAHistogramMemoryTypeE1EZNS0_21CUDA_tensor_histogramIdaLb1EEEbNS_6TensorES4_S4_lNS_14AccumulateTypeIT0_Lb1EE4typeES8_NS0_13TensorArgTypeES9_S9_EUllE0_EEvNS0_6detail10TensorInfoIT_T1_EESF_NSC_IKS6_SE_EElS8_S8_SE_T6_.uses_flat_scratch, 0
	.set _ZN2at4cuda17kernelHistogram1DIdalLi1ELi2ELin1ELNS0_23CUDAHistogramMemoryTypeE1EZNS0_21CUDA_tensor_histogramIdaLb1EEEbNS_6TensorES4_S4_lNS_14AccumulateTypeIT0_Lb1EE4typeES8_NS0_13TensorArgTypeES9_S9_EUllE0_EEvNS0_6detail10TensorInfoIT_T1_EESF_NSC_IKS6_SE_EElS8_S8_SE_T6_.has_dyn_sized_stack, 0
	.set _ZN2at4cuda17kernelHistogram1DIdalLi1ELi2ELin1ELNS0_23CUDAHistogramMemoryTypeE1EZNS0_21CUDA_tensor_histogramIdaLb1EEEbNS_6TensorES4_S4_lNS_14AccumulateTypeIT0_Lb1EE4typeES8_NS0_13TensorArgTypeES9_S9_EUllE0_EEvNS0_6detail10TensorInfoIT_T1_EESF_NSC_IKS6_SE_EElS8_S8_SE_T6_.has_recursion, 0
	.set _ZN2at4cuda17kernelHistogram1DIdalLi1ELi2ELin1ELNS0_23CUDAHistogramMemoryTypeE1EZNS0_21CUDA_tensor_histogramIdaLb1EEEbNS_6TensorES4_S4_lNS_14AccumulateTypeIT0_Lb1EE4typeES8_NS0_13TensorArgTypeES9_S9_EUllE0_EEvNS0_6detail10TensorInfoIT_T1_EESF_NSC_IKS6_SE_EElS8_S8_SE_T6_.has_indirect_call, 0
	.section	.AMDGPU.csdata,"",@progbits
; Kernel info:
; codeLenInByte = 2052
; TotalNumSgprs: 53
; NumVgprs: 24
; ScratchSize: 0
; MemoryBound: 0
; FloatMode: 240
; IeeeMode: 1
; LDSByteSize: 0 bytes/workgroup (compile time only)
; SGPRBlocks: 0
; VGPRBlocks: 1
; NumSGPRsForWavesPerEU: 53
; NumVGPRsForWavesPerEU: 24
; NamedBarCnt: 0
; Occupancy: 16
; WaveLimiterHint : 1
; COMPUTE_PGM_RSRC2:SCRATCH_EN: 0
; COMPUTE_PGM_RSRC2:USER_SGPR: 2
; COMPUTE_PGM_RSRC2:TRAP_HANDLER: 0
; COMPUTE_PGM_RSRC2:TGID_X_EN: 1
; COMPUTE_PGM_RSRC2:TGID_Y_EN: 0
; COMPUTE_PGM_RSRC2:TGID_Z_EN: 0
; COMPUTE_PGM_RSRC2:TIDIG_COMP_CNT: 0
	.section	.text._ZN2at4cuda17kernelHistogram1DIfilLi1ELi2ELin1ELNS0_23CUDAHistogramMemoryTypeE0EZNS0_21CUDA_tensor_histogramIfiLb1EEEbNS_6TensorES4_S4_lNS_14AccumulateTypeIT0_Lb1EE4typeES8_NS0_13TensorArgTypeES9_S9_EUllE_EEvNS0_6detail10TensorInfoIT_T1_EESF_NSC_IKS6_SE_EElS8_S8_SE_T6_,"axG",@progbits,_ZN2at4cuda17kernelHistogram1DIfilLi1ELi2ELin1ELNS0_23CUDAHistogramMemoryTypeE0EZNS0_21CUDA_tensor_histogramIfiLb1EEEbNS_6TensorES4_S4_lNS_14AccumulateTypeIT0_Lb1EE4typeES8_NS0_13TensorArgTypeES9_S9_EUllE_EEvNS0_6detail10TensorInfoIT_T1_EESF_NSC_IKS6_SE_EElS8_S8_SE_T6_,comdat
	.protected	_ZN2at4cuda17kernelHistogram1DIfilLi1ELi2ELin1ELNS0_23CUDAHistogramMemoryTypeE0EZNS0_21CUDA_tensor_histogramIfiLb1EEEbNS_6TensorES4_S4_lNS_14AccumulateTypeIT0_Lb1EE4typeES8_NS0_13TensorArgTypeES9_S9_EUllE_EEvNS0_6detail10TensorInfoIT_T1_EESF_NSC_IKS6_SE_EElS8_S8_SE_T6_ ; -- Begin function _ZN2at4cuda17kernelHistogram1DIfilLi1ELi2ELin1ELNS0_23CUDAHistogramMemoryTypeE0EZNS0_21CUDA_tensor_histogramIfiLb1EEEbNS_6TensorES4_S4_lNS_14AccumulateTypeIT0_Lb1EE4typeES8_NS0_13TensorArgTypeES9_S9_EUllE_EEvNS0_6detail10TensorInfoIT_T1_EESF_NSC_IKS6_SE_EElS8_S8_SE_T6_
	.globl	_ZN2at4cuda17kernelHistogram1DIfilLi1ELi2ELin1ELNS0_23CUDAHistogramMemoryTypeE0EZNS0_21CUDA_tensor_histogramIfiLb1EEEbNS_6TensorES4_S4_lNS_14AccumulateTypeIT0_Lb1EE4typeES8_NS0_13TensorArgTypeES9_S9_EUllE_EEvNS0_6detail10TensorInfoIT_T1_EESF_NSC_IKS6_SE_EElS8_S8_SE_T6_
	.p2align	8
	.type	_ZN2at4cuda17kernelHistogram1DIfilLi1ELi2ELin1ELNS0_23CUDAHistogramMemoryTypeE0EZNS0_21CUDA_tensor_histogramIfiLb1EEEbNS_6TensorES4_S4_lNS_14AccumulateTypeIT0_Lb1EE4typeES8_NS0_13TensorArgTypeES9_S9_EUllE_EEvNS0_6detail10TensorInfoIT_T1_EESF_NSC_IKS6_SE_EElS8_S8_SE_T6_,@function
_ZN2at4cuda17kernelHistogram1DIfilLi1ELi2ELin1ELNS0_23CUDAHistogramMemoryTypeE0EZNS0_21CUDA_tensor_histogramIfiLb1EEEbNS_6TensorES4_S4_lNS_14AccumulateTypeIT0_Lb1EE4typeES8_NS0_13TensorArgTypeES9_S9_EUllE_EEvNS0_6detail10TensorInfoIT_T1_EESF_NSC_IKS6_SE_EElS8_S8_SE_T6_: ; @_ZN2at4cuda17kernelHistogram1DIfilLi1ELi2ELin1ELNS0_23CUDAHistogramMemoryTypeE0EZNS0_21CUDA_tensor_histogramIfiLb1EEEbNS_6TensorES4_S4_lNS_14AccumulateTypeIT0_Lb1EE4typeES8_NS0_13TensorArgTypeES9_S9_EUllE_EEvNS0_6detail10TensorInfoIT_T1_EESF_NSC_IKS6_SE_EElS8_S8_SE_T6_
; %bb.0:
	s_clause 0x2
	s_load_b128 s[12:15], s[0:1], 0x0
	s_load_b64 s[16:17], s[0:1], 0x500
	s_load_b256 s[4:11], s[0:1], 0x4e0
	v_mov_b32_e32 v1, 0
	s_add_nc_u64 s[26:27], s[0:1], 0x6a0
	s_mov_b32 s3, exec_lo
                                        ; implicit-def: $sgpr18
	s_wait_kmcnt 0x0
	s_delay_alu instid0(VALU_DEP_1)
	v_cmp_gt_i64_e64 s2, s[14:15], v[0:1]
	v_cmpx_le_i64_e64 s[14:15], v[0:1]
	s_xor_b32 s3, exec_lo, s3
; %bb.1:
	s_load_b32 s18, s[26:27], 0xc
; %bb.2:
	s_or_saveexec_b32 s3, s3
	s_wait_kmcnt 0x0
	v_mov_b32_e32 v4, s18
	s_xor_b32 exec_lo, exec_lo, s3
	s_cbranch_execz .LBB24_12
; %bb.3:
	v_dual_mov_b32 v5, 0 :: v_dual_add_nc_u32 v4, 1, v0
	s_load_b32 s20, s[26:27], 0xc
	s_mov_b32 s22, -1
	s_delay_alu instid0(VALU_DEP_1) | instskip(SKIP_2) | instid1(SALU_CYCLE_1)
	v_max_i64 v[2:3], s[14:15], v[4:5]
	s_wait_kmcnt 0x0
	s_and_b32 s18, s20, 0xffff
	s_cmp_eq_u32 s18, 1
	s_cselect_b32 s19, -1, 0
	s_delay_alu instid0(VALU_DEP_1) | instskip(SKIP_1) | instid1(VALU_DEP_2)
	v_sub_nc_u64_e32 v[6:7], v[2:3], v[0:1]
	v_mov_b64_e32 v[2:3], v[0:1]
	v_cmp_lt_u64_e32 vcc_lo, 1, v[6:7]
	s_and_b32 s21, vcc_lo, s19
	s_delay_alu instid0(SALU_CYCLE_1)
	s_and_saveexec_b32 s19, s21
	s_cbranch_execz .LBB24_7
; %bb.4:
	v_dual_mov_b32 v3, v7 :: v_dual_bitop2_b32 v2, -2, v6 bitop3:0x40
	v_lshl_add_u32 v4, v0, 2, 0
	s_mov_b32 s21, 0
	s_delay_alu instid0(VALU_DEP_2)
	v_mov_b64_e32 v[8:9], v[2:3]
.LBB24_5:                               ; =>This Inner Loop Header: Depth=1
	s_delay_alu instid0(VALU_DEP_1) | instskip(SKIP_4) | instid1(SALU_CYCLE_1)
	v_add_nc_u64_e32 v[8:9], -2, v[8:9]
	ds_store_2addr_b32 v4, v5, v5 offset1:1
	v_add_nc_u32_e32 v4, 8, v4
	v_cmp_eq_u64_e32 vcc_lo, 0, v[8:9]
	s_or_b32 s21, vcc_lo, s21
	s_and_not1_b32 exec_lo, exec_lo, s21
	s_cbranch_execnz .LBB24_5
; %bb.6:
	s_or_b32 exec_lo, exec_lo, s21
	v_cmp_ne_u64_e32 vcc_lo, v[6:7], v[2:3]
	v_add_nc_u64_e32 v[2:3], v[2:3], v[0:1]
	s_or_not1_b32 s22, vcc_lo, exec_lo
.LBB24_7:
	s_or_b32 exec_lo, exec_lo, s19
	v_mov_b32_e32 v4, 1
	s_and_saveexec_b32 s21, s22
	s_cbranch_execz .LBB24_11
; %bb.8:
	s_delay_alu instid0(VALU_DEP_2)
	v_lshl_add_u32 v4, v2, 2, 0
	v_mov_b32_e32 v5, 0
	s_mov_b32 s19, 0
	s_lshl_b32 s23, s18, 2
	s_mov_b32 s22, s19
.LBB24_9:                               ; =>This Inner Loop Header: Depth=1
	v_add_nc_u64_e32 v[2:3], s[18:19], v[2:3]
	ds_store_b32 v4, v5
	v_add_nc_u32_e32 v4, s23, v4
	v_cmp_le_i64_e32 vcc_lo, s[14:15], v[2:3]
	s_or_b32 s22, vcc_lo, s22
	s_delay_alu instid0(SALU_CYCLE_1)
	s_and_not1_b32 exec_lo, exec_lo, s22
	s_cbranch_execnz .LBB24_9
; %bb.10:
	s_or_b32 exec_lo, exec_lo, s22
	v_mov_b32_e32 v4, s20
.LBB24_11:
	s_or_b32 exec_lo, exec_lo, s21
.LBB24_12:
	s_delay_alu instid0(SALU_CYCLE_1)
	s_or_b32 exec_lo, exec_lo, s3
	s_bfe_u32 s3, ttmp6, 0x4000c
	s_and_b32 s18, ttmp6, 15
	s_add_co_i32 s3, s3, 1
	s_getreg_b32 s19, hwreg(HW_REG_IB_STS2, 6, 4)
	s_mul_i32 s3, ttmp9, s3
	v_and_b32_e32 v2, 0xffff, v4
	s_add_co_i32 s18, s18, s3
	s_cmp_eq_u32 s19, 0
	v_mov_b32_e32 v6, 0
	s_cselect_b32 s3, ttmp9, s18
	s_mov_b32 s19, 0
	v_mad_u32 v4, s3, v2, v0
	s_mov_b32 s33, exec_lo
	v_mov_b32_e32 v5, v6
	s_wait_dscnt 0x0
	s_barrier_signal -1
	s_barrier_wait -1
	s_delay_alu instid0(VALU_DEP_1)
	v_cmpx_gt_i64_e64 s[10:11], v[4:5]
	s_cbranch_execz .LBB24_28
; %bb.13:
	s_load_b32 s3, s[0:1], 0x4d8
	s_load_b32 s18, s[26:27], 0x0
	s_clause 0x2
	s_load_b64 s[20:21], s[0:1], 0x5d0
	s_load_b64 s[22:23], s[0:1], 0x410
	;; [unrolled: 1-line block ×3, first 2 shown]
	s_add_nc_u64 s[30:31], s[0:1], 0x340
	v_mov_b32_e32 v9, v6
	s_wait_xcnt 0x0
	s_sub_nc_u64 s[26:27], s[8:9], s[6:7]
	s_mov_b64 s[28:29], 0xffffffff
	s_mov_b32 s46, 0
	s_wait_kmcnt 0x0
	s_cmp_gt_i32 s3, 1
	v_mul_lo_u32 v8, s18, v2
	s_cselect_b32 s44, -1, 0
	s_add_co_i32 s18, s3, -1
	s_add_co_i32 s45, s3, 1
	s_lshl_b64 s[34:35], s[18:19], 3
	s_delay_alu instid0(SALU_CYCLE_1)
	s_add_nc_u64 s[30:31], s[30:31], s[34:35]
	s_ashr_i32 s34, s27, 31
	s_add_nc_u64 s[30:31], s[30:31], 8
	s_branch .LBB24_16
.LBB24_14:                              ;   in Loop: Header=BB24_16 Depth=1
	s_or_b32 exec_lo, exec_lo, s3
	v_mul_u64_e32 v[10:11], s[20:21], v[4:5]
	s_delay_alu instid0(VALU_DEP_2) | instskip(NEXT) | instid1(VALU_DEP_1)
	v_ashrrev_i32_e32 v13, 31, v12
	v_cmp_eq_u64_e32 vcc_lo, s[4:5], v[12:13]
	v_subrev_co_ci_u32_e64 v7, null, 0, v12, vcc_lo
	s_delay_alu instid0(VALU_DEP_1)
	v_lshl_add_u32 v7, v7, 2, 0
	v_lshl_add_u64 v[10:11], v[10:11], 2, s[16:17]
	global_load_b32 v3, v[10:11], off
	s_wait_loadcnt 0x0
	ds_add_f32 v7, v3
.LBB24_15:                              ;   in Loop: Header=BB24_16 Depth=1
	s_wait_xcnt 0x0
	s_or_b32 exec_lo, exec_lo, s38
	v_add_nc_u64_e32 v[4:5], v[4:5], v[8:9]
	s_delay_alu instid0(VALU_DEP_1) | instskip(SKIP_1) | instid1(SALU_CYCLE_1)
	v_cmp_le_i64_e32 vcc_lo, s[10:11], v[4:5]
	s_or_b32 s46, vcc_lo, s46
	s_and_not1_b32 exec_lo, exec_lo, s46
	s_cbranch_execz .LBB24_28
.LBB24_16:                              ; =>This Loop Header: Depth=1
                                        ;     Child Loop BB24_17 Depth 2
	v_mov_b64_e32 v[10:11], 0
	v_mov_b64_e32 v[12:13], v[4:5]
	;; [unrolled: 1-line block ×3, first 2 shown]
	s_and_not1_b32 vcc_lo, exec_lo, s44
	s_mov_b64 s[36:37], s[30:31]
	s_mov_b32 s35, s45
	s_cbranch_vccnz .LBB24_23
.LBB24_17:                              ;   Parent Loop BB24_16 Depth=1
                                        ; =>  This Inner Loop Header: Depth=2
	s_load_b64 s[38:39], s[36:37], 0x0
                                        ; implicit-def: $vgpr14_vgpr15
	s_mov_b32 s3, exec_lo
	s_wait_kmcnt 0x0
	s_delay_alu instid0(VALU_DEP_1) | instskip(NEXT) | instid1(VALU_DEP_1)
	v_or_b32_e32 v7, s39, v13
	v_cmpx_ne_u64_e32 0, v[6:7]
	s_xor_b32 s47, exec_lo, s3
	s_cbranch_execz .LBB24_19
; %bb.18:                               ;   in Loop: Header=BB24_17 Depth=2
	s_ashr_i32 s40, s39, 31
	v_dual_mov_b32 v19, v6 :: v_dual_ashrrev_i32 v14, 31, v13
	s_mov_b32 s41, s40
	v_mov_b32_e32 v27, v6
	s_add_nc_u64 s[42:43], s[38:39], s[40:41]
	s_delay_alu instid0(VALU_DEP_2) | instskip(SKIP_1) | instid1(SALU_CYCLE_1)
	v_mov_b32_e32 v15, v14
	s_xor_b64 s[42:43], s[42:43], s[40:41]
	s_cvt_f32_u32 s3, s42
	s_cvt_f32_u32 s18, s43
	s_sub_nc_u64 s[50:51], 0, s[42:43]
	v_add_nc_u64_e32 v[16:17], v[12:13], v[14:15]
	v_mov_b32_e32 v23, v6
	s_fmamk_f32 s3, s18, 0x4f800000, s3
	s_delay_alu instid0(SALU_CYCLE_3) | instskip(NEXT) | instid1(VALU_DEP_2)
	v_s_rcp_f32 s3, s3
	v_xor_b32_e32 v18, v16, v14
	s_delay_alu instid0(VALU_DEP_3) | instskip(SKIP_1) | instid1(TRANS32_DEP_1)
	v_xor_b32_e32 v22, v17, v14
	v_xor_b32_e32 v14, s40, v14
	s_mul_f32 s3, s3, 0x5f7ffffc
	s_delay_alu instid0(SALU_CYCLE_3) | instskip(NEXT) | instid1(SALU_CYCLE_3)
	s_mul_f32 s18, s3, 0x2f800000
	s_trunc_f32 s18, s18
	s_delay_alu instid0(SALU_CYCLE_3) | instskip(SKIP_1) | instid1(SALU_CYCLE_2)
	s_fmamk_f32 s3, s18, 0xcf800000, s3
	s_cvt_u32_f32 s49, s18
	s_cvt_u32_f32 s48, s3
	s_delay_alu instid0(SALU_CYCLE_3) | instskip(NEXT) | instid1(SALU_CYCLE_1)
	s_mul_u64 s[52:53], s[50:51], s[48:49]
	s_mul_hi_u32 s55, s48, s53
	s_mul_i32 s54, s48, s53
	s_mul_hi_u32 s18, s48, s52
	s_mul_i32 s41, s49, s52
	s_add_nc_u64 s[54:55], s[18:19], s[54:55]
	s_mul_hi_u32 s3, s49, s52
	s_mul_hi_u32 s56, s49, s53
	s_add_co_u32 s18, s54, s41
	s_add_co_ci_u32 s18, s55, s3
	s_mul_i32 s52, s49, s53
	s_add_co_ci_u32 s53, s56, 0
	s_delay_alu instid0(SALU_CYCLE_1) | instskip(NEXT) | instid1(SALU_CYCLE_1)
	s_add_nc_u64 s[52:53], s[18:19], s[52:53]
	s_add_co_u32 s48, s48, s52
	s_cselect_b32 s3, -1, 0
	s_delay_alu instid0(SALU_CYCLE_1) | instskip(SKIP_1) | instid1(SALU_CYCLE_1)
	s_cmp_lg_u32 s3, 0
	s_add_co_ci_u32 s49, s49, s53
	s_mul_u64 s[50:51], s[50:51], s[48:49]
	s_delay_alu instid0(SALU_CYCLE_1)
	s_mul_hi_u32 s53, s48, s51
	s_mul_i32 s52, s48, s51
	s_mul_hi_u32 s18, s48, s50
	s_mul_i32 s41, s49, s50
	s_add_nc_u64 s[52:53], s[18:19], s[52:53]
	s_mul_hi_u32 s3, s49, s50
	s_mul_hi_u32 s54, s49, s51
	s_add_co_u32 s18, s52, s41
	s_add_co_ci_u32 s18, s53, s3
	s_mul_i32 s50, s49, s51
	s_add_co_ci_u32 s51, s54, 0
	s_delay_alu instid0(SALU_CYCLE_1) | instskip(NEXT) | instid1(SALU_CYCLE_1)
	s_add_nc_u64 s[50:51], s[18:19], s[50:51]
	s_add_co_u32 s48, s48, s50
	s_cselect_b32 s3, -1, 0
	v_mul_hi_u32 v26, v18, s48
	s_cmp_lg_u32 s3, 0
	s_add_co_ci_u32 s18, s49, s51
	s_and_b64 s[50:51], s[48:49], s[28:29]
	v_mul_u64_e32 v[20:21], s[18:19], v[18:19]
	v_mul_u64_e32 v[16:17], s[50:51], v[22:23]
	;; [unrolled: 1-line block ×3, first 2 shown]
	s_delay_alu instid0(VALU_DEP_3) | instskip(NEXT) | instid1(VALU_DEP_1)
	v_add_nc_u64_e32 v[20:21], v[26:27], v[20:21]
	v_add_co_u32 v3, vcc_lo, v20, v16
	s_delay_alu instid0(VALU_DEP_2) | instskip(NEXT) | instid1(VALU_DEP_4)
	v_add_co_ci_u32_e32 v26, vcc_lo, v21, v17, vcc_lo
	v_add_co_ci_u32_e32 v25, vcc_lo, 0, v25, vcc_lo
	s_delay_alu instid0(VALU_DEP_1) | instskip(NEXT) | instid1(VALU_DEP_1)
	v_add_nc_u64_e32 v[16:17], v[26:27], v[24:25]
	v_mul_u64_e32 v[20:21], s[42:43], v[16:17]
	s_delay_alu instid0(VALU_DEP_1) | instskip(NEXT) | instid1(VALU_DEP_2)
	v_sub_nc_u32_e32 v3, v22, v21
	v_sub_co_u32 v7, vcc_lo, v18, v20
	s_delay_alu instid0(VALU_DEP_1) | instskip(NEXT) | instid1(VALU_DEP_3)
	v_sub_co_ci_u32_e64 v22, null, v22, v21, vcc_lo
	v_subrev_co_ci_u32_e64 v3, null, s43, v3, vcc_lo
	s_delay_alu instid0(VALU_DEP_3) | instskip(SKIP_1) | instid1(VALU_DEP_3)
	v_sub_co_u32 v15, s3, v7, s42
	v_add_nc_u64_e32 v[20:21], 1, v[16:17]
	v_subrev_co_ci_u32_e64 v3, null, 0, v3, s3
	s_delay_alu instid0(VALU_DEP_3) | instskip(SKIP_1) | instid1(VALU_DEP_3)
	v_cmp_le_u32_e32 vcc_lo, s42, v15
	v_cndmask_b32_e64 v15, 0, -1, vcc_lo
	v_cmp_le_u32_e32 vcc_lo, s43, v3
	v_cndmask_b32_e64 v18, 0, -1, vcc_lo
	;; [unrolled: 2-line block ×4, first 2 shown]
	v_cmp_eq_u32_e32 vcc_lo, s43, v3
	v_cndmask_b32_e32 v3, v18, v15, vcc_lo
	v_cmp_eq_u32_e32 vcc_lo, s43, v22
	v_add_nc_u64_e32 v[18:19], 2, v[16:17]
	v_dual_mov_b32 v15, v14 :: v_dual_cndmask_b32 v7, v23, v7, vcc_lo
	s_delay_alu instid0(VALU_DEP_4) | instskip(NEXT) | instid1(VALU_DEP_2)
	v_cmp_ne_u32_e32 vcc_lo, 0, v3
	v_cmp_ne_u32_e64 s3, 0, v7
	s_delay_alu instid0(VALU_DEP_4) | instskip(NEXT) | instid1(VALU_DEP_1)
	v_dual_cndmask_b32 v3, v21, v19, vcc_lo :: v_dual_cndmask_b32 v7, v20, v18, vcc_lo
	v_cndmask_b32_e64 v7, v16, v7, s3
	s_delay_alu instid0(VALU_DEP_1) | instskip(NEXT) | instid1(VALU_DEP_1)
	v_dual_cndmask_b32 v3, v17, v3, s3 :: v_dual_bitop2_b32 v16, v7, v14 bitop3:0x14
	v_xor_b32_e32 v17, v3, v14
	s_delay_alu instid0(VALU_DEP_1)
	v_sub_nc_u64_e32 v[14:15], v[16:17], v[14:15]
.LBB24_19:                              ;   in Loop: Header=BB24_17 Depth=2
	s_and_not1_saveexec_b32 s3, s47
	s_cbranch_execz .LBB24_21
; %bb.20:                               ;   in Loop: Header=BB24_17 Depth=2
	v_cvt_f32_u32_e32 v3, s38
	s_sub_co_i32 s18, 0, s38
	s_delay_alu instid0(VALU_DEP_1) | instskip(SKIP_1) | instid1(TRANS32_DEP_1)
	v_rcp_iflag_f32_e32 v3, v3
	v_nop
	v_mul_f32_e32 v3, 0x4f7ffffe, v3
	s_delay_alu instid0(VALU_DEP_1) | instskip(NEXT) | instid1(VALU_DEP_1)
	v_cvt_u32_f32_e32 v3, v3
	v_mul_lo_u32 v7, s18, v3
	s_delay_alu instid0(VALU_DEP_1) | instskip(NEXT) | instid1(VALU_DEP_1)
	v_mul_hi_u32 v7, v3, v7
	v_add_nc_u32_e32 v3, v3, v7
	s_delay_alu instid0(VALU_DEP_1) | instskip(NEXT) | instid1(VALU_DEP_1)
	v_mul_hi_u32 v3, v12, v3
	v_mul_lo_u32 v7, v3, s38
	v_add_nc_u32_e32 v14, 1, v3
	s_delay_alu instid0(VALU_DEP_2) | instskip(NEXT) | instid1(VALU_DEP_1)
	v_sub_nc_u32_e32 v7, v12, v7
	v_subrev_nc_u32_e32 v15, s38, v7
	v_cmp_le_u32_e32 vcc_lo, s38, v7
	s_delay_alu instid0(VALU_DEP_2) | instskip(SKIP_1) | instid1(VALU_DEP_2)
	v_dual_cndmask_b32 v7, v7, v15, vcc_lo :: v_dual_mov_b32 v15, v6
	v_cndmask_b32_e32 v3, v3, v14, vcc_lo
	v_cmp_le_u32_e32 vcc_lo, s38, v7
	s_delay_alu instid0(VALU_DEP_2) | instskip(NEXT) | instid1(VALU_DEP_1)
	v_add_nc_u32_e32 v14, 1, v3
	v_cndmask_b32_e32 v14, v3, v14, vcc_lo
.LBB24_21:                              ;   in Loop: Header=BB24_17 Depth=2
	s_or_b32 exec_lo, exec_lo, s3
	s_delay_alu instid0(VALU_DEP_1)
	v_mul_u64_e32 v[16:17], s[38:39], v[14:15]
	s_load_b64 s[38:39], s[36:37], 0xc8
	s_add_co_i32 s35, s35, -1
	s_wait_xcnt 0x0
	s_add_nc_u64 s[36:37], s[36:37], -8
	s_cmp_gt_u32 s35, 2
	s_delay_alu instid0(VALU_DEP_1) | instskip(SKIP_1) | instid1(VALU_DEP_1)
	v_sub_nc_u64_e32 v[12:13], v[12:13], v[16:17]
	s_wait_kmcnt 0x0
	v_mad_nc_u64_u32 v[10:11], s38, v12, v[10:11]
	s_delay_alu instid0(VALU_DEP_1) | instskip(NEXT) | instid1(VALU_DEP_1)
	v_mad_u32 v3, s39, v12, v11
	v_mad_u32 v11, s38, v13, v3
	s_cbranch_scc0 .LBB24_23
; %bb.22:                               ;   in Loop: Header=BB24_17 Depth=2
	v_mov_b64_e32 v[12:13], v[14:15]
	s_branch .LBB24_17
.LBB24_23:                              ;   in Loop: Header=BB24_16 Depth=1
	s_delay_alu instid0(VALU_DEP_1) | instskip(NEXT) | instid1(VALU_DEP_1)
	v_mul_u64_e32 v[12:13], s[22:23], v[14:15]
	v_lshl_add_u64 v[12:13], v[12:13], 2, s[24:25]
	s_delay_alu instid0(VALU_DEP_1) | instskip(SKIP_4) | instid1(VALU_DEP_1)
	v_lshl_add_u64 v[10:11], v[10:11], 2, v[12:13]
	global_load_b32 v10, v[10:11], off
	s_wait_loadcnt 0x0
	s_wait_xcnt 0x0
	v_ashrrev_i32_e32 v11, 31, v10
	v_cmp_le_i64_e32 vcc_lo, s[6:7], v[10:11]
	v_cmp_ge_i64_e64 s3, s[8:9], v[10:11]
	s_and_b32 s3, vcc_lo, s3
	s_delay_alu instid0(SALU_CYCLE_1)
	s_and_saveexec_b32 s38, s3
	s_cbranch_execz .LBB24_15
; %bb.24:                               ;   in Loop: Header=BB24_16 Depth=1
	v_sub_nc_u64_e64 v[10:11], v[10:11], s[6:7]
                                        ; implicit-def: $vgpr12_vgpr13
	s_mov_b32 s3, exec_lo
	s_delay_alu instid0(VALU_DEP_1) | instskip(NEXT) | instid1(VALU_DEP_1)
	v_mul_u64_e32 v[10:11], s[4:5], v[10:11]
	v_or_b32_e32 v7, s27, v11
	s_delay_alu instid0(VALU_DEP_1)
	v_cmpx_ne_u64_e32 0, v[6:7]
	s_xor_b32 s39, exec_lo, s3
	s_cbranch_execz .LBB24_26
; %bb.25:                               ;   in Loop: Header=BB24_16 Depth=1
	s_mov_b32 s35, s34
	v_dual_mov_b32 v15, v6 :: v_dual_ashrrev_i32 v12, 31, v11
	s_add_nc_u64 s[36:37], s[26:27], s[34:35]
	v_mov_b32_e32 v23, v6
	s_xor_b64 s[36:37], s[36:37], s[34:35]
	s_delay_alu instid0(VALU_DEP_2) | instskip(SKIP_3) | instid1(VALU_DEP_1)
	v_mov_b32_e32 v13, v12
	s_cvt_f32_u32 s3, s36
	s_cvt_f32_u32 s18, s37
	s_sub_nc_u64 s[42:43], 0, s[36:37]
	v_add_nc_u64_e32 v[10:11], v[10:11], v[12:13]
	s_delay_alu instid0(SALU_CYCLE_1) | instskip(SKIP_1) | instid1(SALU_CYCLE_2)
	s_fmamk_f32 s3, s18, 0x4f800000, s3
	v_mov_b32_e32 v19, v6
	v_s_rcp_f32 s3, s3
	s_delay_alu instid0(VALU_DEP_2) | instskip(NEXT) | instid1(VALU_DEP_3)
	v_xor_b32_e32 v14, v10, v12
	v_xor_b32_e32 v18, v11, v12
	;; [unrolled: 1-line block ×3, first 2 shown]
	s_delay_alu instid0(TRANS32_DEP_1) | instskip(NEXT) | instid1(SALU_CYCLE_3)
	s_mul_f32 s3, s3, 0x5f7ffffc
	s_mul_f32 s18, s3, 0x2f800000
	s_delay_alu instid0(SALU_CYCLE_3) | instskip(NEXT) | instid1(SALU_CYCLE_3)
	s_trunc_f32 s18, s18
	s_fmamk_f32 s3, s18, 0xcf800000, s3
	s_cvt_u32_f32 s41, s18
	s_delay_alu instid0(SALU_CYCLE_2) | instskip(NEXT) | instid1(SALU_CYCLE_3)
	s_cvt_u32_f32 s40, s3
	s_mul_u64 s[48:49], s[42:43], s[40:41]
	s_delay_alu instid0(SALU_CYCLE_1)
	s_mul_hi_u32 s51, s40, s49
	s_mul_i32 s50, s40, s49
	s_mul_hi_u32 s18, s40, s48
	s_mul_i32 s35, s41, s48
	s_add_nc_u64 s[50:51], s[18:19], s[50:51]
	s_mul_hi_u32 s3, s41, s48
	s_mul_hi_u32 s47, s41, s49
	s_add_co_u32 s18, s50, s35
	s_add_co_ci_u32 s18, s51, s3
	s_mul_i32 s48, s41, s49
	s_add_co_ci_u32 s49, s47, 0
	s_delay_alu instid0(SALU_CYCLE_1) | instskip(NEXT) | instid1(SALU_CYCLE_1)
	s_add_nc_u64 s[48:49], s[18:19], s[48:49]
	s_add_co_u32 s40, s40, s48
	s_cselect_b32 s3, -1, 0
	s_delay_alu instid0(SALU_CYCLE_1) | instskip(SKIP_1) | instid1(SALU_CYCLE_1)
	s_cmp_lg_u32 s3, 0
	s_add_co_ci_u32 s41, s41, s49
	s_mul_u64 s[42:43], s[42:43], s[40:41]
	s_delay_alu instid0(SALU_CYCLE_1)
	s_mul_hi_u32 s49, s40, s43
	s_mul_i32 s48, s40, s43
	s_mul_hi_u32 s18, s40, s42
	s_mul_i32 s35, s41, s42
	s_add_nc_u64 s[48:49], s[18:19], s[48:49]
	s_mul_hi_u32 s3, s41, s42
	s_mul_hi_u32 s47, s41, s43
	s_add_co_u32 s18, s48, s35
	s_add_co_ci_u32 s18, s49, s3
	s_mul_i32 s42, s41, s43
	s_add_co_ci_u32 s43, s47, 0
	s_delay_alu instid0(SALU_CYCLE_1) | instskip(NEXT) | instid1(SALU_CYCLE_1)
	s_add_nc_u64 s[42:43], s[18:19], s[42:43]
	s_add_co_u32 s40, s40, s42
	s_cselect_b32 s3, -1, 0
	v_mul_hi_u32 v22, v14, s40
	s_cmp_lg_u32 s3, 0
	s_add_co_ci_u32 s18, s41, s43
	s_and_b64 s[42:43], s[40:41], s[28:29]
	v_mul_u64_e32 v[16:17], s[18:19], v[14:15]
	v_mul_u64_e32 v[10:11], s[42:43], v[18:19]
	v_mul_u64_e32 v[20:21], s[18:19], v[18:19]
	s_delay_alu instid0(VALU_DEP_3) | instskip(NEXT) | instid1(VALU_DEP_1)
	v_add_nc_u64_e32 v[16:17], v[22:23], v[16:17]
	v_add_co_u32 v3, vcc_lo, v16, v10
	s_delay_alu instid0(VALU_DEP_2) | instskip(NEXT) | instid1(VALU_DEP_4)
	v_add_co_ci_u32_e32 v22, vcc_lo, v17, v11, vcc_lo
	v_add_co_ci_u32_e32 v21, vcc_lo, 0, v21, vcc_lo
	s_delay_alu instid0(VALU_DEP_1) | instskip(NEXT) | instid1(VALU_DEP_1)
	v_add_nc_u64_e32 v[10:11], v[22:23], v[20:21]
	v_mul_u64_e32 v[16:17], s[36:37], v[10:11]
	s_delay_alu instid0(VALU_DEP_1) | instskip(NEXT) | instid1(VALU_DEP_2)
	v_sub_nc_u32_e32 v3, v18, v17
	v_sub_co_u32 v7, vcc_lo, v14, v16
	s_delay_alu instid0(VALU_DEP_1) | instskip(NEXT) | instid1(VALU_DEP_3)
	v_sub_co_ci_u32_e64 v18, null, v18, v17, vcc_lo
	v_subrev_co_ci_u32_e64 v3, null, s37, v3, vcc_lo
	s_delay_alu instid0(VALU_DEP_3) | instskip(SKIP_1) | instid1(VALU_DEP_3)
	v_sub_co_u32 v13, s3, v7, s36
	v_add_nc_u64_e32 v[16:17], 1, v[10:11]
	v_subrev_co_ci_u32_e64 v3, null, 0, v3, s3
	s_delay_alu instid0(VALU_DEP_3) | instskip(SKIP_1) | instid1(VALU_DEP_3)
	v_cmp_le_u32_e32 vcc_lo, s36, v13
	v_cndmask_b32_e64 v13, 0, -1, vcc_lo
	v_cmp_le_u32_e32 vcc_lo, s37, v3
	v_cndmask_b32_e64 v14, 0, -1, vcc_lo
	;; [unrolled: 2-line block ×4, first 2 shown]
	v_cmp_eq_u32_e32 vcc_lo, s37, v3
	v_cndmask_b32_e32 v3, v14, v13, vcc_lo
	v_cmp_eq_u32_e32 vcc_lo, s37, v18
	v_add_nc_u64_e32 v[14:15], 2, v[10:11]
	v_dual_mov_b32 v13, v12 :: v_dual_cndmask_b32 v7, v19, v7, vcc_lo
	s_delay_alu instid0(VALU_DEP_4) | instskip(NEXT) | instid1(VALU_DEP_2)
	v_cmp_ne_u32_e32 vcc_lo, 0, v3
	v_cmp_ne_u32_e64 s3, 0, v7
	s_delay_alu instid0(VALU_DEP_4) | instskip(NEXT) | instid1(VALU_DEP_1)
	v_dual_cndmask_b32 v3, v17, v15, vcc_lo :: v_dual_cndmask_b32 v7, v16, v14, vcc_lo
	v_cndmask_b32_e64 v3, v11, v3, s3
	s_delay_alu instid0(VALU_DEP_1) | instskip(NEXT) | instid1(VALU_DEP_1)
	v_dual_cndmask_b32 v7, v10, v7, s3 :: v_dual_bitop2_b32 v11, v3, v12 bitop3:0x14
	v_xor_b32_e32 v10, v7, v12
	s_delay_alu instid0(VALU_DEP_1)
	v_sub_nc_u64_e32 v[12:13], v[10:11], v[12:13]
                                        ; implicit-def: $vgpr10_vgpr11
.LBB24_26:                              ;   in Loop: Header=BB24_16 Depth=1
	s_and_not1_saveexec_b32 s3, s39
	s_cbranch_execz .LBB24_14
; %bb.27:                               ;   in Loop: Header=BB24_16 Depth=1
	v_cvt_f32_u32_e32 v3, s26
	s_sub_co_i32 s18, 0, s26
	s_delay_alu instid0(VALU_DEP_1) | instskip(SKIP_1) | instid1(TRANS32_DEP_1)
	v_rcp_iflag_f32_e32 v3, v3
	v_nop
	v_mul_f32_e32 v3, 0x4f7ffffe, v3
	s_delay_alu instid0(VALU_DEP_1) | instskip(NEXT) | instid1(VALU_DEP_1)
	v_cvt_u32_f32_e32 v3, v3
	v_mul_lo_u32 v7, s18, v3
	s_delay_alu instid0(VALU_DEP_1) | instskip(NEXT) | instid1(VALU_DEP_1)
	v_mul_hi_u32 v7, v3, v7
	v_add_nc_u32_e32 v3, v3, v7
	s_delay_alu instid0(VALU_DEP_1) | instskip(NEXT) | instid1(VALU_DEP_1)
	v_mul_hi_u32 v3, v10, v3
	v_mul_lo_u32 v7, v3, s26
	s_delay_alu instid0(VALU_DEP_1) | instskip(SKIP_1) | instid1(VALU_DEP_2)
	v_sub_nc_u32_e32 v7, v10, v7
	v_add_nc_u32_e32 v10, 1, v3
	v_subrev_nc_u32_e32 v11, s26, v7
	v_cmp_le_u32_e32 vcc_lo, s26, v7
	s_delay_alu instid0(VALU_DEP_2) | instskip(NEXT) | instid1(VALU_DEP_4)
	v_cndmask_b32_e32 v7, v7, v11, vcc_lo
	v_cndmask_b32_e32 v3, v3, v10, vcc_lo
	s_delay_alu instid0(VALU_DEP_2) | instskip(NEXT) | instid1(VALU_DEP_2)
	v_cmp_le_u32_e32 vcc_lo, s26, v7
	v_add_nc_u32_e32 v10, 1, v3
	s_delay_alu instid0(VALU_DEP_1)
	v_cndmask_b32_e32 v12, v3, v10, vcc_lo
	s_branch .LBB24_14
.LBB24_28:
	s_or_b32 exec_lo, exec_lo, s33
	s_load_b64 s[0:1], s[0:1], 0xd0
; %bb.29:
	s_wait_dscnt 0x0
	s_barrier_signal -1
	s_barrier_wait -1
	s_and_saveexec_b32 s3, s2
	s_cbranch_execz .LBB24_32
; %bb.30:
	v_dual_mov_b32 v3, 0 :: v_dual_lshlrev_b32 v9, 2, v2
	s_wait_kmcnt 0x0
	v_mul_u64_e32 v[4:5], s[0:1], v[0:1]
	v_lshl_add_u32 v8, v0, 2, 0
	s_delay_alu instid0(VALU_DEP_3) | instskip(SKIP_1) | instid1(VALU_DEP_3)
	v_mul_u64_e32 v[6:7], s[0:1], v[2:3]
	s_mov_b32 s0, 0
	v_lshl_add_u64 v[4:5], v[4:5], 2, s[12:13]
	s_delay_alu instid0(VALU_DEP_2)
	v_lshlrev_b64_e32 v[6:7], 2, v[6:7]
.LBB24_31:                              ; =>This Inner Loop Header: Depth=1
	ds_load_b32 v10, v8
	v_add_nc_u64_e32 v[0:1], v[0:1], v[2:3]
	v_add_nc_u32_e32 v8, v8, v9
	s_delay_alu instid0(VALU_DEP_2)
	v_cmp_le_i64_e32 vcc_lo, s[14:15], v[0:1]
	s_or_b32 s0, vcc_lo, s0
	s_wait_dscnt 0x0
	global_atomic_add_f32 v[4:5], v10, off scope:SCOPE_DEV
	s_wait_xcnt 0x0
	v_add_nc_u64_e32 v[4:5], v[4:5], v[6:7]
	s_and_not1_b32 exec_lo, exec_lo, s0
	s_cbranch_execnz .LBB24_31
.LBB24_32:
	s_endpgm
	.section	.rodata,"a",@progbits
	.p2align	6, 0x0
	.amdhsa_kernel _ZN2at4cuda17kernelHistogram1DIfilLi1ELi2ELin1ELNS0_23CUDAHistogramMemoryTypeE0EZNS0_21CUDA_tensor_histogramIfiLb1EEEbNS_6TensorES4_S4_lNS_14AccumulateTypeIT0_Lb1EE4typeES8_NS0_13TensorArgTypeES9_S9_EUllE_EEvNS0_6detail10TensorInfoIT_T1_EESF_NSC_IKS6_SE_EElS8_S8_SE_T6_
		.amdhsa_group_segment_fixed_size 0
		.amdhsa_private_segment_fixed_size 0
		.amdhsa_kernarg_size 1952
		.amdhsa_user_sgpr_count 2
		.amdhsa_user_sgpr_dispatch_ptr 0
		.amdhsa_user_sgpr_queue_ptr 0
		.amdhsa_user_sgpr_kernarg_segment_ptr 1
		.amdhsa_user_sgpr_dispatch_id 0
		.amdhsa_user_sgpr_kernarg_preload_length 0
		.amdhsa_user_sgpr_kernarg_preload_offset 0
		.amdhsa_user_sgpr_private_segment_size 0
		.amdhsa_wavefront_size32 1
		.amdhsa_uses_dynamic_stack 0
		.amdhsa_enable_private_segment 0
		.amdhsa_system_sgpr_workgroup_id_x 1
		.amdhsa_system_sgpr_workgroup_id_y 0
		.amdhsa_system_sgpr_workgroup_id_z 0
		.amdhsa_system_sgpr_workgroup_info 0
		.amdhsa_system_vgpr_workitem_id 0
		.amdhsa_next_free_vgpr 28
		.amdhsa_next_free_sgpr 57
		.amdhsa_named_barrier_count 0
		.amdhsa_reserve_vcc 1
		.amdhsa_float_round_mode_32 0
		.amdhsa_float_round_mode_16_64 0
		.amdhsa_float_denorm_mode_32 3
		.amdhsa_float_denorm_mode_16_64 3
		.amdhsa_fp16_overflow 0
		.amdhsa_memory_ordered 1
		.amdhsa_forward_progress 1
		.amdhsa_inst_pref_size 20
		.amdhsa_round_robin_scheduling 0
		.amdhsa_exception_fp_ieee_invalid_op 0
		.amdhsa_exception_fp_denorm_src 0
		.amdhsa_exception_fp_ieee_div_zero 0
		.amdhsa_exception_fp_ieee_overflow 0
		.amdhsa_exception_fp_ieee_underflow 0
		.amdhsa_exception_fp_ieee_inexact 0
		.amdhsa_exception_int_div_zero 0
	.end_amdhsa_kernel
	.section	.text._ZN2at4cuda17kernelHistogram1DIfilLi1ELi2ELin1ELNS0_23CUDAHistogramMemoryTypeE0EZNS0_21CUDA_tensor_histogramIfiLb1EEEbNS_6TensorES4_S4_lNS_14AccumulateTypeIT0_Lb1EE4typeES8_NS0_13TensorArgTypeES9_S9_EUllE_EEvNS0_6detail10TensorInfoIT_T1_EESF_NSC_IKS6_SE_EElS8_S8_SE_T6_,"axG",@progbits,_ZN2at4cuda17kernelHistogram1DIfilLi1ELi2ELin1ELNS0_23CUDAHistogramMemoryTypeE0EZNS0_21CUDA_tensor_histogramIfiLb1EEEbNS_6TensorES4_S4_lNS_14AccumulateTypeIT0_Lb1EE4typeES8_NS0_13TensorArgTypeES9_S9_EUllE_EEvNS0_6detail10TensorInfoIT_T1_EESF_NSC_IKS6_SE_EElS8_S8_SE_T6_,comdat
.Lfunc_end24:
	.size	_ZN2at4cuda17kernelHistogram1DIfilLi1ELi2ELin1ELNS0_23CUDAHistogramMemoryTypeE0EZNS0_21CUDA_tensor_histogramIfiLb1EEEbNS_6TensorES4_S4_lNS_14AccumulateTypeIT0_Lb1EE4typeES8_NS0_13TensorArgTypeES9_S9_EUllE_EEvNS0_6detail10TensorInfoIT_T1_EESF_NSC_IKS6_SE_EElS8_S8_SE_T6_, .Lfunc_end24-_ZN2at4cuda17kernelHistogram1DIfilLi1ELi2ELin1ELNS0_23CUDAHistogramMemoryTypeE0EZNS0_21CUDA_tensor_histogramIfiLb1EEEbNS_6TensorES4_S4_lNS_14AccumulateTypeIT0_Lb1EE4typeES8_NS0_13TensorArgTypeES9_S9_EUllE_EEvNS0_6detail10TensorInfoIT_T1_EESF_NSC_IKS6_SE_EElS8_S8_SE_T6_
                                        ; -- End function
	.set _ZN2at4cuda17kernelHistogram1DIfilLi1ELi2ELin1ELNS0_23CUDAHistogramMemoryTypeE0EZNS0_21CUDA_tensor_histogramIfiLb1EEEbNS_6TensorES4_S4_lNS_14AccumulateTypeIT0_Lb1EE4typeES8_NS0_13TensorArgTypeES9_S9_EUllE_EEvNS0_6detail10TensorInfoIT_T1_EESF_NSC_IKS6_SE_EElS8_S8_SE_T6_.num_vgpr, 28
	.set _ZN2at4cuda17kernelHistogram1DIfilLi1ELi2ELin1ELNS0_23CUDAHistogramMemoryTypeE0EZNS0_21CUDA_tensor_histogramIfiLb1EEEbNS_6TensorES4_S4_lNS_14AccumulateTypeIT0_Lb1EE4typeES8_NS0_13TensorArgTypeES9_S9_EUllE_EEvNS0_6detail10TensorInfoIT_T1_EESF_NSC_IKS6_SE_EElS8_S8_SE_T6_.num_agpr, 0
	.set _ZN2at4cuda17kernelHistogram1DIfilLi1ELi2ELin1ELNS0_23CUDAHistogramMemoryTypeE0EZNS0_21CUDA_tensor_histogramIfiLb1EEEbNS_6TensorES4_S4_lNS_14AccumulateTypeIT0_Lb1EE4typeES8_NS0_13TensorArgTypeES9_S9_EUllE_EEvNS0_6detail10TensorInfoIT_T1_EESF_NSC_IKS6_SE_EElS8_S8_SE_T6_.numbered_sgpr, 57
	.set _ZN2at4cuda17kernelHistogram1DIfilLi1ELi2ELin1ELNS0_23CUDAHistogramMemoryTypeE0EZNS0_21CUDA_tensor_histogramIfiLb1EEEbNS_6TensorES4_S4_lNS_14AccumulateTypeIT0_Lb1EE4typeES8_NS0_13TensorArgTypeES9_S9_EUllE_EEvNS0_6detail10TensorInfoIT_T1_EESF_NSC_IKS6_SE_EElS8_S8_SE_T6_.num_named_barrier, 0
	.set _ZN2at4cuda17kernelHistogram1DIfilLi1ELi2ELin1ELNS0_23CUDAHistogramMemoryTypeE0EZNS0_21CUDA_tensor_histogramIfiLb1EEEbNS_6TensorES4_S4_lNS_14AccumulateTypeIT0_Lb1EE4typeES8_NS0_13TensorArgTypeES9_S9_EUllE_EEvNS0_6detail10TensorInfoIT_T1_EESF_NSC_IKS6_SE_EElS8_S8_SE_T6_.private_seg_size, 0
	.set _ZN2at4cuda17kernelHistogram1DIfilLi1ELi2ELin1ELNS0_23CUDAHistogramMemoryTypeE0EZNS0_21CUDA_tensor_histogramIfiLb1EEEbNS_6TensorES4_S4_lNS_14AccumulateTypeIT0_Lb1EE4typeES8_NS0_13TensorArgTypeES9_S9_EUllE_EEvNS0_6detail10TensorInfoIT_T1_EESF_NSC_IKS6_SE_EElS8_S8_SE_T6_.uses_vcc, 1
	.set _ZN2at4cuda17kernelHistogram1DIfilLi1ELi2ELin1ELNS0_23CUDAHistogramMemoryTypeE0EZNS0_21CUDA_tensor_histogramIfiLb1EEEbNS_6TensorES4_S4_lNS_14AccumulateTypeIT0_Lb1EE4typeES8_NS0_13TensorArgTypeES9_S9_EUllE_EEvNS0_6detail10TensorInfoIT_T1_EESF_NSC_IKS6_SE_EElS8_S8_SE_T6_.uses_flat_scratch, 0
	.set _ZN2at4cuda17kernelHistogram1DIfilLi1ELi2ELin1ELNS0_23CUDAHistogramMemoryTypeE0EZNS0_21CUDA_tensor_histogramIfiLb1EEEbNS_6TensorES4_S4_lNS_14AccumulateTypeIT0_Lb1EE4typeES8_NS0_13TensorArgTypeES9_S9_EUllE_EEvNS0_6detail10TensorInfoIT_T1_EESF_NSC_IKS6_SE_EElS8_S8_SE_T6_.has_dyn_sized_stack, 0
	.set _ZN2at4cuda17kernelHistogram1DIfilLi1ELi2ELin1ELNS0_23CUDAHistogramMemoryTypeE0EZNS0_21CUDA_tensor_histogramIfiLb1EEEbNS_6TensorES4_S4_lNS_14AccumulateTypeIT0_Lb1EE4typeES8_NS0_13TensorArgTypeES9_S9_EUllE_EEvNS0_6detail10TensorInfoIT_T1_EESF_NSC_IKS6_SE_EElS8_S8_SE_T6_.has_recursion, 0
	.set _ZN2at4cuda17kernelHistogram1DIfilLi1ELi2ELin1ELNS0_23CUDAHistogramMemoryTypeE0EZNS0_21CUDA_tensor_histogramIfiLb1EEEbNS_6TensorES4_S4_lNS_14AccumulateTypeIT0_Lb1EE4typeES8_NS0_13TensorArgTypeES9_S9_EUllE_EEvNS0_6detail10TensorInfoIT_T1_EESF_NSC_IKS6_SE_EElS8_S8_SE_T6_.has_indirect_call, 0
	.section	.AMDGPU.csdata,"",@progbits
; Kernel info:
; codeLenInByte = 2536
; TotalNumSgprs: 59
; NumVgprs: 28
; ScratchSize: 0
; MemoryBound: 0
; FloatMode: 240
; IeeeMode: 1
; LDSByteSize: 0 bytes/workgroup (compile time only)
; SGPRBlocks: 0
; VGPRBlocks: 1
; NumSGPRsForWavesPerEU: 59
; NumVGPRsForWavesPerEU: 28
; NamedBarCnt: 0
; Occupancy: 16
; WaveLimiterHint : 1
; COMPUTE_PGM_RSRC2:SCRATCH_EN: 0
; COMPUTE_PGM_RSRC2:USER_SGPR: 2
; COMPUTE_PGM_RSRC2:TRAP_HANDLER: 0
; COMPUTE_PGM_RSRC2:TGID_X_EN: 1
; COMPUTE_PGM_RSRC2:TGID_Y_EN: 0
; COMPUTE_PGM_RSRC2:TGID_Z_EN: 0
; COMPUTE_PGM_RSRC2:TIDIG_COMP_CNT: 0
	.section	.text._ZN2at4cuda17kernelHistogram1DIfilLi1ELi2ELin1ELNS0_23CUDAHistogramMemoryTypeE1EZNS0_21CUDA_tensor_histogramIfiLb1EEEbNS_6TensorES4_S4_lNS_14AccumulateTypeIT0_Lb1EE4typeES8_NS0_13TensorArgTypeES9_S9_EUllE_EEvNS0_6detail10TensorInfoIT_T1_EESF_NSC_IKS6_SE_EElS8_S8_SE_T6_,"axG",@progbits,_ZN2at4cuda17kernelHistogram1DIfilLi1ELi2ELin1ELNS0_23CUDAHistogramMemoryTypeE1EZNS0_21CUDA_tensor_histogramIfiLb1EEEbNS_6TensorES4_S4_lNS_14AccumulateTypeIT0_Lb1EE4typeES8_NS0_13TensorArgTypeES9_S9_EUllE_EEvNS0_6detail10TensorInfoIT_T1_EESF_NSC_IKS6_SE_EElS8_S8_SE_T6_,comdat
	.protected	_ZN2at4cuda17kernelHistogram1DIfilLi1ELi2ELin1ELNS0_23CUDAHistogramMemoryTypeE1EZNS0_21CUDA_tensor_histogramIfiLb1EEEbNS_6TensorES4_S4_lNS_14AccumulateTypeIT0_Lb1EE4typeES8_NS0_13TensorArgTypeES9_S9_EUllE_EEvNS0_6detail10TensorInfoIT_T1_EESF_NSC_IKS6_SE_EElS8_S8_SE_T6_ ; -- Begin function _ZN2at4cuda17kernelHistogram1DIfilLi1ELi2ELin1ELNS0_23CUDAHistogramMemoryTypeE1EZNS0_21CUDA_tensor_histogramIfiLb1EEEbNS_6TensorES4_S4_lNS_14AccumulateTypeIT0_Lb1EE4typeES8_NS0_13TensorArgTypeES9_S9_EUllE_EEvNS0_6detail10TensorInfoIT_T1_EESF_NSC_IKS6_SE_EElS8_S8_SE_T6_
	.globl	_ZN2at4cuda17kernelHistogram1DIfilLi1ELi2ELin1ELNS0_23CUDAHistogramMemoryTypeE1EZNS0_21CUDA_tensor_histogramIfiLb1EEEbNS_6TensorES4_S4_lNS_14AccumulateTypeIT0_Lb1EE4typeES8_NS0_13TensorArgTypeES9_S9_EUllE_EEvNS0_6detail10TensorInfoIT_T1_EESF_NSC_IKS6_SE_EElS8_S8_SE_T6_
	.p2align	8
	.type	_ZN2at4cuda17kernelHistogram1DIfilLi1ELi2ELin1ELNS0_23CUDAHistogramMemoryTypeE1EZNS0_21CUDA_tensor_histogramIfiLb1EEEbNS_6TensorES4_S4_lNS_14AccumulateTypeIT0_Lb1EE4typeES8_NS0_13TensorArgTypeES9_S9_EUllE_EEvNS0_6detail10TensorInfoIT_T1_EESF_NSC_IKS6_SE_EElS8_S8_SE_T6_,@function
_ZN2at4cuda17kernelHistogram1DIfilLi1ELi2ELin1ELNS0_23CUDAHistogramMemoryTypeE1EZNS0_21CUDA_tensor_histogramIfiLb1EEEbNS_6TensorES4_S4_lNS_14AccumulateTypeIT0_Lb1EE4typeES8_NS0_13TensorArgTypeES9_S9_EUllE_EEvNS0_6detail10TensorInfoIT_T1_EESF_NSC_IKS6_SE_EElS8_S8_SE_T6_: ; @_ZN2at4cuda17kernelHistogram1DIfilLi1ELi2ELin1ELNS0_23CUDAHistogramMemoryTypeE1EZNS0_21CUDA_tensor_histogramIfiLb1EEEbNS_6TensorES4_S4_lNS_14AccumulateTypeIT0_Lb1EE4typeES8_NS0_13TensorArgTypeES9_S9_EUllE_EEvNS0_6detail10TensorInfoIT_T1_EESF_NSC_IKS6_SE_EElS8_S8_SE_T6_
; %bb.0:
	s_load_b32 s2, s[0:1], 0x6ac
	s_bfe_u32 s12, ttmp6, 0x4000c
	s_load_b256 s[4:11], s[0:1], 0x4e0
	s_add_co_i32 s12, s12, 1
	s_and_b32 s3, ttmp6, 15
	s_mul_i32 s12, ttmp9, s12
	s_getreg_b32 s13, hwreg(HW_REG_IB_STS2, 6, 4)
	s_add_co_i32 s3, s3, s12
	v_mov_b32_e32 v2, 0
	s_mov_b32 s12, exec_lo
	s_delay_alu instid0(VALU_DEP_1) | instskip(SKIP_4) | instid1(SALU_CYCLE_1)
	v_mov_b32_e32 v1, v2
	s_wait_kmcnt 0x0
	s_and_b32 s2, s2, 0xffff
	s_cmp_eq_u32 s13, 0
	s_cselect_b32 s3, ttmp9, s3
	v_mad_u32 v0, s3, s2, v0
	s_mov_b32 s3, 0
	s_delay_alu instid0(VALU_DEP_1)
	v_cmpx_gt_i64_e64 s[10:11], v[0:1]
	s_cbranch_execz .LBB25_16
; %bb.1:
	s_clause 0x1
	s_load_b64 s[12:13], s[0:1], 0x5d0
	s_load_b32 s33, s[0:1], 0x4d8
	s_add_nc_u64 s[24:25], s[0:1], 0x6a0
	s_load_b32 s26, s[24:25], 0x0
	s_clause 0x4
	s_load_b64 s[14:15], s[0:1], 0x500
	s_load_b64 s[16:17], s[0:1], 0x0
	;; [unrolled: 1-line block ×5, first 2 shown]
	s_add_nc_u64 s[30:31], s[0:1], 0x340
	s_wait_xcnt 0x0
	s_sub_nc_u64 s[24:25], s[8:9], s[6:7]
	s_mov_b32 s27, s3
	s_mov_b64 s[28:29], 0xffffffff
	s_mov_b32 s44, 0
	s_wait_kmcnt 0x0
	s_mul_i32 s26, s26, s2
	s_cmp_gt_i32 s33, 1
	s_cselect_b32 s1, -1, 0
	s_add_co_i32 s2, s33, -1
	s_add_co_i32 s33, s33, 1
	s_lshl_b64 s[34:35], s[2:3], 3
	s_delay_alu instid0(SALU_CYCLE_1)
	s_add_nc_u64 s[34:35], s[30:31], s[34:35]
	s_ashr_i32 s30, s25, 31
	s_add_nc_u64 s[34:35], s[34:35], 8
	s_branch .LBB25_4
.LBB25_2:                               ;   in Loop: Header=BB25_4 Depth=1
	s_or_b32 exec_lo, exec_lo, s0
	v_mul_u64_e32 v[4:5], s[12:13], v[0:1]
	s_delay_alu instid0(VALU_DEP_2) | instskip(NEXT) | instid1(VALU_DEP_2)
	v_ashrrev_i32_e32 v7, 31, v6
	v_lshl_add_u64 v[4:5], v[4:5], 2, s[14:15]
	global_load_b32 v3, v[4:5], off
	s_wait_xcnt 0x0
	v_mov_b32_e32 v5, s3
	v_cmp_eq_u64_e32 vcc_lo, s[4:5], v[6:7]
	v_cndmask_b32_e64 v4, 0, 1, vcc_lo
	s_delay_alu instid0(VALU_DEP_1) | instskip(NEXT) | instid1(VALU_DEP_1)
	v_sub_nc_u64_e32 v[4:5], v[6:7], v[4:5]
	v_mul_u64_e32 v[4:5], s[18:19], v[4:5]
	s_delay_alu instid0(VALU_DEP_1)
	v_lshl_add_u64 v[4:5], v[4:5], 2, s[16:17]
	s_wait_loadcnt 0x0
	global_atomic_add_f32 v[4:5], v3, off scope:SCOPE_DEV
.LBB25_3:                               ;   in Loop: Header=BB25_4 Depth=1
	s_wait_xcnt 0x0
	s_or_b32 exec_lo, exec_lo, s38
	v_add_nc_u64_e32 v[0:1], s[26:27], v[0:1]
	s_delay_alu instid0(VALU_DEP_1) | instskip(SKIP_1) | instid1(SALU_CYCLE_1)
	v_cmp_le_i64_e32 vcc_lo, s[10:11], v[0:1]
	s_or_b32 s44, vcc_lo, s44
	s_and_not1_b32 exec_lo, exec_lo, s44
	s_cbranch_execz .LBB25_16
.LBB25_4:                               ; =>This Loop Header: Depth=1
                                        ;     Child Loop BB25_5 Depth 2
	v_mov_b64_e32 v[4:5], 0
	v_mov_b64_e32 v[6:7], v[0:1]
	v_mov_b64_e32 v[8:9], v[0:1]
	s_and_not1_b32 vcc_lo, exec_lo, s1
	s_mov_b64 s[36:37], s[34:35]
	s_mov_b32 s31, s33
	s_cbranch_vccnz .LBB25_11
.LBB25_5:                               ;   Parent Loop BB25_4 Depth=1
                                        ; =>  This Inner Loop Header: Depth=2
	s_load_b64 s[38:39], s[36:37], 0x0
                                        ; implicit-def: $vgpr8_vgpr9
	s_mov_b32 s0, exec_lo
	s_wait_kmcnt 0x0
	s_delay_alu instid0(VALU_DEP_1) | instskip(NEXT) | instid1(VALU_DEP_1)
	v_or_b32_e32 v3, s39, v7
	v_cmpx_ne_u64_e32 0, v[2:3]
	s_xor_b32 s45, exec_lo, s0
	s_cbranch_execz .LBB25_7
; %bb.6:                                ;   in Loop: Header=BB25_5 Depth=2
	s_ashr_i32 s40, s39, 31
	v_dual_mov_b32 v13, v2 :: v_dual_ashrrev_i32 v8, 31, v7
	s_mov_b32 s41, s40
	s_delay_alu instid0(SALU_CYCLE_1) | instskip(NEXT) | instid1(VALU_DEP_1)
	s_add_nc_u64 s[42:43], s[38:39], s[40:41]
	v_mov_b32_e32 v9, v8
	s_xor_b64 s[42:43], s[42:43], s[40:41]
	s_delay_alu instid0(SALU_CYCLE_1)
	s_cvt_f32_u32 s0, s42
	s_cvt_f32_u32 s2, s43
	s_sub_nc_u64 s[48:49], 0, s[42:43]
	v_add_nc_u64_e32 v[10:11], v[6:7], v[8:9]
	v_mov_b32_e32 v17, v2
	s_fmamk_f32 s0, s2, 0x4f800000, s0
	s_delay_alu instid0(SALU_CYCLE_3) | instskip(NEXT) | instid1(VALU_DEP_2)
	v_s_rcp_f32 s0, s0
	v_xor_b32_e32 v12, v10, v8
	s_delay_alu instid0(VALU_DEP_3) | instskip(SKIP_1) | instid1(TRANS32_DEP_1)
	v_dual_mov_b32 v21, v2 :: v_dual_bitop2_b32 v16, v11, v8 bitop3:0x14
	v_xor_b32_e32 v8, s40, v8
	s_mul_f32 s0, s0, 0x5f7ffffc
	s_delay_alu instid0(SALU_CYCLE_3) | instskip(NEXT) | instid1(SALU_CYCLE_3)
	s_mul_f32 s2, s0, 0x2f800000
	s_trunc_f32 s2, s2
	s_delay_alu instid0(SALU_CYCLE_3) | instskip(SKIP_1) | instid1(SALU_CYCLE_2)
	s_fmamk_f32 s0, s2, 0xcf800000, s0
	s_cvt_u32_f32 s47, s2
	s_cvt_u32_f32 s46, s0
	s_delay_alu instid0(SALU_CYCLE_3) | instskip(NEXT) | instid1(SALU_CYCLE_1)
	s_mul_u64 s[50:51], s[48:49], s[46:47]
	s_mul_hi_u32 s53, s46, s51
	s_mul_i32 s52, s46, s51
	s_mul_hi_u32 s2, s46, s50
	s_mul_i32 s41, s47, s50
	s_add_nc_u64 s[52:53], s[2:3], s[52:53]
	s_mul_hi_u32 s0, s47, s50
	s_mul_hi_u32 s54, s47, s51
	s_add_co_u32 s2, s52, s41
	s_add_co_ci_u32 s2, s53, s0
	s_mul_i32 s50, s47, s51
	s_add_co_ci_u32 s51, s54, 0
	s_delay_alu instid0(SALU_CYCLE_1) | instskip(NEXT) | instid1(SALU_CYCLE_1)
	s_add_nc_u64 s[50:51], s[2:3], s[50:51]
	s_add_co_u32 s46, s46, s50
	s_cselect_b32 s0, -1, 0
	s_delay_alu instid0(SALU_CYCLE_1) | instskip(SKIP_1) | instid1(SALU_CYCLE_1)
	s_cmp_lg_u32 s0, 0
	s_add_co_ci_u32 s47, s47, s51
	s_mul_u64 s[48:49], s[48:49], s[46:47]
	s_delay_alu instid0(SALU_CYCLE_1)
	s_mul_hi_u32 s51, s46, s49
	s_mul_i32 s50, s46, s49
	s_mul_hi_u32 s2, s46, s48
	s_mul_i32 s41, s47, s48
	s_add_nc_u64 s[50:51], s[2:3], s[50:51]
	s_mul_hi_u32 s0, s47, s48
	s_mul_hi_u32 s52, s47, s49
	s_add_co_u32 s2, s50, s41
	s_add_co_ci_u32 s2, s51, s0
	s_mul_i32 s48, s47, s49
	s_add_co_ci_u32 s49, s52, 0
	s_delay_alu instid0(SALU_CYCLE_1) | instskip(NEXT) | instid1(SALU_CYCLE_1)
	s_add_nc_u64 s[48:49], s[2:3], s[48:49]
	s_add_co_u32 s0, s46, s48
	s_cselect_b32 s2, -1, 0
	v_mul_hi_u32 v20, v12, s0
	s_cmp_lg_u32 s2, 0
	s_add_co_ci_u32 s2, s47, s49
	s_and_b64 s[46:47], s[0:1], s[28:29]
	v_mul_u64_e32 v[14:15], s[2:3], v[12:13]
	v_mul_u64_e32 v[10:11], s[46:47], v[16:17]
	;; [unrolled: 1-line block ×3, first 2 shown]
	s_delay_alu instid0(VALU_DEP_3) | instskip(NEXT) | instid1(VALU_DEP_1)
	v_add_nc_u64_e32 v[14:15], v[20:21], v[14:15]
	v_add_co_u32 v3, vcc_lo, v14, v10
	s_delay_alu instid0(VALU_DEP_2) | instskip(NEXT) | instid1(VALU_DEP_4)
	v_add_co_ci_u32_e32 v20, vcc_lo, v15, v11, vcc_lo
	v_add_co_ci_u32_e32 v19, vcc_lo, 0, v19, vcc_lo
	s_delay_alu instid0(VALU_DEP_1) | instskip(NEXT) | instid1(VALU_DEP_1)
	v_add_nc_u64_e32 v[10:11], v[20:21], v[18:19]
	v_mul_u64_e32 v[14:15], s[42:43], v[10:11]
	s_delay_alu instid0(VALU_DEP_1) | instskip(NEXT) | instid1(VALU_DEP_2)
	v_sub_nc_u32_e32 v3, v16, v15
	v_sub_co_u32 v9, vcc_lo, v12, v14
	s_delay_alu instid0(VALU_DEP_1) | instskip(NEXT) | instid1(VALU_DEP_3)
	v_sub_co_ci_u32_e64 v16, null, v16, v15, vcc_lo
	v_subrev_co_ci_u32_e64 v3, null, s43, v3, vcc_lo
	s_delay_alu instid0(VALU_DEP_3) | instskip(SKIP_1) | instid1(VALU_DEP_3)
	v_sub_co_u32 v12, s0, v9, s42
	v_add_nc_u64_e32 v[14:15], 1, v[10:11]
	v_subrev_co_ci_u32_e64 v3, null, 0, v3, s0
	s_delay_alu instid0(VALU_DEP_3) | instskip(SKIP_1) | instid1(VALU_DEP_3)
	v_cmp_le_u32_e32 vcc_lo, s42, v12
	v_cndmask_b32_e64 v12, 0, -1, vcc_lo
	v_cmp_le_u32_e32 vcc_lo, s43, v3
	v_cndmask_b32_e64 v13, 0, -1, vcc_lo
	;; [unrolled: 2-line block ×4, first 2 shown]
	v_cmp_eq_u32_e32 vcc_lo, s43, v3
	v_cndmask_b32_e32 v3, v13, v12, vcc_lo
	v_cmp_eq_u32_e32 vcc_lo, s43, v16
	v_add_nc_u64_e32 v[12:13], 2, v[10:11]
	v_cndmask_b32_e32 v9, v17, v9, vcc_lo
	s_delay_alu instid0(VALU_DEP_4) | instskip(NEXT) | instid1(VALU_DEP_2)
	v_cmp_ne_u32_e32 vcc_lo, 0, v3
	v_cmp_ne_u32_e64 s0, 0, v9
	s_delay_alu instid0(VALU_DEP_4) | instskip(NEXT) | instid1(VALU_DEP_1)
	v_dual_cndmask_b32 v3, v15, v13, vcc_lo :: v_dual_cndmask_b32 v9, v14, v12, vcc_lo
	v_dual_cndmask_b32 v10, v10, v9, s0 :: v_dual_mov_b32 v9, v8
	s_delay_alu instid0(VALU_DEP_1) | instskip(NEXT) | instid1(VALU_DEP_1)
	v_dual_cndmask_b32 v3, v11, v3, s0 :: v_dual_bitop2_b32 v10, v10, v8 bitop3:0x14
	v_xor_b32_e32 v11, v3, v8
	s_delay_alu instid0(VALU_DEP_1)
	v_sub_nc_u64_e32 v[8:9], v[10:11], v[8:9]
.LBB25_7:                               ;   in Loop: Header=BB25_5 Depth=2
	s_and_not1_saveexec_b32 s0, s45
	s_cbranch_execz .LBB25_9
; %bb.8:                                ;   in Loop: Header=BB25_5 Depth=2
	v_cvt_f32_u32_e32 v3, s38
	s_sub_co_i32 s2, 0, s38
	s_delay_alu instid0(VALU_DEP_1) | instskip(SKIP_1) | instid1(TRANS32_DEP_1)
	v_rcp_iflag_f32_e32 v3, v3
	v_nop
	v_mul_f32_e32 v3, 0x4f7ffffe, v3
	s_delay_alu instid0(VALU_DEP_1) | instskip(NEXT) | instid1(VALU_DEP_1)
	v_cvt_u32_f32_e32 v3, v3
	v_mul_lo_u32 v8, s2, v3
	s_delay_alu instid0(VALU_DEP_1) | instskip(NEXT) | instid1(VALU_DEP_1)
	v_mul_hi_u32 v8, v3, v8
	v_add_nc_u32_e32 v3, v3, v8
	s_delay_alu instid0(VALU_DEP_1) | instskip(NEXT) | instid1(VALU_DEP_1)
	v_mul_hi_u32 v3, v6, v3
	v_mul_lo_u32 v8, v3, s38
	s_delay_alu instid0(VALU_DEP_1) | instskip(NEXT) | instid1(VALU_DEP_1)
	v_dual_add_nc_u32 v9, 1, v3 :: v_dual_sub_nc_u32 v8, v6, v8
	v_subrev_nc_u32_e32 v10, s38, v8
	v_cmp_le_u32_e32 vcc_lo, s38, v8
	s_delay_alu instid0(VALU_DEP_2) | instskip(NEXT) | instid1(VALU_DEP_1)
	v_dual_cndmask_b32 v8, v8, v10 :: v_dual_cndmask_b32 v3, v3, v9
	v_cmp_le_u32_e32 vcc_lo, s38, v8
	s_delay_alu instid0(VALU_DEP_2) | instskip(NEXT) | instid1(VALU_DEP_1)
	v_add_nc_u32_e32 v9, 1, v3
	v_dual_cndmask_b32 v8, v3, v9 :: v_dual_mov_b32 v9, v2
.LBB25_9:                               ;   in Loop: Header=BB25_5 Depth=2
	s_or_b32 exec_lo, exec_lo, s0
	s_delay_alu instid0(VALU_DEP_1)
	v_mul_u64_e32 v[10:11], s[38:39], v[8:9]
	s_load_b64 s[38:39], s[36:37], 0xc8
	s_add_co_i32 s31, s31, -1
	s_wait_xcnt 0x0
	s_add_nc_u64 s[36:37], s[36:37], -8
	s_cmp_gt_u32 s31, 2
	s_delay_alu instid0(VALU_DEP_1) | instskip(SKIP_1) | instid1(VALU_DEP_1)
	v_sub_nc_u64_e32 v[6:7], v[6:7], v[10:11]
	s_wait_kmcnt 0x0
	v_mad_nc_u64_u32 v[4:5], s38, v6, v[4:5]
	s_delay_alu instid0(VALU_DEP_1) | instskip(NEXT) | instid1(VALU_DEP_1)
	v_mad_u32 v3, s39, v6, v5
	v_mad_u32 v5, s38, v7, v3
	s_cbranch_scc0 .LBB25_11
; %bb.10:                               ;   in Loop: Header=BB25_5 Depth=2
	v_mov_b64_e32 v[6:7], v[8:9]
	s_branch .LBB25_5
.LBB25_11:                              ;   in Loop: Header=BB25_4 Depth=1
	s_delay_alu instid0(VALU_DEP_1) | instskip(NEXT) | instid1(VALU_DEP_1)
	v_mul_u64_e32 v[6:7], s[20:21], v[8:9]
	v_lshl_add_u64 v[6:7], v[6:7], 2, s[22:23]
	s_delay_alu instid0(VALU_DEP_1) | instskip(SKIP_4) | instid1(VALU_DEP_1)
	v_lshl_add_u64 v[4:5], v[4:5], 2, v[6:7]
	global_load_b32 v4, v[4:5], off
	s_wait_loadcnt 0x0
	s_wait_xcnt 0x0
	v_ashrrev_i32_e32 v5, 31, v4
	v_cmp_le_i64_e32 vcc_lo, s[6:7], v[4:5]
	v_cmp_ge_i64_e64 s0, s[8:9], v[4:5]
	s_and_b32 s0, vcc_lo, s0
	s_delay_alu instid0(SALU_CYCLE_1)
	s_and_saveexec_b32 s38, s0
	s_cbranch_execz .LBB25_3
; %bb.12:                               ;   in Loop: Header=BB25_4 Depth=1
	v_sub_nc_u64_e64 v[4:5], v[4:5], s[6:7]
                                        ; implicit-def: $vgpr6_vgpr7
	s_mov_b32 s0, exec_lo
	s_delay_alu instid0(VALU_DEP_1) | instskip(NEXT) | instid1(VALU_DEP_1)
	v_mul_u64_e32 v[4:5], s[4:5], v[4:5]
	v_or_b32_e32 v3, s25, v5
	s_delay_alu instid0(VALU_DEP_1)
	v_cmpx_ne_u64_e32 0, v[2:3]
	s_xor_b32 s39, exec_lo, s0
	s_cbranch_execz .LBB25_14
; %bb.13:                               ;   in Loop: Header=BB25_4 Depth=1
	s_mov_b32 s31, s30
	v_dual_mov_b32 v9, v2 :: v_dual_ashrrev_i32 v6, 31, v5
	s_add_nc_u64 s[36:37], s[24:25], s[30:31]
	s_delay_alu instid0(SALU_CYCLE_1) | instskip(NEXT) | instid1(VALU_DEP_1)
	s_xor_b64 s[36:37], s[36:37], s[30:31]
	v_mov_b32_e32 v7, v6
	s_cvt_f32_u32 s0, s36
	s_cvt_f32_u32 s2, s37
	s_sub_nc_u64 s[42:43], 0, s[36:37]
	s_delay_alu instid0(VALU_DEP_1) | instskip(NEXT) | instid1(SALU_CYCLE_1)
	v_add_nc_u64_e32 v[4:5], v[4:5], v[6:7]
	s_fmamk_f32 s0, s2, 0x4f800000, s0
	v_mov_b32_e32 v13, v2
	s_delay_alu instid0(SALU_CYCLE_2) | instskip(NEXT) | instid1(VALU_DEP_2)
	v_s_rcp_f32 s0, s0
	v_xor_b32_e32 v8, v4, v6
	s_delay_alu instid0(VALU_DEP_3) | instskip(NEXT) | instid1(TRANS32_DEP_1)
	v_dual_mov_b32 v17, v2 :: v_dual_bitop2_b32 v12, v5, v6 bitop3:0x14
	s_mul_f32 s0, s0, 0x5f7ffffc
	s_delay_alu instid0(SALU_CYCLE_3) | instskip(NEXT) | instid1(SALU_CYCLE_3)
	s_mul_f32 s2, s0, 0x2f800000
	s_trunc_f32 s2, s2
	s_delay_alu instid0(SALU_CYCLE_3) | instskip(SKIP_1) | instid1(SALU_CYCLE_2)
	s_fmamk_f32 s0, s2, 0xcf800000, s0
	s_cvt_u32_f32 s41, s2
	s_cvt_u32_f32 s40, s0
	s_delay_alu instid0(SALU_CYCLE_3) | instskip(NEXT) | instid1(SALU_CYCLE_1)
	s_mul_u64 s[46:47], s[42:43], s[40:41]
	s_mul_hi_u32 s49, s40, s47
	s_mul_i32 s48, s40, s47
	s_mul_hi_u32 s2, s40, s46
	s_mul_i32 s31, s41, s46
	s_add_nc_u64 s[48:49], s[2:3], s[48:49]
	s_mul_hi_u32 s0, s41, s46
	s_mul_hi_u32 s45, s41, s47
	s_add_co_u32 s2, s48, s31
	s_add_co_ci_u32 s2, s49, s0
	s_mul_i32 s46, s41, s47
	s_add_co_ci_u32 s47, s45, 0
	s_delay_alu instid0(SALU_CYCLE_1) | instskip(NEXT) | instid1(SALU_CYCLE_1)
	s_add_nc_u64 s[46:47], s[2:3], s[46:47]
	s_add_co_u32 s40, s40, s46
	s_cselect_b32 s0, -1, 0
	s_delay_alu instid0(SALU_CYCLE_1) | instskip(SKIP_1) | instid1(SALU_CYCLE_1)
	s_cmp_lg_u32 s0, 0
	s_add_co_ci_u32 s41, s41, s47
	s_mul_u64 s[42:43], s[42:43], s[40:41]
	s_delay_alu instid0(SALU_CYCLE_1)
	s_mul_hi_u32 s47, s40, s43
	s_mul_i32 s46, s40, s43
	s_mul_hi_u32 s2, s40, s42
	s_mul_i32 s31, s41, s42
	s_add_nc_u64 s[46:47], s[2:3], s[46:47]
	s_mul_hi_u32 s0, s41, s42
	s_mul_hi_u32 s45, s41, s43
	s_add_co_u32 s2, s46, s31
	s_add_co_ci_u32 s2, s47, s0
	s_mul_i32 s42, s41, s43
	s_add_co_ci_u32 s43, s45, 0
	s_delay_alu instid0(SALU_CYCLE_1) | instskip(NEXT) | instid1(SALU_CYCLE_1)
	s_add_nc_u64 s[42:43], s[2:3], s[42:43]
	s_add_co_u32 s0, s40, s42
	s_cselect_b32 s2, -1, 0
	v_mul_hi_u32 v16, v8, s0
	s_cmp_lg_u32 s2, 0
	s_add_co_ci_u32 s2, s41, s43
	s_and_b64 s[40:41], s[0:1], s[28:29]
	v_mul_u64_e32 v[10:11], s[2:3], v[8:9]
	v_mul_u64_e32 v[4:5], s[40:41], v[12:13]
	;; [unrolled: 1-line block ×3, first 2 shown]
	s_delay_alu instid0(VALU_DEP_3) | instskip(NEXT) | instid1(VALU_DEP_1)
	v_add_nc_u64_e32 v[10:11], v[16:17], v[10:11]
	v_add_co_u32 v3, vcc_lo, v10, v4
	s_delay_alu instid0(VALU_DEP_2) | instskip(NEXT) | instid1(VALU_DEP_4)
	v_add_co_ci_u32_e32 v16, vcc_lo, v11, v5, vcc_lo
	v_add_co_ci_u32_e32 v15, vcc_lo, 0, v15, vcc_lo
	s_delay_alu instid0(VALU_DEP_1) | instskip(NEXT) | instid1(VALU_DEP_1)
	v_add_nc_u64_e32 v[4:5], v[16:17], v[14:15]
	v_mul_u64_e32 v[10:11], s[36:37], v[4:5]
	s_delay_alu instid0(VALU_DEP_1) | instskip(NEXT) | instid1(VALU_DEP_2)
	v_sub_nc_u32_e32 v3, v12, v11
	v_sub_co_u32 v7, vcc_lo, v8, v10
	s_delay_alu instid0(VALU_DEP_1) | instskip(NEXT) | instid1(VALU_DEP_3)
	v_sub_co_ci_u32_e64 v12, null, v12, v11, vcc_lo
	v_subrev_co_ci_u32_e64 v3, null, s37, v3, vcc_lo
	s_delay_alu instid0(VALU_DEP_3) | instskip(SKIP_1) | instid1(VALU_DEP_3)
	v_sub_co_u32 v8, s0, v7, s36
	v_add_nc_u64_e32 v[10:11], 1, v[4:5]
	v_subrev_co_ci_u32_e64 v3, null, 0, v3, s0
	s_delay_alu instid0(VALU_DEP_3) | instskip(SKIP_1) | instid1(VALU_DEP_3)
	v_cmp_le_u32_e32 vcc_lo, s36, v8
	v_cndmask_b32_e64 v8, 0, -1, vcc_lo
	v_cmp_le_u32_e32 vcc_lo, s37, v3
	v_cndmask_b32_e64 v9, 0, -1, vcc_lo
	;; [unrolled: 2-line block ×4, first 2 shown]
	v_cmp_eq_u32_e32 vcc_lo, s37, v3
	v_cndmask_b32_e32 v3, v9, v8, vcc_lo
	v_cmp_eq_u32_e32 vcc_lo, s37, v12
	v_add_nc_u64_e32 v[8:9], 2, v[4:5]
	v_cndmask_b32_e32 v7, v13, v7, vcc_lo
	s_delay_alu instid0(VALU_DEP_4) | instskip(NEXT) | instid1(VALU_DEP_3)
	v_cmp_ne_u32_e32 vcc_lo, 0, v3
	v_cndmask_b32_e32 v3, v11, v9, vcc_lo
	s_delay_alu instid0(VALU_DEP_3) | instskip(SKIP_1) | instid1(VALU_DEP_2)
	v_cmp_ne_u32_e64 s0, 0, v7
	v_dual_cndmask_b32 v7, v10, v8, vcc_lo :: v_dual_bitop2_b32 v6, s30, v6 bitop3:0x14
	v_cndmask_b32_e64 v3, v5, v3, s0
	s_delay_alu instid0(VALU_DEP_2) | instskip(NEXT) | instid1(VALU_DEP_2)
	v_dual_cndmask_b32 v4, v4, v7, s0 :: v_dual_mov_b32 v7, v6
	v_xor_b32_e32 v5, v3, v6
	s_delay_alu instid0(VALU_DEP_2) | instskip(NEXT) | instid1(VALU_DEP_1)
	v_xor_b32_e32 v4, v4, v6
	v_sub_nc_u64_e32 v[6:7], v[4:5], v[6:7]
                                        ; implicit-def: $vgpr4_vgpr5
.LBB25_14:                              ;   in Loop: Header=BB25_4 Depth=1
	s_and_not1_saveexec_b32 s0, s39
	s_cbranch_execz .LBB25_2
; %bb.15:                               ;   in Loop: Header=BB25_4 Depth=1
	v_cvt_f32_u32_e32 v3, s24
	s_sub_co_i32 s2, 0, s24
	s_delay_alu instid0(VALU_DEP_1) | instskip(SKIP_1) | instid1(TRANS32_DEP_1)
	v_rcp_iflag_f32_e32 v3, v3
	v_nop
	v_mul_f32_e32 v3, 0x4f7ffffe, v3
	s_delay_alu instid0(VALU_DEP_1) | instskip(NEXT) | instid1(VALU_DEP_1)
	v_cvt_u32_f32_e32 v3, v3
	v_mul_lo_u32 v5, s2, v3
	s_delay_alu instid0(VALU_DEP_1) | instskip(NEXT) | instid1(VALU_DEP_1)
	v_mul_hi_u32 v5, v3, v5
	v_add_nc_u32_e32 v3, v3, v5
	s_delay_alu instid0(VALU_DEP_1) | instskip(NEXT) | instid1(VALU_DEP_1)
	v_mul_hi_u32 v3, v4, v3
	v_mul_lo_u32 v5, v3, s24
	s_delay_alu instid0(VALU_DEP_1) | instskip(NEXT) | instid1(VALU_DEP_1)
	v_dual_sub_nc_u32 v4, v4, v5 :: v_dual_add_nc_u32 v5, 1, v3
	v_subrev_nc_u32_e32 v6, s24, v4
	v_cmp_le_u32_e32 vcc_lo, s24, v4
	s_delay_alu instid0(VALU_DEP_2) | instskip(NEXT) | instid1(VALU_DEP_1)
	v_dual_cndmask_b32 v4, v4, v6 :: v_dual_cndmask_b32 v3, v3, v5
	v_cmp_le_u32_e32 vcc_lo, s24, v4
	s_delay_alu instid0(VALU_DEP_2) | instskip(NEXT) | instid1(VALU_DEP_1)
	v_add_nc_u32_e32 v5, 1, v3
	v_cndmask_b32_e32 v6, v3, v5, vcc_lo
	s_branch .LBB25_2
.LBB25_16:
	s_endpgm
	.section	.rodata,"a",@progbits
	.p2align	6, 0x0
	.amdhsa_kernel _ZN2at4cuda17kernelHistogram1DIfilLi1ELi2ELin1ELNS0_23CUDAHistogramMemoryTypeE1EZNS0_21CUDA_tensor_histogramIfiLb1EEEbNS_6TensorES4_S4_lNS_14AccumulateTypeIT0_Lb1EE4typeES8_NS0_13TensorArgTypeES9_S9_EUllE_EEvNS0_6detail10TensorInfoIT_T1_EESF_NSC_IKS6_SE_EElS8_S8_SE_T6_
		.amdhsa_group_segment_fixed_size 0
		.amdhsa_private_segment_fixed_size 0
		.amdhsa_kernarg_size 1952
		.amdhsa_user_sgpr_count 2
		.amdhsa_user_sgpr_dispatch_ptr 0
		.amdhsa_user_sgpr_queue_ptr 0
		.amdhsa_user_sgpr_kernarg_segment_ptr 1
		.amdhsa_user_sgpr_dispatch_id 0
		.amdhsa_user_sgpr_kernarg_preload_length 0
		.amdhsa_user_sgpr_kernarg_preload_offset 0
		.amdhsa_user_sgpr_private_segment_size 0
		.amdhsa_wavefront_size32 1
		.amdhsa_uses_dynamic_stack 0
		.amdhsa_enable_private_segment 0
		.amdhsa_system_sgpr_workgroup_id_x 1
		.amdhsa_system_sgpr_workgroup_id_y 0
		.amdhsa_system_sgpr_workgroup_id_z 0
		.amdhsa_system_sgpr_workgroup_info 0
		.amdhsa_system_vgpr_workitem_id 0
		.amdhsa_next_free_vgpr 22
		.amdhsa_next_free_sgpr 55
		.amdhsa_named_barrier_count 0
		.amdhsa_reserve_vcc 1
		.amdhsa_float_round_mode_32 0
		.amdhsa_float_round_mode_16_64 0
		.amdhsa_float_denorm_mode_32 3
		.amdhsa_float_denorm_mode_16_64 3
		.amdhsa_fp16_overflow 0
		.amdhsa_memory_ordered 1
		.amdhsa_forward_progress 1
		.amdhsa_inst_pref_size 17
		.amdhsa_round_robin_scheduling 0
		.amdhsa_exception_fp_ieee_invalid_op 0
		.amdhsa_exception_fp_denorm_src 0
		.amdhsa_exception_fp_ieee_div_zero 0
		.amdhsa_exception_fp_ieee_overflow 0
		.amdhsa_exception_fp_ieee_underflow 0
		.amdhsa_exception_fp_ieee_inexact 0
		.amdhsa_exception_int_div_zero 0
	.end_amdhsa_kernel
	.section	.text._ZN2at4cuda17kernelHistogram1DIfilLi1ELi2ELin1ELNS0_23CUDAHistogramMemoryTypeE1EZNS0_21CUDA_tensor_histogramIfiLb1EEEbNS_6TensorES4_S4_lNS_14AccumulateTypeIT0_Lb1EE4typeES8_NS0_13TensorArgTypeES9_S9_EUllE_EEvNS0_6detail10TensorInfoIT_T1_EESF_NSC_IKS6_SE_EElS8_S8_SE_T6_,"axG",@progbits,_ZN2at4cuda17kernelHistogram1DIfilLi1ELi2ELin1ELNS0_23CUDAHistogramMemoryTypeE1EZNS0_21CUDA_tensor_histogramIfiLb1EEEbNS_6TensorES4_S4_lNS_14AccumulateTypeIT0_Lb1EE4typeES8_NS0_13TensorArgTypeES9_S9_EUllE_EEvNS0_6detail10TensorInfoIT_T1_EESF_NSC_IKS6_SE_EElS8_S8_SE_T6_,comdat
.Lfunc_end25:
	.size	_ZN2at4cuda17kernelHistogram1DIfilLi1ELi2ELin1ELNS0_23CUDAHistogramMemoryTypeE1EZNS0_21CUDA_tensor_histogramIfiLb1EEEbNS_6TensorES4_S4_lNS_14AccumulateTypeIT0_Lb1EE4typeES8_NS0_13TensorArgTypeES9_S9_EUllE_EEvNS0_6detail10TensorInfoIT_T1_EESF_NSC_IKS6_SE_EElS8_S8_SE_T6_, .Lfunc_end25-_ZN2at4cuda17kernelHistogram1DIfilLi1ELi2ELin1ELNS0_23CUDAHistogramMemoryTypeE1EZNS0_21CUDA_tensor_histogramIfiLb1EEEbNS_6TensorES4_S4_lNS_14AccumulateTypeIT0_Lb1EE4typeES8_NS0_13TensorArgTypeES9_S9_EUllE_EEvNS0_6detail10TensorInfoIT_T1_EESF_NSC_IKS6_SE_EElS8_S8_SE_T6_
                                        ; -- End function
	.set _ZN2at4cuda17kernelHistogram1DIfilLi1ELi2ELin1ELNS0_23CUDAHistogramMemoryTypeE1EZNS0_21CUDA_tensor_histogramIfiLb1EEEbNS_6TensorES4_S4_lNS_14AccumulateTypeIT0_Lb1EE4typeES8_NS0_13TensorArgTypeES9_S9_EUllE_EEvNS0_6detail10TensorInfoIT_T1_EESF_NSC_IKS6_SE_EElS8_S8_SE_T6_.num_vgpr, 22
	.set _ZN2at4cuda17kernelHistogram1DIfilLi1ELi2ELin1ELNS0_23CUDAHistogramMemoryTypeE1EZNS0_21CUDA_tensor_histogramIfiLb1EEEbNS_6TensorES4_S4_lNS_14AccumulateTypeIT0_Lb1EE4typeES8_NS0_13TensorArgTypeES9_S9_EUllE_EEvNS0_6detail10TensorInfoIT_T1_EESF_NSC_IKS6_SE_EElS8_S8_SE_T6_.num_agpr, 0
	.set _ZN2at4cuda17kernelHistogram1DIfilLi1ELi2ELin1ELNS0_23CUDAHistogramMemoryTypeE1EZNS0_21CUDA_tensor_histogramIfiLb1EEEbNS_6TensorES4_S4_lNS_14AccumulateTypeIT0_Lb1EE4typeES8_NS0_13TensorArgTypeES9_S9_EUllE_EEvNS0_6detail10TensorInfoIT_T1_EESF_NSC_IKS6_SE_EElS8_S8_SE_T6_.numbered_sgpr, 55
	.set _ZN2at4cuda17kernelHistogram1DIfilLi1ELi2ELin1ELNS0_23CUDAHistogramMemoryTypeE1EZNS0_21CUDA_tensor_histogramIfiLb1EEEbNS_6TensorES4_S4_lNS_14AccumulateTypeIT0_Lb1EE4typeES8_NS0_13TensorArgTypeES9_S9_EUllE_EEvNS0_6detail10TensorInfoIT_T1_EESF_NSC_IKS6_SE_EElS8_S8_SE_T6_.num_named_barrier, 0
	.set _ZN2at4cuda17kernelHistogram1DIfilLi1ELi2ELin1ELNS0_23CUDAHistogramMemoryTypeE1EZNS0_21CUDA_tensor_histogramIfiLb1EEEbNS_6TensorES4_S4_lNS_14AccumulateTypeIT0_Lb1EE4typeES8_NS0_13TensorArgTypeES9_S9_EUllE_EEvNS0_6detail10TensorInfoIT_T1_EESF_NSC_IKS6_SE_EElS8_S8_SE_T6_.private_seg_size, 0
	.set _ZN2at4cuda17kernelHistogram1DIfilLi1ELi2ELin1ELNS0_23CUDAHistogramMemoryTypeE1EZNS0_21CUDA_tensor_histogramIfiLb1EEEbNS_6TensorES4_S4_lNS_14AccumulateTypeIT0_Lb1EE4typeES8_NS0_13TensorArgTypeES9_S9_EUllE_EEvNS0_6detail10TensorInfoIT_T1_EESF_NSC_IKS6_SE_EElS8_S8_SE_T6_.uses_vcc, 1
	.set _ZN2at4cuda17kernelHistogram1DIfilLi1ELi2ELin1ELNS0_23CUDAHistogramMemoryTypeE1EZNS0_21CUDA_tensor_histogramIfiLb1EEEbNS_6TensorES4_S4_lNS_14AccumulateTypeIT0_Lb1EE4typeES8_NS0_13TensorArgTypeES9_S9_EUllE_EEvNS0_6detail10TensorInfoIT_T1_EESF_NSC_IKS6_SE_EElS8_S8_SE_T6_.uses_flat_scratch, 0
	.set _ZN2at4cuda17kernelHistogram1DIfilLi1ELi2ELin1ELNS0_23CUDAHistogramMemoryTypeE1EZNS0_21CUDA_tensor_histogramIfiLb1EEEbNS_6TensorES4_S4_lNS_14AccumulateTypeIT0_Lb1EE4typeES8_NS0_13TensorArgTypeES9_S9_EUllE_EEvNS0_6detail10TensorInfoIT_T1_EESF_NSC_IKS6_SE_EElS8_S8_SE_T6_.has_dyn_sized_stack, 0
	.set _ZN2at4cuda17kernelHistogram1DIfilLi1ELi2ELin1ELNS0_23CUDAHistogramMemoryTypeE1EZNS0_21CUDA_tensor_histogramIfiLb1EEEbNS_6TensorES4_S4_lNS_14AccumulateTypeIT0_Lb1EE4typeES8_NS0_13TensorArgTypeES9_S9_EUllE_EEvNS0_6detail10TensorInfoIT_T1_EESF_NSC_IKS6_SE_EElS8_S8_SE_T6_.has_recursion, 0
	.set _ZN2at4cuda17kernelHistogram1DIfilLi1ELi2ELin1ELNS0_23CUDAHistogramMemoryTypeE1EZNS0_21CUDA_tensor_histogramIfiLb1EEEbNS_6TensorES4_S4_lNS_14AccumulateTypeIT0_Lb1EE4typeES8_NS0_13TensorArgTypeES9_S9_EUllE_EEvNS0_6detail10TensorInfoIT_T1_EESF_NSC_IKS6_SE_EElS8_S8_SE_T6_.has_indirect_call, 0
	.section	.AMDGPU.csdata,"",@progbits
; Kernel info:
; codeLenInByte = 2092
; TotalNumSgprs: 57
; NumVgprs: 22
; ScratchSize: 0
; MemoryBound: 0
; FloatMode: 240
; IeeeMode: 1
; LDSByteSize: 0 bytes/workgroup (compile time only)
; SGPRBlocks: 0
; VGPRBlocks: 1
; NumSGPRsForWavesPerEU: 57
; NumVGPRsForWavesPerEU: 22
; NamedBarCnt: 0
; Occupancy: 16
; WaveLimiterHint : 1
; COMPUTE_PGM_RSRC2:SCRATCH_EN: 0
; COMPUTE_PGM_RSRC2:USER_SGPR: 2
; COMPUTE_PGM_RSRC2:TRAP_HANDLER: 0
; COMPUTE_PGM_RSRC2:TGID_X_EN: 1
; COMPUTE_PGM_RSRC2:TGID_Y_EN: 0
; COMPUTE_PGM_RSRC2:TGID_Z_EN: 0
; COMPUTE_PGM_RSRC2:TIDIG_COMP_CNT: 0
	.section	.text._ZN2at4cuda17kernelHistogram1DIfilLi1ELi2ELin1ELNS0_23CUDAHistogramMemoryTypeE0EZNS0_21CUDA_tensor_histogramIfiLb1EEEbNS_6TensorES4_S4_lNS_14AccumulateTypeIT0_Lb1EE4typeES8_NS0_13TensorArgTypeES9_S9_EUllE0_EEvNS0_6detail10TensorInfoIT_T1_EESF_NSC_IKS6_SE_EElS8_S8_SE_T6_,"axG",@progbits,_ZN2at4cuda17kernelHistogram1DIfilLi1ELi2ELin1ELNS0_23CUDAHistogramMemoryTypeE0EZNS0_21CUDA_tensor_histogramIfiLb1EEEbNS_6TensorES4_S4_lNS_14AccumulateTypeIT0_Lb1EE4typeES8_NS0_13TensorArgTypeES9_S9_EUllE0_EEvNS0_6detail10TensorInfoIT_T1_EESF_NSC_IKS6_SE_EElS8_S8_SE_T6_,comdat
	.protected	_ZN2at4cuda17kernelHistogram1DIfilLi1ELi2ELin1ELNS0_23CUDAHistogramMemoryTypeE0EZNS0_21CUDA_tensor_histogramIfiLb1EEEbNS_6TensorES4_S4_lNS_14AccumulateTypeIT0_Lb1EE4typeES8_NS0_13TensorArgTypeES9_S9_EUllE0_EEvNS0_6detail10TensorInfoIT_T1_EESF_NSC_IKS6_SE_EElS8_S8_SE_T6_ ; -- Begin function _ZN2at4cuda17kernelHistogram1DIfilLi1ELi2ELin1ELNS0_23CUDAHistogramMemoryTypeE0EZNS0_21CUDA_tensor_histogramIfiLb1EEEbNS_6TensorES4_S4_lNS_14AccumulateTypeIT0_Lb1EE4typeES8_NS0_13TensorArgTypeES9_S9_EUllE0_EEvNS0_6detail10TensorInfoIT_T1_EESF_NSC_IKS6_SE_EElS8_S8_SE_T6_
	.globl	_ZN2at4cuda17kernelHistogram1DIfilLi1ELi2ELin1ELNS0_23CUDAHistogramMemoryTypeE0EZNS0_21CUDA_tensor_histogramIfiLb1EEEbNS_6TensorES4_S4_lNS_14AccumulateTypeIT0_Lb1EE4typeES8_NS0_13TensorArgTypeES9_S9_EUllE0_EEvNS0_6detail10TensorInfoIT_T1_EESF_NSC_IKS6_SE_EElS8_S8_SE_T6_
	.p2align	8
	.type	_ZN2at4cuda17kernelHistogram1DIfilLi1ELi2ELin1ELNS0_23CUDAHistogramMemoryTypeE0EZNS0_21CUDA_tensor_histogramIfiLb1EEEbNS_6TensorES4_S4_lNS_14AccumulateTypeIT0_Lb1EE4typeES8_NS0_13TensorArgTypeES9_S9_EUllE0_EEvNS0_6detail10TensorInfoIT_T1_EESF_NSC_IKS6_SE_EElS8_S8_SE_T6_,@function
_ZN2at4cuda17kernelHistogram1DIfilLi1ELi2ELin1ELNS0_23CUDAHistogramMemoryTypeE0EZNS0_21CUDA_tensor_histogramIfiLb1EEEbNS_6TensorES4_S4_lNS_14AccumulateTypeIT0_Lb1EE4typeES8_NS0_13TensorArgTypeES9_S9_EUllE0_EEvNS0_6detail10TensorInfoIT_T1_EESF_NSC_IKS6_SE_EElS8_S8_SE_T6_: ; @_ZN2at4cuda17kernelHistogram1DIfilLi1ELi2ELin1ELNS0_23CUDAHistogramMemoryTypeE0EZNS0_21CUDA_tensor_histogramIfiLb1EEEbNS_6TensorES4_S4_lNS_14AccumulateTypeIT0_Lb1EE4typeES8_NS0_13TensorArgTypeES9_S9_EUllE0_EEvNS0_6detail10TensorInfoIT_T1_EESF_NSC_IKS6_SE_EElS8_S8_SE_T6_
; %bb.0:
	s_load_b128 s[12:15], s[0:1], 0x0
	v_mov_b32_e32 v1, 0
	s_add_nc_u64 s[22:23], s[0:1], 0x508
	s_mov_b32 s3, exec_lo
                                        ; implicit-def: $sgpr4
	s_wait_kmcnt 0x0
	s_delay_alu instid0(VALU_DEP_1)
	v_cmp_gt_i64_e64 s2, s[14:15], v[0:1]
	v_cmpx_le_i64_e64 s[14:15], v[0:1]
	s_xor_b32 s3, exec_lo, s3
; %bb.1:
	s_load_b32 s4, s[22:23], 0xc
; %bb.2:
	s_or_saveexec_b32 s3, s3
	s_wait_kmcnt 0x0
	v_mov_b32_e32 v4, s4
	s_xor_b32 exec_lo, exec_lo, s3
	s_cbranch_execz .LBB26_12
; %bb.3:
	v_dual_mov_b32 v5, 0 :: v_dual_add_nc_u32 v4, 1, v0
	s_load_b32 s6, s[22:23], 0xc
	s_mov_b32 s8, -1
	s_delay_alu instid0(VALU_DEP_1) | instskip(SKIP_2) | instid1(SALU_CYCLE_1)
	v_max_i64 v[2:3], s[14:15], v[4:5]
	s_wait_kmcnt 0x0
	s_and_b32 s4, s6, 0xffff
	s_cmp_eq_u32 s4, 1
	s_cselect_b32 s5, -1, 0
	s_delay_alu instid0(VALU_DEP_1) | instskip(SKIP_1) | instid1(VALU_DEP_2)
	v_sub_nc_u64_e32 v[6:7], v[2:3], v[0:1]
	v_mov_b64_e32 v[2:3], v[0:1]
	v_cmp_lt_u64_e32 vcc_lo, 1, v[6:7]
	s_and_b32 s7, vcc_lo, s5
	s_delay_alu instid0(SALU_CYCLE_1)
	s_and_saveexec_b32 s5, s7
	s_cbranch_execz .LBB26_7
; %bb.4:
	v_dual_mov_b32 v3, v7 :: v_dual_bitop2_b32 v2, -2, v6 bitop3:0x40
	v_lshl_add_u32 v4, v0, 2, 0
	s_mov_b32 s7, 0
	s_delay_alu instid0(VALU_DEP_2)
	v_mov_b64_e32 v[8:9], v[2:3]
.LBB26_5:                               ; =>This Inner Loop Header: Depth=1
	s_delay_alu instid0(VALU_DEP_1) | instskip(SKIP_4) | instid1(SALU_CYCLE_1)
	v_add_nc_u64_e32 v[8:9], -2, v[8:9]
	ds_store_2addr_b32 v4, v5, v5 offset1:1
	v_add_nc_u32_e32 v4, 8, v4
	v_cmp_eq_u64_e32 vcc_lo, 0, v[8:9]
	s_or_b32 s7, vcc_lo, s7
	s_and_not1_b32 exec_lo, exec_lo, s7
	s_cbranch_execnz .LBB26_5
; %bb.6:
	s_or_b32 exec_lo, exec_lo, s7
	v_cmp_ne_u64_e32 vcc_lo, v[6:7], v[2:3]
	v_add_nc_u64_e32 v[2:3], v[2:3], v[0:1]
	s_or_not1_b32 s8, vcc_lo, exec_lo
.LBB26_7:
	s_or_b32 exec_lo, exec_lo, s5
	v_mov_b32_e32 v4, 1
	s_and_saveexec_b32 s7, s8
	s_cbranch_execz .LBB26_11
; %bb.8:
	s_delay_alu instid0(VALU_DEP_2)
	v_lshl_add_u32 v4, v2, 2, 0
	v_mov_b32_e32 v5, 0
	s_mov_b32 s5, 0
	s_lshl_b32 s9, s4, 2
	s_mov_b32 s8, s5
.LBB26_9:                               ; =>This Inner Loop Header: Depth=1
	v_add_nc_u64_e32 v[2:3], s[4:5], v[2:3]
	ds_store_b32 v4, v5
	v_add_nc_u32_e32 v4, s9, v4
	v_cmp_le_i64_e32 vcc_lo, s[14:15], v[2:3]
	s_or_b32 s8, vcc_lo, s8
	s_delay_alu instid0(SALU_CYCLE_1)
	s_and_not1_b32 exec_lo, exec_lo, s8
	s_cbranch_execnz .LBB26_9
; %bb.10:
	s_or_b32 exec_lo, exec_lo, s8
	v_mov_b32_e32 v4, s6
.LBB26_11:
	s_or_b32 exec_lo, exec_lo, s7
.LBB26_12:
	s_delay_alu instid0(SALU_CYCLE_1)
	s_or_b32 exec_lo, exec_lo, s3
	s_bfe_u32 s3, ttmp6, 0x4000c
	s_load_b256 s[4:11], s[0:1], 0x4e0
	s_add_co_i32 s3, s3, 1
	s_and_b32 s16, ttmp6, 15
	s_mul_i32 s3, ttmp9, s3
	s_getreg_b32 s17, hwreg(HW_REG_IB_STS2, 6, 4)
	v_and_b32_e32 v2, 0xffff, v4
	s_add_co_i32 s16, s16, s3
	s_cmp_eq_u32 s17, 0
	v_mov_b32_e32 v6, 0
	s_cselect_b32 s3, ttmp9, s16
	s_mov_b32 s17, 0
	v_mad_u32 v4, s3, v2, v0
	s_mov_b32 s33, exec_lo
	v_mov_b32_e32 v5, v6
	s_wait_dscnt 0x0
	s_barrier_signal -1
	s_barrier_wait -1
	s_wait_kmcnt 0x0
	s_delay_alu instid0(VALU_DEP_2)
	v_cmpx_gt_i64_e64 s[10:11], v[4:5]
	s_cbranch_execz .LBB26_28
; %bb.13:
	s_load_b32 s3, s[0:1], 0x4d8
	s_load_b32 s16, s[22:23], 0x0
	s_clause 0x1
	s_load_b64 s[18:19], s[0:1], 0x410
	s_load_b64 s[20:21], s[0:1], 0x340
	s_add_nc_u64 s[26:27], s[0:1], 0x340
	v_dual_mov_b32 v9, v6 :: v_dual_mov_b32 v3, 1.0
	s_wait_xcnt 0x0
	s_sub_nc_u64 s[22:23], s[8:9], s[6:7]
	s_mov_b64 s[24:25], 0xffffffff
	s_mov_b32 s42, 0
	s_wait_kmcnt 0x0
	s_cmp_gt_i32 s3, 1
	v_mul_lo_u32 v8, s16, v2
	s_cselect_b32 s40, -1, 0
	s_add_co_i32 s16, s3, -1
	s_add_co_i32 s41, s3, 1
	s_lshl_b64 s[28:29], s[16:17], 3
	s_delay_alu instid0(SALU_CYCLE_1)
	s_add_nc_u64 s[26:27], s[26:27], s[28:29]
	s_ashr_i32 s28, s23, 31
	s_add_nc_u64 s[26:27], s[26:27], 8
	s_branch .LBB26_16
.LBB26_14:                              ;   in Loop: Header=BB26_16 Depth=1
	s_or_b32 exec_lo, exec_lo, s3
	s_delay_alu instid0(VALU_DEP_1) | instskip(NEXT) | instid1(VALU_DEP_1)
	v_ashrrev_i32_e32 v13, 31, v12
	v_cmp_eq_u64_e32 vcc_lo, s[4:5], v[12:13]
	v_subrev_co_ci_u32_e64 v7, null, 0, v12, vcc_lo
	s_delay_alu instid0(VALU_DEP_1)
	v_lshl_add_u32 v7, v7, 2, 0
	ds_add_f32 v7, v3
.LBB26_15:                              ;   in Loop: Header=BB26_16 Depth=1
	s_or_b32 exec_lo, exec_lo, s34
	v_add_nc_u64_e32 v[4:5], v[4:5], v[8:9]
	s_delay_alu instid0(VALU_DEP_1) | instskip(SKIP_1) | instid1(SALU_CYCLE_1)
	v_cmp_le_i64_e32 vcc_lo, s[10:11], v[4:5]
	s_or_b32 s42, vcc_lo, s42
	s_and_not1_b32 exec_lo, exec_lo, s42
	s_cbranch_execz .LBB26_28
.LBB26_16:                              ; =>This Loop Header: Depth=1
                                        ;     Child Loop BB26_17 Depth 2
	v_mov_b64_e32 v[10:11], 0
	v_mov_b64_e32 v[12:13], v[4:5]
	;; [unrolled: 1-line block ×3, first 2 shown]
	s_and_not1_b32 vcc_lo, exec_lo, s40
	s_mov_b64 s[30:31], s[26:27]
	s_mov_b32 s29, s41
	s_cbranch_vccnz .LBB26_23
.LBB26_17:                              ;   Parent Loop BB26_16 Depth=1
                                        ; =>  This Inner Loop Header: Depth=2
	s_load_b64 s[34:35], s[30:31], 0x0
                                        ; implicit-def: $vgpr14_vgpr15
	s_mov_b32 s3, exec_lo
	s_wait_kmcnt 0x0
	s_delay_alu instid0(VALU_DEP_1) | instskip(NEXT) | instid1(VALU_DEP_1)
	v_or_b32_e32 v7, s35, v13
	v_cmpx_ne_u64_e32 0, v[6:7]
	s_xor_b32 s43, exec_lo, s3
	s_cbranch_execz .LBB26_19
; %bb.18:                               ;   in Loop: Header=BB26_17 Depth=2
	s_ashr_i32 s36, s35, 31
	v_dual_mov_b32 v19, v6 :: v_dual_ashrrev_i32 v14, 31, v13
	s_mov_b32 s37, s36
	v_mov_b32_e32 v27, v6
	s_add_nc_u64 s[38:39], s[34:35], s[36:37]
	s_delay_alu instid0(VALU_DEP_2) | instskip(SKIP_1) | instid1(SALU_CYCLE_1)
	v_mov_b32_e32 v15, v14
	s_xor_b64 s[38:39], s[38:39], s[36:37]
	s_cvt_f32_u32 s3, s38
	s_cvt_f32_u32 s16, s39
	s_sub_nc_u64 s[46:47], 0, s[38:39]
	v_add_nc_u64_e32 v[16:17], v[12:13], v[14:15]
	v_mov_b32_e32 v23, v6
	s_fmamk_f32 s3, s16, 0x4f800000, s3
	s_delay_alu instid0(SALU_CYCLE_3) | instskip(NEXT) | instid1(VALU_DEP_2)
	v_s_rcp_f32 s3, s3
	v_xor_b32_e32 v18, v16, v14
	s_delay_alu instid0(VALU_DEP_3) | instskip(NEXT) | instid1(TRANS32_DEP_1)
	v_xor_b32_e32 v22, v17, v14
	s_mul_f32 s3, s3, 0x5f7ffffc
	s_delay_alu instid0(SALU_CYCLE_3) | instskip(NEXT) | instid1(SALU_CYCLE_3)
	s_mul_f32 s16, s3, 0x2f800000
	s_trunc_f32 s16, s16
	s_delay_alu instid0(SALU_CYCLE_3) | instskip(SKIP_1) | instid1(SALU_CYCLE_2)
	s_fmamk_f32 s3, s16, 0xcf800000, s3
	s_cvt_u32_f32 s45, s16
	s_cvt_u32_f32 s44, s3
	s_delay_alu instid0(SALU_CYCLE_3) | instskip(NEXT) | instid1(SALU_CYCLE_1)
	s_mul_u64 s[48:49], s[46:47], s[44:45]
	s_mul_hi_u32 s51, s44, s49
	s_mul_i32 s50, s44, s49
	s_mul_hi_u32 s16, s44, s48
	s_mul_i32 s37, s45, s48
	s_add_nc_u64 s[50:51], s[16:17], s[50:51]
	s_mul_hi_u32 s3, s45, s48
	s_mul_hi_u32 s52, s45, s49
	s_add_co_u32 s16, s50, s37
	s_add_co_ci_u32 s16, s51, s3
	s_mul_i32 s48, s45, s49
	s_add_co_ci_u32 s49, s52, 0
	s_delay_alu instid0(SALU_CYCLE_1) | instskip(NEXT) | instid1(SALU_CYCLE_1)
	s_add_nc_u64 s[48:49], s[16:17], s[48:49]
	s_add_co_u32 s44, s44, s48
	s_cselect_b32 s3, -1, 0
	s_delay_alu instid0(SALU_CYCLE_1) | instskip(SKIP_1) | instid1(SALU_CYCLE_1)
	s_cmp_lg_u32 s3, 0
	s_add_co_ci_u32 s45, s45, s49
	s_mul_u64 s[46:47], s[46:47], s[44:45]
	s_delay_alu instid0(SALU_CYCLE_1)
	s_mul_hi_u32 s49, s44, s47
	s_mul_i32 s48, s44, s47
	s_mul_hi_u32 s16, s44, s46
	s_mul_i32 s37, s45, s46
	s_add_nc_u64 s[48:49], s[16:17], s[48:49]
	s_mul_hi_u32 s3, s45, s46
	s_mul_hi_u32 s50, s45, s47
	s_add_co_u32 s16, s48, s37
	s_add_co_ci_u32 s16, s49, s3
	s_mul_i32 s46, s45, s47
	s_add_co_ci_u32 s47, s50, 0
	s_delay_alu instid0(SALU_CYCLE_1) | instskip(NEXT) | instid1(SALU_CYCLE_1)
	s_add_nc_u64 s[46:47], s[16:17], s[46:47]
	s_add_co_u32 s44, s44, s46
	s_cselect_b32 s3, -1, 0
	v_mul_hi_u32 v26, v18, s44
	s_cmp_lg_u32 s3, 0
	s_add_co_ci_u32 s16, s45, s47
	s_and_b64 s[46:47], s[44:45], s[24:25]
	v_mul_u64_e32 v[20:21], s[16:17], v[18:19]
	v_mul_u64_e32 v[16:17], s[46:47], v[22:23]
	;; [unrolled: 1-line block ×3, first 2 shown]
	s_delay_alu instid0(VALU_DEP_3) | instskip(NEXT) | instid1(VALU_DEP_1)
	v_add_nc_u64_e32 v[20:21], v[26:27], v[20:21]
	v_add_co_u32 v7, vcc_lo, v20, v16
	s_delay_alu instid0(VALU_DEP_2) | instskip(NEXT) | instid1(VALU_DEP_4)
	v_add_co_ci_u32_e32 v26, vcc_lo, v21, v17, vcc_lo
	v_add_co_ci_u32_e32 v25, vcc_lo, 0, v25, vcc_lo
	s_delay_alu instid0(VALU_DEP_1) | instskip(NEXT) | instid1(VALU_DEP_1)
	v_add_nc_u64_e32 v[16:17], v[26:27], v[24:25]
	v_mul_u64_e32 v[20:21], s[38:39], v[16:17]
	s_delay_alu instid0(VALU_DEP_1) | instskip(NEXT) | instid1(VALU_DEP_2)
	v_sub_nc_u32_e32 v7, v22, v21
	v_sub_co_u32 v15, vcc_lo, v18, v20
	s_delay_alu instid0(VALU_DEP_1) | instskip(NEXT) | instid1(VALU_DEP_3)
	v_sub_co_ci_u32_e64 v22, null, v22, v21, vcc_lo
	v_subrev_co_ci_u32_e64 v7, null, s39, v7, vcc_lo
	s_delay_alu instid0(VALU_DEP_3) | instskip(SKIP_1) | instid1(VALU_DEP_3)
	v_sub_co_u32 v18, s3, v15, s38
	v_add_nc_u64_e32 v[20:21], 1, v[16:17]
	v_subrev_co_ci_u32_e64 v7, null, 0, v7, s3
	s_delay_alu instid0(VALU_DEP_3) | instskip(SKIP_1) | instid1(VALU_DEP_3)
	v_cmp_le_u32_e32 vcc_lo, s38, v18
	v_cndmask_b32_e64 v18, 0, -1, vcc_lo
	v_cmp_le_u32_e32 vcc_lo, s39, v7
	v_cndmask_b32_e64 v19, 0, -1, vcc_lo
	;; [unrolled: 2-line block ×4, first 2 shown]
	v_cmp_eq_u32_e32 vcc_lo, s39, v7
	v_cndmask_b32_e32 v7, v19, v18, vcc_lo
	v_cmp_eq_u32_e32 vcc_lo, s39, v22
	v_add_nc_u64_e32 v[18:19], 2, v[16:17]
	v_cndmask_b32_e32 v15, v23, v15, vcc_lo
	s_delay_alu instid0(VALU_DEP_4) | instskip(NEXT) | instid1(VALU_DEP_2)
	v_cmp_ne_u32_e32 vcc_lo, 0, v7
	v_cmp_ne_u32_e64 s3, 0, v15
	s_delay_alu instid0(VALU_DEP_4) | instskip(NEXT) | instid1(VALU_DEP_1)
	v_dual_cndmask_b32 v7, v21, v19, vcc_lo :: v_dual_cndmask_b32 v15, v20, v18, vcc_lo
	v_dual_cndmask_b32 v7, v17, v7, s3 :: v_dual_bitop2_b32 v14, s36, v14 bitop3:0x14
	s_delay_alu instid0(VALU_DEP_1) | instskip(NEXT) | instid1(VALU_DEP_2)
	v_dual_cndmask_b32 v16, v16, v15, s3 :: v_dual_mov_b32 v15, v14
	v_xor_b32_e32 v17, v7, v14
	s_delay_alu instid0(VALU_DEP_2) | instskip(NEXT) | instid1(VALU_DEP_1)
	v_xor_b32_e32 v16, v16, v14
	v_sub_nc_u64_e32 v[14:15], v[16:17], v[14:15]
.LBB26_19:                              ;   in Loop: Header=BB26_17 Depth=2
	s_and_not1_saveexec_b32 s3, s43
	s_cbranch_execz .LBB26_21
; %bb.20:                               ;   in Loop: Header=BB26_17 Depth=2
	v_cvt_f32_u32_e32 v7, s34
	s_sub_co_i32 s16, 0, s34
	s_delay_alu instid0(VALU_DEP_1) | instskip(SKIP_1) | instid1(TRANS32_DEP_1)
	v_rcp_iflag_f32_e32 v7, v7
	v_nop
	v_mul_f32_e32 v7, 0x4f7ffffe, v7
	s_delay_alu instid0(VALU_DEP_1) | instskip(NEXT) | instid1(VALU_DEP_1)
	v_cvt_u32_f32_e32 v7, v7
	v_mul_lo_u32 v14, s16, v7
	s_delay_alu instid0(VALU_DEP_1) | instskip(NEXT) | instid1(VALU_DEP_1)
	v_mul_hi_u32 v14, v7, v14
	v_add_nc_u32_e32 v7, v7, v14
	s_delay_alu instid0(VALU_DEP_1) | instskip(NEXT) | instid1(VALU_DEP_1)
	v_mul_hi_u32 v7, v12, v7
	v_mul_lo_u32 v14, v7, s34
	s_delay_alu instid0(VALU_DEP_1) | instskip(NEXT) | instid1(VALU_DEP_1)
	v_dual_add_nc_u32 v15, 1, v7 :: v_dual_sub_nc_u32 v14, v12, v14
	v_subrev_nc_u32_e32 v16, s34, v14
	v_cmp_le_u32_e32 vcc_lo, s34, v14
	s_delay_alu instid0(VALU_DEP_2) | instskip(NEXT) | instid1(VALU_DEP_1)
	v_dual_cndmask_b32 v14, v14, v16 :: v_dual_cndmask_b32 v7, v7, v15
	v_cmp_le_u32_e32 vcc_lo, s34, v14
	s_delay_alu instid0(VALU_DEP_2) | instskip(NEXT) | instid1(VALU_DEP_1)
	v_add_nc_u32_e32 v15, 1, v7
	v_dual_cndmask_b32 v14, v7, v15 :: v_dual_mov_b32 v15, v6
.LBB26_21:                              ;   in Loop: Header=BB26_17 Depth=2
	s_or_b32 exec_lo, exec_lo, s3
	s_delay_alu instid0(VALU_DEP_1)
	v_mul_u64_e32 v[16:17], s[34:35], v[14:15]
	s_load_b64 s[34:35], s[30:31], 0xc8
	s_add_co_i32 s29, s29, -1
	s_wait_xcnt 0x0
	s_add_nc_u64 s[30:31], s[30:31], -8
	s_cmp_gt_u32 s29, 2
	s_delay_alu instid0(VALU_DEP_1) | instskip(SKIP_1) | instid1(VALU_DEP_1)
	v_sub_nc_u64_e32 v[12:13], v[12:13], v[16:17]
	s_wait_kmcnt 0x0
	v_mad_nc_u64_u32 v[10:11], s34, v12, v[10:11]
	s_delay_alu instid0(VALU_DEP_1) | instskip(NEXT) | instid1(VALU_DEP_1)
	v_mad_u32 v7, s35, v12, v11
	v_mad_u32 v11, s34, v13, v7
	s_cbranch_scc0 .LBB26_23
; %bb.22:                               ;   in Loop: Header=BB26_17 Depth=2
	v_mov_b64_e32 v[12:13], v[14:15]
	s_branch .LBB26_17
.LBB26_23:                              ;   in Loop: Header=BB26_16 Depth=1
	s_delay_alu instid0(VALU_DEP_1) | instskip(NEXT) | instid1(VALU_DEP_1)
	v_mul_u64_e32 v[12:13], s[18:19], v[14:15]
	v_lshl_add_u64 v[12:13], v[12:13], 2, s[20:21]
	s_delay_alu instid0(VALU_DEP_1) | instskip(SKIP_4) | instid1(VALU_DEP_1)
	v_lshl_add_u64 v[10:11], v[10:11], 2, v[12:13]
	global_load_b32 v10, v[10:11], off
	s_wait_loadcnt 0x0
	s_wait_xcnt 0x0
	v_ashrrev_i32_e32 v11, 31, v10
	v_cmp_le_i64_e32 vcc_lo, s[6:7], v[10:11]
	v_cmp_ge_i64_e64 s3, s[8:9], v[10:11]
	s_and_b32 s3, vcc_lo, s3
	s_delay_alu instid0(SALU_CYCLE_1)
	s_and_saveexec_b32 s34, s3
	s_cbranch_execz .LBB26_15
; %bb.24:                               ;   in Loop: Header=BB26_16 Depth=1
	v_sub_nc_u64_e64 v[10:11], v[10:11], s[6:7]
                                        ; implicit-def: $vgpr12_vgpr13
	s_mov_b32 s3, exec_lo
	s_delay_alu instid0(VALU_DEP_1) | instskip(NEXT) | instid1(VALU_DEP_1)
	v_mul_u64_e32 v[10:11], s[4:5], v[10:11]
	v_or_b32_e32 v7, s23, v11
	s_delay_alu instid0(VALU_DEP_1)
	v_cmpx_ne_u64_e32 0, v[6:7]
	s_xor_b32 s35, exec_lo, s3
	s_cbranch_execz .LBB26_26
; %bb.25:                               ;   in Loop: Header=BB26_16 Depth=1
	s_mov_b32 s29, s28
	v_dual_mov_b32 v15, v6 :: v_dual_ashrrev_i32 v12, 31, v11
	s_add_nc_u64 s[30:31], s[22:23], s[28:29]
	v_mov_b32_e32 v23, v6
	s_xor_b64 s[30:31], s[30:31], s[28:29]
	s_delay_alu instid0(VALU_DEP_2) | instskip(SKIP_3) | instid1(VALU_DEP_1)
	v_mov_b32_e32 v13, v12
	s_cvt_f32_u32 s3, s30
	s_cvt_f32_u32 s16, s31
	s_sub_nc_u64 s[38:39], 0, s[30:31]
	v_add_nc_u64_e32 v[10:11], v[10:11], v[12:13]
	s_delay_alu instid0(SALU_CYCLE_1) | instskip(SKIP_1) | instid1(SALU_CYCLE_2)
	s_fmamk_f32 s3, s16, 0x4f800000, s3
	v_mov_b32_e32 v19, v6
	v_s_rcp_f32 s3, s3
	s_delay_alu instid0(VALU_DEP_2) | instskip(NEXT) | instid1(VALU_DEP_3)
	v_xor_b32_e32 v14, v10, v12
	v_xor_b32_e32 v18, v11, v12
	s_delay_alu instid0(TRANS32_DEP_1) | instskip(NEXT) | instid1(SALU_CYCLE_3)
	s_mul_f32 s3, s3, 0x5f7ffffc
	s_mul_f32 s16, s3, 0x2f800000
	s_delay_alu instid0(SALU_CYCLE_3) | instskip(NEXT) | instid1(SALU_CYCLE_3)
	s_trunc_f32 s16, s16
	s_fmamk_f32 s3, s16, 0xcf800000, s3
	s_cvt_u32_f32 s37, s16
	s_delay_alu instid0(SALU_CYCLE_2) | instskip(NEXT) | instid1(SALU_CYCLE_3)
	s_cvt_u32_f32 s36, s3
	s_mul_u64 s[44:45], s[38:39], s[36:37]
	s_delay_alu instid0(SALU_CYCLE_1)
	s_mul_hi_u32 s47, s36, s45
	s_mul_i32 s46, s36, s45
	s_mul_hi_u32 s16, s36, s44
	s_mul_i32 s29, s37, s44
	s_add_nc_u64 s[46:47], s[16:17], s[46:47]
	s_mul_hi_u32 s3, s37, s44
	s_mul_hi_u32 s43, s37, s45
	s_add_co_u32 s16, s46, s29
	s_add_co_ci_u32 s16, s47, s3
	s_mul_i32 s44, s37, s45
	s_add_co_ci_u32 s45, s43, 0
	s_delay_alu instid0(SALU_CYCLE_1) | instskip(NEXT) | instid1(SALU_CYCLE_1)
	s_add_nc_u64 s[44:45], s[16:17], s[44:45]
	s_add_co_u32 s36, s36, s44
	s_cselect_b32 s3, -1, 0
	s_delay_alu instid0(SALU_CYCLE_1) | instskip(SKIP_1) | instid1(SALU_CYCLE_1)
	s_cmp_lg_u32 s3, 0
	s_add_co_ci_u32 s37, s37, s45
	s_mul_u64 s[38:39], s[38:39], s[36:37]
	s_delay_alu instid0(SALU_CYCLE_1)
	s_mul_hi_u32 s45, s36, s39
	s_mul_i32 s44, s36, s39
	s_mul_hi_u32 s16, s36, s38
	s_mul_i32 s29, s37, s38
	s_add_nc_u64 s[44:45], s[16:17], s[44:45]
	s_mul_hi_u32 s3, s37, s38
	s_mul_hi_u32 s43, s37, s39
	s_add_co_u32 s16, s44, s29
	s_add_co_ci_u32 s16, s45, s3
	s_mul_i32 s38, s37, s39
	s_add_co_ci_u32 s39, s43, 0
	s_delay_alu instid0(SALU_CYCLE_1) | instskip(NEXT) | instid1(SALU_CYCLE_1)
	s_add_nc_u64 s[38:39], s[16:17], s[38:39]
	s_add_co_u32 s36, s36, s38
	s_cselect_b32 s3, -1, 0
	v_mul_hi_u32 v22, v14, s36
	s_cmp_lg_u32 s3, 0
	s_add_co_ci_u32 s16, s37, s39
	s_and_b64 s[38:39], s[36:37], s[24:25]
	v_mul_u64_e32 v[16:17], s[16:17], v[14:15]
	v_mul_u64_e32 v[10:11], s[38:39], v[18:19]
	;; [unrolled: 1-line block ×3, first 2 shown]
	s_delay_alu instid0(VALU_DEP_3) | instskip(NEXT) | instid1(VALU_DEP_1)
	v_add_nc_u64_e32 v[16:17], v[22:23], v[16:17]
	v_add_co_u32 v7, vcc_lo, v16, v10
	s_delay_alu instid0(VALU_DEP_2) | instskip(NEXT) | instid1(VALU_DEP_4)
	v_add_co_ci_u32_e32 v22, vcc_lo, v17, v11, vcc_lo
	v_add_co_ci_u32_e32 v21, vcc_lo, 0, v21, vcc_lo
	s_delay_alu instid0(VALU_DEP_1) | instskip(NEXT) | instid1(VALU_DEP_1)
	v_add_nc_u64_e32 v[10:11], v[22:23], v[20:21]
	v_mul_u64_e32 v[16:17], s[30:31], v[10:11]
	s_delay_alu instid0(VALU_DEP_1) | instskip(NEXT) | instid1(VALU_DEP_2)
	v_sub_nc_u32_e32 v7, v18, v17
	v_sub_co_u32 v13, vcc_lo, v14, v16
	s_delay_alu instid0(VALU_DEP_1) | instskip(NEXT) | instid1(VALU_DEP_3)
	v_sub_co_ci_u32_e64 v18, null, v18, v17, vcc_lo
	v_subrev_co_ci_u32_e64 v7, null, s31, v7, vcc_lo
	s_delay_alu instid0(VALU_DEP_3) | instskip(SKIP_1) | instid1(VALU_DEP_3)
	v_sub_co_u32 v14, s3, v13, s30
	v_add_nc_u64_e32 v[16:17], 1, v[10:11]
	v_subrev_co_ci_u32_e64 v7, null, 0, v7, s3
	s_delay_alu instid0(VALU_DEP_3) | instskip(SKIP_1) | instid1(VALU_DEP_3)
	v_cmp_le_u32_e32 vcc_lo, s30, v14
	v_cndmask_b32_e64 v14, 0, -1, vcc_lo
	v_cmp_le_u32_e32 vcc_lo, s31, v7
	v_cndmask_b32_e64 v15, 0, -1, vcc_lo
	;; [unrolled: 2-line block ×4, first 2 shown]
	v_cmp_eq_u32_e32 vcc_lo, s31, v7
	v_cndmask_b32_e32 v7, v15, v14, vcc_lo
	v_cmp_eq_u32_e32 vcc_lo, s31, v18
	v_add_nc_u64_e32 v[14:15], 2, v[10:11]
	v_cndmask_b32_e32 v13, v19, v13, vcc_lo
	s_delay_alu instid0(VALU_DEP_4) | instskip(NEXT) | instid1(VALU_DEP_3)
	v_cmp_ne_u32_e32 vcc_lo, 0, v7
	v_cndmask_b32_e32 v7, v17, v15, vcc_lo
	s_delay_alu instid0(VALU_DEP_3) | instskip(SKIP_1) | instid1(VALU_DEP_1)
	v_cmp_ne_u32_e64 s3, 0, v13
	v_dual_cndmask_b32 v13, v16, v14, vcc_lo :: v_dual_bitop2_b32 v12, s28, v12 bitop3:0x14
	v_dual_cndmask_b32 v7, v11, v7, s3 :: v_dual_cndmask_b32 v10, v10, v13, s3
	s_delay_alu instid0(VALU_DEP_1) | instskip(NEXT) | instid1(VALU_DEP_2)
	v_dual_mov_b32 v13, v12 :: v_dual_bitop2_b32 v11, v7, v12 bitop3:0x14
	v_xor_b32_e32 v10, v10, v12
	s_delay_alu instid0(VALU_DEP_1)
	v_sub_nc_u64_e32 v[12:13], v[10:11], v[12:13]
                                        ; implicit-def: $vgpr10_vgpr11
.LBB26_26:                              ;   in Loop: Header=BB26_16 Depth=1
	s_and_not1_saveexec_b32 s3, s35
	s_cbranch_execz .LBB26_14
; %bb.27:                               ;   in Loop: Header=BB26_16 Depth=1
	v_cvt_f32_u32_e32 v7, s22
	s_sub_co_i32 s16, 0, s22
	s_delay_alu instid0(VALU_DEP_1) | instskip(SKIP_1) | instid1(TRANS32_DEP_1)
	v_rcp_iflag_f32_e32 v7, v7
	v_nop
	v_mul_f32_e32 v7, 0x4f7ffffe, v7
	s_delay_alu instid0(VALU_DEP_1) | instskip(NEXT) | instid1(VALU_DEP_1)
	v_cvt_u32_f32_e32 v7, v7
	v_mul_lo_u32 v11, s16, v7
	s_delay_alu instid0(VALU_DEP_1) | instskip(NEXT) | instid1(VALU_DEP_1)
	v_mul_hi_u32 v11, v7, v11
	v_add_nc_u32_e32 v7, v7, v11
	s_delay_alu instid0(VALU_DEP_1) | instskip(NEXT) | instid1(VALU_DEP_1)
	v_mul_hi_u32 v7, v10, v7
	v_mul_lo_u32 v11, v7, s22
	s_delay_alu instid0(VALU_DEP_1) | instskip(SKIP_1) | instid1(VALU_DEP_2)
	v_sub_nc_u32_e32 v10, v10, v11
	v_add_nc_u32_e32 v11, 1, v7
	v_subrev_nc_u32_e32 v12, s22, v10
	v_cmp_le_u32_e32 vcc_lo, s22, v10
	s_delay_alu instid0(VALU_DEP_2) | instskip(NEXT) | instid1(VALU_DEP_1)
	v_dual_cndmask_b32 v10, v10, v12 :: v_dual_cndmask_b32 v7, v7, v11
	v_cmp_le_u32_e32 vcc_lo, s22, v10
	s_delay_alu instid0(VALU_DEP_2) | instskip(NEXT) | instid1(VALU_DEP_1)
	v_add_nc_u32_e32 v11, 1, v7
	v_cndmask_b32_e32 v12, v7, v11, vcc_lo
	s_branch .LBB26_14
.LBB26_28:
	s_or_b32 exec_lo, exec_lo, s33
	s_load_b64 s[0:1], s[0:1], 0xd0
; %bb.29:
	s_wait_dscnt 0x0
	s_barrier_signal -1
	s_barrier_wait -1
	s_and_saveexec_b32 s3, s2
	s_cbranch_execz .LBB26_32
; %bb.30:
	v_dual_mov_b32 v3, 0 :: v_dual_lshlrev_b32 v9, 2, v2
	s_wait_kmcnt 0x0
	v_mul_u64_e32 v[4:5], s[0:1], v[0:1]
	v_lshl_add_u32 v8, v0, 2, 0
	s_delay_alu instid0(VALU_DEP_3) | instskip(SKIP_1) | instid1(VALU_DEP_3)
	v_mul_u64_e32 v[6:7], s[0:1], v[2:3]
	s_mov_b32 s0, 0
	v_lshl_add_u64 v[4:5], v[4:5], 2, s[12:13]
	s_delay_alu instid0(VALU_DEP_2)
	v_lshlrev_b64_e32 v[6:7], 2, v[6:7]
.LBB26_31:                              ; =>This Inner Loop Header: Depth=1
	ds_load_b32 v10, v8
	v_add_nc_u64_e32 v[0:1], v[0:1], v[2:3]
	v_add_nc_u32_e32 v8, v8, v9
	s_delay_alu instid0(VALU_DEP_2)
	v_cmp_le_i64_e32 vcc_lo, s[14:15], v[0:1]
	s_or_b32 s0, vcc_lo, s0
	s_wait_dscnt 0x0
	global_atomic_add_f32 v[4:5], v10, off scope:SCOPE_DEV
	s_wait_xcnt 0x0
	v_add_nc_u64_e32 v[4:5], v[4:5], v[6:7]
	s_and_not1_b32 exec_lo, exec_lo, s0
	s_cbranch_execnz .LBB26_31
.LBB26_32:
	s_endpgm
	.section	.rodata,"a",@progbits
	.p2align	6, 0x0
	.amdhsa_kernel _ZN2at4cuda17kernelHistogram1DIfilLi1ELi2ELin1ELNS0_23CUDAHistogramMemoryTypeE0EZNS0_21CUDA_tensor_histogramIfiLb1EEEbNS_6TensorES4_S4_lNS_14AccumulateTypeIT0_Lb1EE4typeES8_NS0_13TensorArgTypeES9_S9_EUllE0_EEvNS0_6detail10TensorInfoIT_T1_EESF_NSC_IKS6_SE_EElS8_S8_SE_T6_
		.amdhsa_group_segment_fixed_size 0
		.amdhsa_private_segment_fixed_size 0
		.amdhsa_kernarg_size 1544
		.amdhsa_user_sgpr_count 2
		.amdhsa_user_sgpr_dispatch_ptr 0
		.amdhsa_user_sgpr_queue_ptr 0
		.amdhsa_user_sgpr_kernarg_segment_ptr 1
		.amdhsa_user_sgpr_dispatch_id 0
		.amdhsa_user_sgpr_kernarg_preload_length 0
		.amdhsa_user_sgpr_kernarg_preload_offset 0
		.amdhsa_user_sgpr_private_segment_size 0
		.amdhsa_wavefront_size32 1
		.amdhsa_uses_dynamic_stack 0
		.amdhsa_enable_private_segment 0
		.amdhsa_system_sgpr_workgroup_id_x 1
		.amdhsa_system_sgpr_workgroup_id_y 0
		.amdhsa_system_sgpr_workgroup_id_z 0
		.amdhsa_system_sgpr_workgroup_info 0
		.amdhsa_system_vgpr_workitem_id 0
		.amdhsa_next_free_vgpr 28
		.amdhsa_next_free_sgpr 53
		.amdhsa_named_barrier_count 0
		.amdhsa_reserve_vcc 1
		.amdhsa_float_round_mode_32 0
		.amdhsa_float_round_mode_16_64 0
		.amdhsa_float_denorm_mode_32 3
		.amdhsa_float_denorm_mode_16_64 3
		.amdhsa_fp16_overflow 0
		.amdhsa_memory_ordered 1
		.amdhsa_forward_progress 1
		.amdhsa_inst_pref_size 20
		.amdhsa_round_robin_scheduling 0
		.amdhsa_exception_fp_ieee_invalid_op 0
		.amdhsa_exception_fp_denorm_src 0
		.amdhsa_exception_fp_ieee_div_zero 0
		.amdhsa_exception_fp_ieee_overflow 0
		.amdhsa_exception_fp_ieee_underflow 0
		.amdhsa_exception_fp_ieee_inexact 0
		.amdhsa_exception_int_div_zero 0
	.end_amdhsa_kernel
	.section	.text._ZN2at4cuda17kernelHistogram1DIfilLi1ELi2ELin1ELNS0_23CUDAHistogramMemoryTypeE0EZNS0_21CUDA_tensor_histogramIfiLb1EEEbNS_6TensorES4_S4_lNS_14AccumulateTypeIT0_Lb1EE4typeES8_NS0_13TensorArgTypeES9_S9_EUllE0_EEvNS0_6detail10TensorInfoIT_T1_EESF_NSC_IKS6_SE_EElS8_S8_SE_T6_,"axG",@progbits,_ZN2at4cuda17kernelHistogram1DIfilLi1ELi2ELin1ELNS0_23CUDAHistogramMemoryTypeE0EZNS0_21CUDA_tensor_histogramIfiLb1EEEbNS_6TensorES4_S4_lNS_14AccumulateTypeIT0_Lb1EE4typeES8_NS0_13TensorArgTypeES9_S9_EUllE0_EEvNS0_6detail10TensorInfoIT_T1_EESF_NSC_IKS6_SE_EElS8_S8_SE_T6_,comdat
.Lfunc_end26:
	.size	_ZN2at4cuda17kernelHistogram1DIfilLi1ELi2ELin1ELNS0_23CUDAHistogramMemoryTypeE0EZNS0_21CUDA_tensor_histogramIfiLb1EEEbNS_6TensorES4_S4_lNS_14AccumulateTypeIT0_Lb1EE4typeES8_NS0_13TensorArgTypeES9_S9_EUllE0_EEvNS0_6detail10TensorInfoIT_T1_EESF_NSC_IKS6_SE_EElS8_S8_SE_T6_, .Lfunc_end26-_ZN2at4cuda17kernelHistogram1DIfilLi1ELi2ELin1ELNS0_23CUDAHistogramMemoryTypeE0EZNS0_21CUDA_tensor_histogramIfiLb1EEEbNS_6TensorES4_S4_lNS_14AccumulateTypeIT0_Lb1EE4typeES8_NS0_13TensorArgTypeES9_S9_EUllE0_EEvNS0_6detail10TensorInfoIT_T1_EESF_NSC_IKS6_SE_EElS8_S8_SE_T6_
                                        ; -- End function
	.set _ZN2at4cuda17kernelHistogram1DIfilLi1ELi2ELin1ELNS0_23CUDAHistogramMemoryTypeE0EZNS0_21CUDA_tensor_histogramIfiLb1EEEbNS_6TensorES4_S4_lNS_14AccumulateTypeIT0_Lb1EE4typeES8_NS0_13TensorArgTypeES9_S9_EUllE0_EEvNS0_6detail10TensorInfoIT_T1_EESF_NSC_IKS6_SE_EElS8_S8_SE_T6_.num_vgpr, 28
	.set _ZN2at4cuda17kernelHistogram1DIfilLi1ELi2ELin1ELNS0_23CUDAHistogramMemoryTypeE0EZNS0_21CUDA_tensor_histogramIfiLb1EEEbNS_6TensorES4_S4_lNS_14AccumulateTypeIT0_Lb1EE4typeES8_NS0_13TensorArgTypeES9_S9_EUllE0_EEvNS0_6detail10TensorInfoIT_T1_EESF_NSC_IKS6_SE_EElS8_S8_SE_T6_.num_agpr, 0
	.set _ZN2at4cuda17kernelHistogram1DIfilLi1ELi2ELin1ELNS0_23CUDAHistogramMemoryTypeE0EZNS0_21CUDA_tensor_histogramIfiLb1EEEbNS_6TensorES4_S4_lNS_14AccumulateTypeIT0_Lb1EE4typeES8_NS0_13TensorArgTypeES9_S9_EUllE0_EEvNS0_6detail10TensorInfoIT_T1_EESF_NSC_IKS6_SE_EElS8_S8_SE_T6_.numbered_sgpr, 53
	.set _ZN2at4cuda17kernelHistogram1DIfilLi1ELi2ELin1ELNS0_23CUDAHistogramMemoryTypeE0EZNS0_21CUDA_tensor_histogramIfiLb1EEEbNS_6TensorES4_S4_lNS_14AccumulateTypeIT0_Lb1EE4typeES8_NS0_13TensorArgTypeES9_S9_EUllE0_EEvNS0_6detail10TensorInfoIT_T1_EESF_NSC_IKS6_SE_EElS8_S8_SE_T6_.num_named_barrier, 0
	.set _ZN2at4cuda17kernelHistogram1DIfilLi1ELi2ELin1ELNS0_23CUDAHistogramMemoryTypeE0EZNS0_21CUDA_tensor_histogramIfiLb1EEEbNS_6TensorES4_S4_lNS_14AccumulateTypeIT0_Lb1EE4typeES8_NS0_13TensorArgTypeES9_S9_EUllE0_EEvNS0_6detail10TensorInfoIT_T1_EESF_NSC_IKS6_SE_EElS8_S8_SE_T6_.private_seg_size, 0
	.set _ZN2at4cuda17kernelHistogram1DIfilLi1ELi2ELin1ELNS0_23CUDAHistogramMemoryTypeE0EZNS0_21CUDA_tensor_histogramIfiLb1EEEbNS_6TensorES4_S4_lNS_14AccumulateTypeIT0_Lb1EE4typeES8_NS0_13TensorArgTypeES9_S9_EUllE0_EEvNS0_6detail10TensorInfoIT_T1_EESF_NSC_IKS6_SE_EElS8_S8_SE_T6_.uses_vcc, 1
	.set _ZN2at4cuda17kernelHistogram1DIfilLi1ELi2ELin1ELNS0_23CUDAHistogramMemoryTypeE0EZNS0_21CUDA_tensor_histogramIfiLb1EEEbNS_6TensorES4_S4_lNS_14AccumulateTypeIT0_Lb1EE4typeES8_NS0_13TensorArgTypeES9_S9_EUllE0_EEvNS0_6detail10TensorInfoIT_T1_EESF_NSC_IKS6_SE_EElS8_S8_SE_T6_.uses_flat_scratch, 0
	.set _ZN2at4cuda17kernelHistogram1DIfilLi1ELi2ELin1ELNS0_23CUDAHistogramMemoryTypeE0EZNS0_21CUDA_tensor_histogramIfiLb1EEEbNS_6TensorES4_S4_lNS_14AccumulateTypeIT0_Lb1EE4typeES8_NS0_13TensorArgTypeES9_S9_EUllE0_EEvNS0_6detail10TensorInfoIT_T1_EESF_NSC_IKS6_SE_EElS8_S8_SE_T6_.has_dyn_sized_stack, 0
	.set _ZN2at4cuda17kernelHistogram1DIfilLi1ELi2ELin1ELNS0_23CUDAHistogramMemoryTypeE0EZNS0_21CUDA_tensor_histogramIfiLb1EEEbNS_6TensorES4_S4_lNS_14AccumulateTypeIT0_Lb1EE4typeES8_NS0_13TensorArgTypeES9_S9_EUllE0_EEvNS0_6detail10TensorInfoIT_T1_EESF_NSC_IKS6_SE_EElS8_S8_SE_T6_.has_recursion, 0
	.set _ZN2at4cuda17kernelHistogram1DIfilLi1ELi2ELin1ELNS0_23CUDAHistogramMemoryTypeE0EZNS0_21CUDA_tensor_histogramIfiLb1EEEbNS_6TensorES4_S4_lNS_14AccumulateTypeIT0_Lb1EE4typeES8_NS0_13TensorArgTypeES9_S9_EUllE0_EEvNS0_6detail10TensorInfoIT_T1_EESF_NSC_IKS6_SE_EElS8_S8_SE_T6_.has_indirect_call, 0
	.section	.AMDGPU.csdata,"",@progbits
; Kernel info:
; codeLenInByte = 2484
; TotalNumSgprs: 55
; NumVgprs: 28
; ScratchSize: 0
; MemoryBound: 0
; FloatMode: 240
; IeeeMode: 1
; LDSByteSize: 0 bytes/workgroup (compile time only)
; SGPRBlocks: 0
; VGPRBlocks: 1
; NumSGPRsForWavesPerEU: 55
; NumVGPRsForWavesPerEU: 28
; NamedBarCnt: 0
; Occupancy: 16
; WaveLimiterHint : 1
; COMPUTE_PGM_RSRC2:SCRATCH_EN: 0
; COMPUTE_PGM_RSRC2:USER_SGPR: 2
; COMPUTE_PGM_RSRC2:TRAP_HANDLER: 0
; COMPUTE_PGM_RSRC2:TGID_X_EN: 1
; COMPUTE_PGM_RSRC2:TGID_Y_EN: 0
; COMPUTE_PGM_RSRC2:TGID_Z_EN: 0
; COMPUTE_PGM_RSRC2:TIDIG_COMP_CNT: 0
	.section	.text._ZN2at4cuda17kernelHistogram1DIfilLi1ELi2ELin1ELNS0_23CUDAHistogramMemoryTypeE1EZNS0_21CUDA_tensor_histogramIfiLb1EEEbNS_6TensorES4_S4_lNS_14AccumulateTypeIT0_Lb1EE4typeES8_NS0_13TensorArgTypeES9_S9_EUllE0_EEvNS0_6detail10TensorInfoIT_T1_EESF_NSC_IKS6_SE_EElS8_S8_SE_T6_,"axG",@progbits,_ZN2at4cuda17kernelHistogram1DIfilLi1ELi2ELin1ELNS0_23CUDAHistogramMemoryTypeE1EZNS0_21CUDA_tensor_histogramIfiLb1EEEbNS_6TensorES4_S4_lNS_14AccumulateTypeIT0_Lb1EE4typeES8_NS0_13TensorArgTypeES9_S9_EUllE0_EEvNS0_6detail10TensorInfoIT_T1_EESF_NSC_IKS6_SE_EElS8_S8_SE_T6_,comdat
	.protected	_ZN2at4cuda17kernelHistogram1DIfilLi1ELi2ELin1ELNS0_23CUDAHistogramMemoryTypeE1EZNS0_21CUDA_tensor_histogramIfiLb1EEEbNS_6TensorES4_S4_lNS_14AccumulateTypeIT0_Lb1EE4typeES8_NS0_13TensorArgTypeES9_S9_EUllE0_EEvNS0_6detail10TensorInfoIT_T1_EESF_NSC_IKS6_SE_EElS8_S8_SE_T6_ ; -- Begin function _ZN2at4cuda17kernelHistogram1DIfilLi1ELi2ELin1ELNS0_23CUDAHistogramMemoryTypeE1EZNS0_21CUDA_tensor_histogramIfiLb1EEEbNS_6TensorES4_S4_lNS_14AccumulateTypeIT0_Lb1EE4typeES8_NS0_13TensorArgTypeES9_S9_EUllE0_EEvNS0_6detail10TensorInfoIT_T1_EESF_NSC_IKS6_SE_EElS8_S8_SE_T6_
	.globl	_ZN2at4cuda17kernelHistogram1DIfilLi1ELi2ELin1ELNS0_23CUDAHistogramMemoryTypeE1EZNS0_21CUDA_tensor_histogramIfiLb1EEEbNS_6TensorES4_S4_lNS_14AccumulateTypeIT0_Lb1EE4typeES8_NS0_13TensorArgTypeES9_S9_EUllE0_EEvNS0_6detail10TensorInfoIT_T1_EESF_NSC_IKS6_SE_EElS8_S8_SE_T6_
	.p2align	8
	.type	_ZN2at4cuda17kernelHistogram1DIfilLi1ELi2ELin1ELNS0_23CUDAHistogramMemoryTypeE1EZNS0_21CUDA_tensor_histogramIfiLb1EEEbNS_6TensorES4_S4_lNS_14AccumulateTypeIT0_Lb1EE4typeES8_NS0_13TensorArgTypeES9_S9_EUllE0_EEvNS0_6detail10TensorInfoIT_T1_EESF_NSC_IKS6_SE_EElS8_S8_SE_T6_,@function
_ZN2at4cuda17kernelHistogram1DIfilLi1ELi2ELin1ELNS0_23CUDAHistogramMemoryTypeE1EZNS0_21CUDA_tensor_histogramIfiLb1EEEbNS_6TensorES4_S4_lNS_14AccumulateTypeIT0_Lb1EE4typeES8_NS0_13TensorArgTypeES9_S9_EUllE0_EEvNS0_6detail10TensorInfoIT_T1_EESF_NSC_IKS6_SE_EElS8_S8_SE_T6_: ; @_ZN2at4cuda17kernelHistogram1DIfilLi1ELi2ELin1ELNS0_23CUDAHistogramMemoryTypeE1EZNS0_21CUDA_tensor_histogramIfiLb1EEEbNS_6TensorES4_S4_lNS_14AccumulateTypeIT0_Lb1EE4typeES8_NS0_13TensorArgTypeES9_S9_EUllE0_EEvNS0_6detail10TensorInfoIT_T1_EESF_NSC_IKS6_SE_EElS8_S8_SE_T6_
; %bb.0:
	s_load_b32 s2, s[0:1], 0x514
	s_bfe_u32 s12, ttmp6, 0x4000c
	s_load_b256 s[4:11], s[0:1], 0x4e0
	s_add_co_i32 s12, s12, 1
	s_and_b32 s3, ttmp6, 15
	s_mul_i32 s12, ttmp9, s12
	s_getreg_b32 s13, hwreg(HW_REG_IB_STS2, 6, 4)
	s_add_co_i32 s3, s3, s12
	v_mov_b32_e32 v2, 0
	s_mov_b32 s12, exec_lo
	s_delay_alu instid0(VALU_DEP_1) | instskip(SKIP_4) | instid1(SALU_CYCLE_1)
	v_mov_b32_e32 v1, v2
	s_wait_kmcnt 0x0
	s_and_b32 s2, s2, 0xffff
	s_cmp_eq_u32 s13, 0
	s_cselect_b32 s3, ttmp9, s3
	v_mad_u32 v0, s3, s2, v0
	s_mov_b32 s3, 0
	s_delay_alu instid0(VALU_DEP_1)
	v_cmpx_gt_i64_e64 s[10:11], v[0:1]
	s_cbranch_execz .LBB27_16
; %bb.1:
	s_load_b32 s28, s[0:1], 0x4d8
	s_add_nc_u64 s[20:21], s[0:1], 0x508
	s_load_b32 s22, s[20:21], 0x0
	s_clause 0x3
	s_load_b64 s[12:13], s[0:1], 0x0
	s_load_b64 s[14:15], s[0:1], 0xd0
	;; [unrolled: 1-line block ×4, first 2 shown]
	s_add_nc_u64 s[26:27], s[0:1], 0x340
	v_mov_b32_e32 v10, 1.0
	s_wait_xcnt 0x0
	s_sub_nc_u64 s[20:21], s[8:9], s[6:7]
	s_mov_b32 s23, s3
	s_mov_b64 s[24:25], 0xffffffff
	s_mov_b32 s40, 0
	s_wait_kmcnt 0x0
	s_mul_i32 s22, s22, s2
	s_cmp_gt_i32 s28, 1
	s_cselect_b32 s1, -1, 0
	s_add_co_i32 s2, s28, -1
	s_add_co_i32 s33, s28, 1
	s_lshl_b64 s[28:29], s[2:3], 3
	s_delay_alu instid0(SALU_CYCLE_1)
	s_add_nc_u64 s[28:29], s[26:27], s[28:29]
	s_ashr_i32 s26, s21, 31
	s_add_nc_u64 s[28:29], s[28:29], 8
	s_branch .LBB27_4
.LBB27_2:                               ;   in Loop: Header=BB27_4 Depth=1
	s_or_b32 exec_lo, exec_lo, s0
	s_delay_alu instid0(VALU_DEP_1) | instskip(NEXT) | instid1(VALU_DEP_1)
	v_dual_ashrrev_i32 v7, 31, v6 :: v_dual_mov_b32 v5, s3
	v_cmp_eq_u64_e32 vcc_lo, s[4:5], v[6:7]
	v_cndmask_b32_e64 v4, 0, 1, vcc_lo
	s_delay_alu instid0(VALU_DEP_1) | instskip(NEXT) | instid1(VALU_DEP_1)
	v_sub_nc_u64_e32 v[4:5], v[6:7], v[4:5]
	v_mul_u64_e32 v[4:5], s[14:15], v[4:5]
	s_delay_alu instid0(VALU_DEP_1)
	v_lshl_add_u64 v[4:5], v[4:5], 2, s[12:13]
	global_atomic_add_f32 v[4:5], v10, off scope:SCOPE_DEV
.LBB27_3:                               ;   in Loop: Header=BB27_4 Depth=1
	s_wait_xcnt 0x0
	s_or_b32 exec_lo, exec_lo, s34
	v_add_nc_u64_e32 v[0:1], s[22:23], v[0:1]
	s_delay_alu instid0(VALU_DEP_1) | instskip(SKIP_1) | instid1(SALU_CYCLE_1)
	v_cmp_le_i64_e32 vcc_lo, s[10:11], v[0:1]
	s_or_b32 s40, vcc_lo, s40
	s_and_not1_b32 exec_lo, exec_lo, s40
	s_cbranch_execz .LBB27_16
.LBB27_4:                               ; =>This Loop Header: Depth=1
                                        ;     Child Loop BB27_5 Depth 2
	v_mov_b64_e32 v[4:5], 0
	v_mov_b64_e32 v[6:7], v[0:1]
	;; [unrolled: 1-line block ×3, first 2 shown]
	s_and_not1_b32 vcc_lo, exec_lo, s1
	s_mov_b64 s[30:31], s[28:29]
	s_mov_b32 s27, s33
	s_cbranch_vccnz .LBB27_11
.LBB27_5:                               ;   Parent Loop BB27_4 Depth=1
                                        ; =>  This Inner Loop Header: Depth=2
	s_load_b64 s[34:35], s[30:31], 0x0
                                        ; implicit-def: $vgpr8_vgpr9
	s_mov_b32 s0, exec_lo
	s_wait_kmcnt 0x0
	s_delay_alu instid0(VALU_DEP_1) | instskip(NEXT) | instid1(VALU_DEP_1)
	v_or_b32_e32 v3, s35, v7
	v_cmpx_ne_u64_e32 0, v[2:3]
	s_xor_b32 s41, exec_lo, s0
	s_cbranch_execz .LBB27_7
; %bb.6:                                ;   in Loop: Header=BB27_5 Depth=2
	s_ashr_i32 s36, s35, 31
	v_dual_mov_b32 v15, v2 :: v_dual_ashrrev_i32 v8, 31, v7
	s_mov_b32 s37, s36
	v_mov_b32_e32 v19, v2
	s_add_nc_u64 s[38:39], s[34:35], s[36:37]
	s_delay_alu instid0(VALU_DEP_2)
	v_mov_b32_e32 v9, v8
	s_xor_b64 s[38:39], s[38:39], s[36:37]
	v_mov_b32_e32 v23, v2
	s_cvt_f32_u32 s0, s38
	s_cvt_f32_u32 s2, s39
	s_sub_nc_u64 s[44:45], 0, s[38:39]
	v_add_nc_u64_e32 v[12:13], v[6:7], v[8:9]
	s_delay_alu instid0(SALU_CYCLE_1) | instskip(NEXT) | instid1(SALU_CYCLE_3)
	s_fmamk_f32 s0, s2, 0x4f800000, s0
	v_s_rcp_f32 s0, s0
	s_delay_alu instid0(VALU_DEP_1) | instskip(NEXT) | instid1(VALU_DEP_2)
	v_xor_b32_e32 v14, v12, v8
	v_xor_b32_e32 v18, v13, v8
	s_delay_alu instid0(TRANS32_DEP_1) | instskip(NEXT) | instid1(SALU_CYCLE_3)
	s_mul_f32 s0, s0, 0x5f7ffffc
	s_mul_f32 s2, s0, 0x2f800000
	s_delay_alu instid0(SALU_CYCLE_3) | instskip(NEXT) | instid1(SALU_CYCLE_3)
	s_trunc_f32 s2, s2
	s_fmamk_f32 s0, s2, 0xcf800000, s0
	s_cvt_u32_f32 s43, s2
	s_delay_alu instid0(SALU_CYCLE_2) | instskip(NEXT) | instid1(SALU_CYCLE_3)
	s_cvt_u32_f32 s42, s0
	s_mul_u64 s[46:47], s[44:45], s[42:43]
	s_delay_alu instid0(SALU_CYCLE_1)
	s_mul_hi_u32 s49, s42, s47
	s_mul_i32 s48, s42, s47
	s_mul_hi_u32 s2, s42, s46
	s_mul_i32 s37, s43, s46
	s_add_nc_u64 s[48:49], s[2:3], s[48:49]
	s_mul_hi_u32 s0, s43, s46
	s_mul_hi_u32 s50, s43, s47
	s_add_co_u32 s2, s48, s37
	s_add_co_ci_u32 s2, s49, s0
	s_mul_i32 s46, s43, s47
	s_add_co_ci_u32 s47, s50, 0
	s_delay_alu instid0(SALU_CYCLE_1) | instskip(NEXT) | instid1(SALU_CYCLE_1)
	s_add_nc_u64 s[46:47], s[2:3], s[46:47]
	s_add_co_u32 s42, s42, s46
	s_cselect_b32 s0, -1, 0
	s_delay_alu instid0(SALU_CYCLE_1) | instskip(SKIP_1) | instid1(SALU_CYCLE_1)
	s_cmp_lg_u32 s0, 0
	s_add_co_ci_u32 s43, s43, s47
	s_mul_u64 s[44:45], s[44:45], s[42:43]
	s_delay_alu instid0(SALU_CYCLE_1)
	s_mul_hi_u32 s47, s42, s45
	s_mul_i32 s46, s42, s45
	s_mul_hi_u32 s2, s42, s44
	s_mul_i32 s37, s43, s44
	s_add_nc_u64 s[46:47], s[2:3], s[46:47]
	s_mul_hi_u32 s0, s43, s44
	s_mul_hi_u32 s48, s43, s45
	s_add_co_u32 s2, s46, s37
	s_add_co_ci_u32 s2, s47, s0
	s_mul_i32 s44, s43, s45
	s_add_co_ci_u32 s45, s48, 0
	s_delay_alu instid0(SALU_CYCLE_1) | instskip(NEXT) | instid1(SALU_CYCLE_1)
	s_add_nc_u64 s[44:45], s[2:3], s[44:45]
	s_add_co_u32 s0, s42, s44
	s_cselect_b32 s2, -1, 0
	v_mul_hi_u32 v22, v14, s0
	s_cmp_lg_u32 s2, 0
	s_add_co_ci_u32 s2, s43, s45
	s_and_b64 s[42:43], s[0:1], s[24:25]
	v_mul_u64_e32 v[16:17], s[2:3], v[14:15]
	v_mul_u64_e32 v[12:13], s[42:43], v[18:19]
	;; [unrolled: 1-line block ×3, first 2 shown]
	s_delay_alu instid0(VALU_DEP_3) | instskip(NEXT) | instid1(VALU_DEP_1)
	v_add_nc_u64_e32 v[16:17], v[22:23], v[16:17]
	v_add_co_u32 v3, vcc_lo, v16, v12
	s_delay_alu instid0(VALU_DEP_2) | instskip(NEXT) | instid1(VALU_DEP_4)
	v_add_co_ci_u32_e32 v22, vcc_lo, v17, v13, vcc_lo
	v_add_co_ci_u32_e32 v21, vcc_lo, 0, v21, vcc_lo
	s_delay_alu instid0(VALU_DEP_1) | instskip(NEXT) | instid1(VALU_DEP_1)
	v_add_nc_u64_e32 v[12:13], v[22:23], v[20:21]
	v_mul_u64_e32 v[16:17], s[38:39], v[12:13]
	s_delay_alu instid0(VALU_DEP_1) | instskip(NEXT) | instid1(VALU_DEP_2)
	v_sub_nc_u32_e32 v3, v18, v17
	v_sub_co_u32 v9, vcc_lo, v14, v16
	s_delay_alu instid0(VALU_DEP_1) | instskip(NEXT) | instid1(VALU_DEP_3)
	v_sub_co_ci_u32_e64 v18, null, v18, v17, vcc_lo
	v_subrev_co_ci_u32_e64 v3, null, s39, v3, vcc_lo
	s_delay_alu instid0(VALU_DEP_3) | instskip(SKIP_1) | instid1(VALU_DEP_3)
	v_sub_co_u32 v11, s0, v9, s38
	v_add_nc_u64_e32 v[16:17], 1, v[12:13]
	v_subrev_co_ci_u32_e64 v3, null, 0, v3, s0
	s_delay_alu instid0(VALU_DEP_3) | instskip(SKIP_1) | instid1(VALU_DEP_3)
	v_cmp_le_u32_e32 vcc_lo, s38, v11
	v_cndmask_b32_e64 v11, 0, -1, vcc_lo
	v_cmp_le_u32_e32 vcc_lo, s39, v3
	v_cndmask_b32_e64 v14, 0, -1, vcc_lo
	;; [unrolled: 2-line block ×4, first 2 shown]
	v_cmp_eq_u32_e32 vcc_lo, s39, v3
	v_cndmask_b32_e32 v3, v14, v11, vcc_lo
	v_cmp_eq_u32_e32 vcc_lo, s39, v18
	v_add_nc_u64_e32 v[14:15], 2, v[12:13]
	v_cndmask_b32_e32 v9, v19, v9, vcc_lo
	s_delay_alu instid0(VALU_DEP_4) | instskip(NEXT) | instid1(VALU_DEP_3)
	v_cmp_ne_u32_e32 vcc_lo, 0, v3
	v_cndmask_b32_e32 v3, v17, v15, vcc_lo
	s_delay_alu instid0(VALU_DEP_3) | instskip(SKIP_1) | instid1(VALU_DEP_1)
	v_cmp_ne_u32_e64 s0, 0, v9
	v_dual_cndmask_b32 v9, v16, v14, vcc_lo :: v_dual_bitop2_b32 v8, s36, v8 bitop3:0x14
	v_dual_cndmask_b32 v3, v13, v3, s0 :: v_dual_cndmask_b32 v11, v12, v9, s0
	s_delay_alu instid0(VALU_DEP_1) | instskip(NEXT) | instid1(VALU_DEP_2)
	v_dual_mov_b32 v9, v8 :: v_dual_bitop2_b32 v13, v3, v8 bitop3:0x14
	v_xor_b32_e32 v12, v11, v8
	s_delay_alu instid0(VALU_DEP_1)
	v_sub_nc_u64_e32 v[8:9], v[12:13], v[8:9]
.LBB27_7:                               ;   in Loop: Header=BB27_5 Depth=2
	s_and_not1_saveexec_b32 s0, s41
	s_cbranch_execz .LBB27_9
; %bb.8:                                ;   in Loop: Header=BB27_5 Depth=2
	v_cvt_f32_u32_e32 v3, s34
	s_sub_co_i32 s2, 0, s34
	s_delay_alu instid0(VALU_DEP_1) | instskip(SKIP_1) | instid1(TRANS32_DEP_1)
	v_rcp_iflag_f32_e32 v3, v3
	v_nop
	v_mul_f32_e32 v3, 0x4f7ffffe, v3
	s_delay_alu instid0(VALU_DEP_1) | instskip(NEXT) | instid1(VALU_DEP_1)
	v_cvt_u32_f32_e32 v3, v3
	v_mul_lo_u32 v8, s2, v3
	s_delay_alu instid0(VALU_DEP_1) | instskip(NEXT) | instid1(VALU_DEP_1)
	v_mul_hi_u32 v8, v3, v8
	v_add_nc_u32_e32 v3, v3, v8
	s_delay_alu instid0(VALU_DEP_1) | instskip(NEXT) | instid1(VALU_DEP_1)
	v_mul_hi_u32 v3, v6, v3
	v_mul_lo_u32 v8, v3, s34
	s_delay_alu instid0(VALU_DEP_1) | instskip(NEXT) | instid1(VALU_DEP_1)
	v_dual_add_nc_u32 v9, 1, v3 :: v_dual_sub_nc_u32 v8, v6, v8
	v_subrev_nc_u32_e32 v11, s34, v8
	v_cmp_le_u32_e32 vcc_lo, s34, v8
	s_delay_alu instid0(VALU_DEP_2) | instskip(NEXT) | instid1(VALU_DEP_1)
	v_dual_cndmask_b32 v8, v8, v11 :: v_dual_cndmask_b32 v3, v3, v9
	v_cmp_le_u32_e32 vcc_lo, s34, v8
	s_delay_alu instid0(VALU_DEP_2) | instskip(NEXT) | instid1(VALU_DEP_1)
	v_add_nc_u32_e32 v9, 1, v3
	v_dual_cndmask_b32 v8, v3, v9 :: v_dual_mov_b32 v9, v2
.LBB27_9:                               ;   in Loop: Header=BB27_5 Depth=2
	s_or_b32 exec_lo, exec_lo, s0
	s_delay_alu instid0(VALU_DEP_1)
	v_mul_u64_e32 v[12:13], s[34:35], v[8:9]
	s_load_b64 s[34:35], s[30:31], 0xc8
	s_add_co_i32 s27, s27, -1
	s_wait_xcnt 0x0
	s_add_nc_u64 s[30:31], s[30:31], -8
	s_cmp_gt_u32 s27, 2
	s_delay_alu instid0(VALU_DEP_1) | instskip(SKIP_1) | instid1(VALU_DEP_1)
	v_sub_nc_u64_e32 v[6:7], v[6:7], v[12:13]
	s_wait_kmcnt 0x0
	v_mad_nc_u64_u32 v[4:5], s34, v6, v[4:5]
	s_delay_alu instid0(VALU_DEP_1) | instskip(NEXT) | instid1(VALU_DEP_1)
	v_mad_u32 v3, s35, v6, v5
	v_mad_u32 v5, s34, v7, v3
	s_cbranch_scc0 .LBB27_11
; %bb.10:                               ;   in Loop: Header=BB27_5 Depth=2
	v_mov_b64_e32 v[6:7], v[8:9]
	s_branch .LBB27_5
.LBB27_11:                              ;   in Loop: Header=BB27_4 Depth=1
	s_delay_alu instid0(VALU_DEP_1) | instskip(NEXT) | instid1(VALU_DEP_1)
	v_mul_u64_e32 v[6:7], s[16:17], v[8:9]
	v_lshl_add_u64 v[6:7], v[6:7], 2, s[18:19]
	s_delay_alu instid0(VALU_DEP_1) | instskip(SKIP_4) | instid1(VALU_DEP_1)
	v_lshl_add_u64 v[4:5], v[4:5], 2, v[6:7]
	global_load_b32 v4, v[4:5], off
	s_wait_loadcnt 0x0
	s_wait_xcnt 0x0
	v_ashrrev_i32_e32 v5, 31, v4
	v_cmp_le_i64_e32 vcc_lo, s[6:7], v[4:5]
	v_cmp_ge_i64_e64 s0, s[8:9], v[4:5]
	s_and_b32 s0, vcc_lo, s0
	s_delay_alu instid0(SALU_CYCLE_1)
	s_and_saveexec_b32 s34, s0
	s_cbranch_execz .LBB27_3
; %bb.12:                               ;   in Loop: Header=BB27_4 Depth=1
	v_sub_nc_u64_e64 v[4:5], v[4:5], s[6:7]
                                        ; implicit-def: $vgpr6_vgpr7
	s_mov_b32 s0, exec_lo
	s_delay_alu instid0(VALU_DEP_1) | instskip(NEXT) | instid1(VALU_DEP_1)
	v_mul_u64_e32 v[4:5], s[4:5], v[4:5]
	v_or_b32_e32 v3, s21, v5
	s_delay_alu instid0(VALU_DEP_1)
	v_cmpx_ne_u64_e32 0, v[2:3]
	s_xor_b32 s35, exec_lo, s0
	s_cbranch_execz .LBB27_14
; %bb.13:                               ;   in Loop: Header=BB27_4 Depth=1
	s_mov_b32 s27, s26
	v_dual_mov_b32 v9, v2 :: v_dual_ashrrev_i32 v6, 31, v5
	s_add_nc_u64 s[30:31], s[20:21], s[26:27]
	v_mov_b32_e32 v19, v2
	s_xor_b64 s[30:31], s[30:31], s[26:27]
	s_delay_alu instid0(VALU_DEP_2) | instskip(SKIP_3) | instid1(VALU_DEP_1)
	v_mov_b32_e32 v7, v6
	s_cvt_f32_u32 s0, s30
	s_cvt_f32_u32 s2, s31
	s_sub_nc_u64 s[38:39], 0, s[30:31]
	v_add_nc_u64_e32 v[4:5], v[4:5], v[6:7]
	s_delay_alu instid0(SALU_CYCLE_1) | instskip(SKIP_1) | instid1(SALU_CYCLE_2)
	s_fmamk_f32 s0, s2, 0x4f800000, s0
	v_mov_b32_e32 v15, v2
	v_s_rcp_f32 s0, s0
	s_delay_alu instid0(VALU_DEP_2) | instskip(NEXT) | instid1(VALU_DEP_3)
	v_xor_b32_e32 v8, v4, v6
	v_xor_b32_e32 v14, v5, v6
	s_delay_alu instid0(TRANS32_DEP_1) | instskip(NEXT) | instid1(SALU_CYCLE_3)
	s_mul_f32 s0, s0, 0x5f7ffffc
	s_mul_f32 s2, s0, 0x2f800000
	s_delay_alu instid0(SALU_CYCLE_3) | instskip(NEXT) | instid1(SALU_CYCLE_3)
	s_trunc_f32 s2, s2
	s_fmamk_f32 s0, s2, 0xcf800000, s0
	s_cvt_u32_f32 s37, s2
	s_delay_alu instid0(SALU_CYCLE_2) | instskip(NEXT) | instid1(SALU_CYCLE_3)
	s_cvt_u32_f32 s36, s0
	s_mul_u64 s[42:43], s[38:39], s[36:37]
	s_delay_alu instid0(SALU_CYCLE_1)
	s_mul_hi_u32 s45, s36, s43
	s_mul_i32 s44, s36, s43
	s_mul_hi_u32 s2, s36, s42
	s_mul_i32 s27, s37, s42
	s_add_nc_u64 s[44:45], s[2:3], s[44:45]
	s_mul_hi_u32 s0, s37, s42
	s_mul_hi_u32 s41, s37, s43
	s_add_co_u32 s2, s44, s27
	s_add_co_ci_u32 s2, s45, s0
	s_mul_i32 s42, s37, s43
	s_add_co_ci_u32 s43, s41, 0
	s_delay_alu instid0(SALU_CYCLE_1) | instskip(NEXT) | instid1(SALU_CYCLE_1)
	s_add_nc_u64 s[42:43], s[2:3], s[42:43]
	s_add_co_u32 s36, s36, s42
	s_cselect_b32 s0, -1, 0
	s_delay_alu instid0(SALU_CYCLE_1) | instskip(SKIP_1) | instid1(SALU_CYCLE_1)
	s_cmp_lg_u32 s0, 0
	s_add_co_ci_u32 s37, s37, s43
	s_mul_u64 s[38:39], s[38:39], s[36:37]
	s_delay_alu instid0(SALU_CYCLE_1)
	s_mul_hi_u32 s43, s36, s39
	s_mul_i32 s42, s36, s39
	s_mul_hi_u32 s2, s36, s38
	s_mul_i32 s27, s37, s38
	s_add_nc_u64 s[42:43], s[2:3], s[42:43]
	s_mul_hi_u32 s0, s37, s38
	s_mul_hi_u32 s41, s37, s39
	s_add_co_u32 s2, s42, s27
	s_add_co_ci_u32 s2, s43, s0
	s_mul_i32 s38, s37, s39
	s_add_co_ci_u32 s39, s41, 0
	s_delay_alu instid0(SALU_CYCLE_1) | instskip(NEXT) | instid1(SALU_CYCLE_1)
	s_add_nc_u64 s[38:39], s[2:3], s[38:39]
	s_add_co_u32 s0, s36, s38
	s_cselect_b32 s2, -1, 0
	v_mul_hi_u32 v18, v8, s0
	s_cmp_lg_u32 s2, 0
	s_add_co_ci_u32 s2, s37, s39
	s_and_b64 s[36:37], s[0:1], s[24:25]
	v_mul_u64_e32 v[12:13], s[2:3], v[8:9]
	v_mul_u64_e32 v[4:5], s[36:37], v[14:15]
	;; [unrolled: 1-line block ×3, first 2 shown]
	s_delay_alu instid0(VALU_DEP_3) | instskip(NEXT) | instid1(VALU_DEP_1)
	v_add_nc_u64_e32 v[12:13], v[18:19], v[12:13]
	v_add_co_u32 v3, vcc_lo, v12, v4
	s_delay_alu instid0(VALU_DEP_2) | instskip(NEXT) | instid1(VALU_DEP_4)
	v_add_co_ci_u32_e32 v18, vcc_lo, v13, v5, vcc_lo
	v_add_co_ci_u32_e32 v17, vcc_lo, 0, v17, vcc_lo
	s_delay_alu instid0(VALU_DEP_1) | instskip(NEXT) | instid1(VALU_DEP_1)
	v_add_nc_u64_e32 v[4:5], v[18:19], v[16:17]
	v_mul_u64_e32 v[12:13], s[30:31], v[4:5]
	s_delay_alu instid0(VALU_DEP_1) | instskip(NEXT) | instid1(VALU_DEP_2)
	v_sub_nc_u32_e32 v3, v14, v13
	v_sub_co_u32 v7, vcc_lo, v8, v12
	s_delay_alu instid0(VALU_DEP_1) | instskip(NEXT) | instid1(VALU_DEP_3)
	v_sub_co_ci_u32_e64 v11, null, v14, v13, vcc_lo
	v_subrev_co_ci_u32_e64 v3, null, s31, v3, vcc_lo
	s_delay_alu instid0(VALU_DEP_3) | instskip(SKIP_1) | instid1(VALU_DEP_3)
	v_sub_co_u32 v8, s0, v7, s30
	v_add_nc_u64_e32 v[12:13], 1, v[4:5]
	v_subrev_co_ci_u32_e64 v3, null, 0, v3, s0
	s_delay_alu instid0(VALU_DEP_3) | instskip(SKIP_1) | instid1(VALU_DEP_3)
	v_cmp_le_u32_e32 vcc_lo, s30, v8
	v_cndmask_b32_e64 v8, 0, -1, vcc_lo
	v_cmp_le_u32_e32 vcc_lo, s31, v3
	v_cndmask_b32_e64 v9, 0, -1, vcc_lo
	;; [unrolled: 2-line block ×4, first 2 shown]
	v_cmp_eq_u32_e32 vcc_lo, s31, v3
	v_cndmask_b32_e32 v3, v9, v8, vcc_lo
	v_cmp_eq_u32_e32 vcc_lo, s31, v11
	v_add_nc_u64_e32 v[8:9], 2, v[4:5]
	v_cndmask_b32_e32 v7, v14, v7, vcc_lo
	s_delay_alu instid0(VALU_DEP_4) | instskip(NEXT) | instid1(VALU_DEP_2)
	v_cmp_ne_u32_e32 vcc_lo, 0, v3
	v_cmp_ne_u32_e64 s0, 0, v7
	s_delay_alu instid0(VALU_DEP_4) | instskip(NEXT) | instid1(VALU_DEP_1)
	v_dual_cndmask_b32 v3, v13, v9, vcc_lo :: v_dual_cndmask_b32 v7, v12, v8, vcc_lo
	v_dual_cndmask_b32 v3, v5, v3, s0 :: v_dual_bitop2_b32 v6, s26, v6 bitop3:0x14
	s_delay_alu instid0(VALU_DEP_1) | instskip(NEXT) | instid1(VALU_DEP_2)
	v_dual_cndmask_b32 v4, v4, v7, s0 :: v_dual_mov_b32 v7, v6
	v_xor_b32_e32 v5, v3, v6
	s_delay_alu instid0(VALU_DEP_2) | instskip(NEXT) | instid1(VALU_DEP_1)
	v_xor_b32_e32 v4, v4, v6
	v_sub_nc_u64_e32 v[6:7], v[4:5], v[6:7]
                                        ; implicit-def: $vgpr4_vgpr5
.LBB27_14:                              ;   in Loop: Header=BB27_4 Depth=1
	s_and_not1_saveexec_b32 s0, s35
	s_cbranch_execz .LBB27_2
; %bb.15:                               ;   in Loop: Header=BB27_4 Depth=1
	v_cvt_f32_u32_e32 v3, s20
	s_sub_co_i32 s2, 0, s20
	s_delay_alu instid0(VALU_DEP_1) | instskip(SKIP_1) | instid1(TRANS32_DEP_1)
	v_rcp_iflag_f32_e32 v3, v3
	v_nop
	v_mul_f32_e32 v3, 0x4f7ffffe, v3
	s_delay_alu instid0(VALU_DEP_1) | instskip(NEXT) | instid1(VALU_DEP_1)
	v_cvt_u32_f32_e32 v3, v3
	v_mul_lo_u32 v5, s2, v3
	s_delay_alu instid0(VALU_DEP_1) | instskip(NEXT) | instid1(VALU_DEP_1)
	v_mul_hi_u32 v5, v3, v5
	v_add_nc_u32_e32 v3, v3, v5
	s_delay_alu instid0(VALU_DEP_1) | instskip(NEXT) | instid1(VALU_DEP_1)
	v_mul_hi_u32 v3, v4, v3
	v_mul_lo_u32 v5, v3, s20
	s_delay_alu instid0(VALU_DEP_1) | instskip(NEXT) | instid1(VALU_DEP_1)
	v_dual_sub_nc_u32 v4, v4, v5 :: v_dual_add_nc_u32 v5, 1, v3
	v_subrev_nc_u32_e32 v6, s20, v4
	v_cmp_le_u32_e32 vcc_lo, s20, v4
	s_delay_alu instid0(VALU_DEP_2) | instskip(NEXT) | instid1(VALU_DEP_1)
	v_dual_cndmask_b32 v4, v4, v6 :: v_dual_cndmask_b32 v3, v3, v5
	v_cmp_le_u32_e32 vcc_lo, s20, v4
	s_delay_alu instid0(VALU_DEP_2) | instskip(NEXT) | instid1(VALU_DEP_1)
	v_add_nc_u32_e32 v5, 1, v3
	v_cndmask_b32_e32 v6, v3, v5, vcc_lo
	s_branch .LBB27_2
.LBB27_16:
	s_endpgm
	.section	.rodata,"a",@progbits
	.p2align	6, 0x0
	.amdhsa_kernel _ZN2at4cuda17kernelHistogram1DIfilLi1ELi2ELin1ELNS0_23CUDAHistogramMemoryTypeE1EZNS0_21CUDA_tensor_histogramIfiLb1EEEbNS_6TensorES4_S4_lNS_14AccumulateTypeIT0_Lb1EE4typeES8_NS0_13TensorArgTypeES9_S9_EUllE0_EEvNS0_6detail10TensorInfoIT_T1_EESF_NSC_IKS6_SE_EElS8_S8_SE_T6_
		.amdhsa_group_segment_fixed_size 0
		.amdhsa_private_segment_fixed_size 0
		.amdhsa_kernarg_size 1544
		.amdhsa_user_sgpr_count 2
		.amdhsa_user_sgpr_dispatch_ptr 0
		.amdhsa_user_sgpr_queue_ptr 0
		.amdhsa_user_sgpr_kernarg_segment_ptr 1
		.amdhsa_user_sgpr_dispatch_id 0
		.amdhsa_user_sgpr_kernarg_preload_length 0
		.amdhsa_user_sgpr_kernarg_preload_offset 0
		.amdhsa_user_sgpr_private_segment_size 0
		.amdhsa_wavefront_size32 1
		.amdhsa_uses_dynamic_stack 0
		.amdhsa_enable_private_segment 0
		.amdhsa_system_sgpr_workgroup_id_x 1
		.amdhsa_system_sgpr_workgroup_id_y 0
		.amdhsa_system_sgpr_workgroup_id_z 0
		.amdhsa_system_sgpr_workgroup_info 0
		.amdhsa_system_vgpr_workitem_id 0
		.amdhsa_next_free_vgpr 24
		.amdhsa_next_free_sgpr 51
		.amdhsa_named_barrier_count 0
		.amdhsa_reserve_vcc 1
		.amdhsa_float_round_mode_32 0
		.amdhsa_float_round_mode_16_64 0
		.amdhsa_float_denorm_mode_32 3
		.amdhsa_float_denorm_mode_16_64 3
		.amdhsa_fp16_overflow 0
		.amdhsa_memory_ordered 1
		.amdhsa_forward_progress 1
		.amdhsa_inst_pref_size 16
		.amdhsa_round_robin_scheduling 0
		.amdhsa_exception_fp_ieee_invalid_op 0
		.amdhsa_exception_fp_denorm_src 0
		.amdhsa_exception_fp_ieee_div_zero 0
		.amdhsa_exception_fp_ieee_overflow 0
		.amdhsa_exception_fp_ieee_underflow 0
		.amdhsa_exception_fp_ieee_inexact 0
		.amdhsa_exception_int_div_zero 0
	.end_amdhsa_kernel
	.section	.text._ZN2at4cuda17kernelHistogram1DIfilLi1ELi2ELin1ELNS0_23CUDAHistogramMemoryTypeE1EZNS0_21CUDA_tensor_histogramIfiLb1EEEbNS_6TensorES4_S4_lNS_14AccumulateTypeIT0_Lb1EE4typeES8_NS0_13TensorArgTypeES9_S9_EUllE0_EEvNS0_6detail10TensorInfoIT_T1_EESF_NSC_IKS6_SE_EElS8_S8_SE_T6_,"axG",@progbits,_ZN2at4cuda17kernelHistogram1DIfilLi1ELi2ELin1ELNS0_23CUDAHistogramMemoryTypeE1EZNS0_21CUDA_tensor_histogramIfiLb1EEEbNS_6TensorES4_S4_lNS_14AccumulateTypeIT0_Lb1EE4typeES8_NS0_13TensorArgTypeES9_S9_EUllE0_EEvNS0_6detail10TensorInfoIT_T1_EESF_NSC_IKS6_SE_EElS8_S8_SE_T6_,comdat
.Lfunc_end27:
	.size	_ZN2at4cuda17kernelHistogram1DIfilLi1ELi2ELin1ELNS0_23CUDAHistogramMemoryTypeE1EZNS0_21CUDA_tensor_histogramIfiLb1EEEbNS_6TensorES4_S4_lNS_14AccumulateTypeIT0_Lb1EE4typeES8_NS0_13TensorArgTypeES9_S9_EUllE0_EEvNS0_6detail10TensorInfoIT_T1_EESF_NSC_IKS6_SE_EElS8_S8_SE_T6_, .Lfunc_end27-_ZN2at4cuda17kernelHistogram1DIfilLi1ELi2ELin1ELNS0_23CUDAHistogramMemoryTypeE1EZNS0_21CUDA_tensor_histogramIfiLb1EEEbNS_6TensorES4_S4_lNS_14AccumulateTypeIT0_Lb1EE4typeES8_NS0_13TensorArgTypeES9_S9_EUllE0_EEvNS0_6detail10TensorInfoIT_T1_EESF_NSC_IKS6_SE_EElS8_S8_SE_T6_
                                        ; -- End function
	.set _ZN2at4cuda17kernelHistogram1DIfilLi1ELi2ELin1ELNS0_23CUDAHistogramMemoryTypeE1EZNS0_21CUDA_tensor_histogramIfiLb1EEEbNS_6TensorES4_S4_lNS_14AccumulateTypeIT0_Lb1EE4typeES8_NS0_13TensorArgTypeES9_S9_EUllE0_EEvNS0_6detail10TensorInfoIT_T1_EESF_NSC_IKS6_SE_EElS8_S8_SE_T6_.num_vgpr, 24
	.set _ZN2at4cuda17kernelHistogram1DIfilLi1ELi2ELin1ELNS0_23CUDAHistogramMemoryTypeE1EZNS0_21CUDA_tensor_histogramIfiLb1EEEbNS_6TensorES4_S4_lNS_14AccumulateTypeIT0_Lb1EE4typeES8_NS0_13TensorArgTypeES9_S9_EUllE0_EEvNS0_6detail10TensorInfoIT_T1_EESF_NSC_IKS6_SE_EElS8_S8_SE_T6_.num_agpr, 0
	.set _ZN2at4cuda17kernelHistogram1DIfilLi1ELi2ELin1ELNS0_23CUDAHistogramMemoryTypeE1EZNS0_21CUDA_tensor_histogramIfiLb1EEEbNS_6TensorES4_S4_lNS_14AccumulateTypeIT0_Lb1EE4typeES8_NS0_13TensorArgTypeES9_S9_EUllE0_EEvNS0_6detail10TensorInfoIT_T1_EESF_NSC_IKS6_SE_EElS8_S8_SE_T6_.numbered_sgpr, 51
	.set _ZN2at4cuda17kernelHistogram1DIfilLi1ELi2ELin1ELNS0_23CUDAHistogramMemoryTypeE1EZNS0_21CUDA_tensor_histogramIfiLb1EEEbNS_6TensorES4_S4_lNS_14AccumulateTypeIT0_Lb1EE4typeES8_NS0_13TensorArgTypeES9_S9_EUllE0_EEvNS0_6detail10TensorInfoIT_T1_EESF_NSC_IKS6_SE_EElS8_S8_SE_T6_.num_named_barrier, 0
	.set _ZN2at4cuda17kernelHistogram1DIfilLi1ELi2ELin1ELNS0_23CUDAHistogramMemoryTypeE1EZNS0_21CUDA_tensor_histogramIfiLb1EEEbNS_6TensorES4_S4_lNS_14AccumulateTypeIT0_Lb1EE4typeES8_NS0_13TensorArgTypeES9_S9_EUllE0_EEvNS0_6detail10TensorInfoIT_T1_EESF_NSC_IKS6_SE_EElS8_S8_SE_T6_.private_seg_size, 0
	.set _ZN2at4cuda17kernelHistogram1DIfilLi1ELi2ELin1ELNS0_23CUDAHistogramMemoryTypeE1EZNS0_21CUDA_tensor_histogramIfiLb1EEEbNS_6TensorES4_S4_lNS_14AccumulateTypeIT0_Lb1EE4typeES8_NS0_13TensorArgTypeES9_S9_EUllE0_EEvNS0_6detail10TensorInfoIT_T1_EESF_NSC_IKS6_SE_EElS8_S8_SE_T6_.uses_vcc, 1
	.set _ZN2at4cuda17kernelHistogram1DIfilLi1ELi2ELin1ELNS0_23CUDAHistogramMemoryTypeE1EZNS0_21CUDA_tensor_histogramIfiLb1EEEbNS_6TensorES4_S4_lNS_14AccumulateTypeIT0_Lb1EE4typeES8_NS0_13TensorArgTypeES9_S9_EUllE0_EEvNS0_6detail10TensorInfoIT_T1_EESF_NSC_IKS6_SE_EElS8_S8_SE_T6_.uses_flat_scratch, 0
	.set _ZN2at4cuda17kernelHistogram1DIfilLi1ELi2ELin1ELNS0_23CUDAHistogramMemoryTypeE1EZNS0_21CUDA_tensor_histogramIfiLb1EEEbNS_6TensorES4_S4_lNS_14AccumulateTypeIT0_Lb1EE4typeES8_NS0_13TensorArgTypeES9_S9_EUllE0_EEvNS0_6detail10TensorInfoIT_T1_EESF_NSC_IKS6_SE_EElS8_S8_SE_T6_.has_dyn_sized_stack, 0
	.set _ZN2at4cuda17kernelHistogram1DIfilLi1ELi2ELin1ELNS0_23CUDAHistogramMemoryTypeE1EZNS0_21CUDA_tensor_histogramIfiLb1EEEbNS_6TensorES4_S4_lNS_14AccumulateTypeIT0_Lb1EE4typeES8_NS0_13TensorArgTypeES9_S9_EUllE0_EEvNS0_6detail10TensorInfoIT_T1_EESF_NSC_IKS6_SE_EElS8_S8_SE_T6_.has_recursion, 0
	.set _ZN2at4cuda17kernelHistogram1DIfilLi1ELi2ELin1ELNS0_23CUDAHistogramMemoryTypeE1EZNS0_21CUDA_tensor_histogramIfiLb1EEEbNS_6TensorES4_S4_lNS_14AccumulateTypeIT0_Lb1EE4typeES8_NS0_13TensorArgTypeES9_S9_EUllE0_EEvNS0_6detail10TensorInfoIT_T1_EESF_NSC_IKS6_SE_EElS8_S8_SE_T6_.has_indirect_call, 0
	.section	.AMDGPU.csdata,"",@progbits
; Kernel info:
; codeLenInByte = 2040
; TotalNumSgprs: 53
; NumVgprs: 24
; ScratchSize: 0
; MemoryBound: 0
; FloatMode: 240
; IeeeMode: 1
; LDSByteSize: 0 bytes/workgroup (compile time only)
; SGPRBlocks: 0
; VGPRBlocks: 1
; NumSGPRsForWavesPerEU: 53
; NumVGPRsForWavesPerEU: 24
; NamedBarCnt: 0
; Occupancy: 16
; WaveLimiterHint : 1
; COMPUTE_PGM_RSRC2:SCRATCH_EN: 0
; COMPUTE_PGM_RSRC2:USER_SGPR: 2
; COMPUTE_PGM_RSRC2:TRAP_HANDLER: 0
; COMPUTE_PGM_RSRC2:TGID_X_EN: 1
; COMPUTE_PGM_RSRC2:TGID_Y_EN: 0
; COMPUTE_PGM_RSRC2:TGID_Z_EN: 0
; COMPUTE_PGM_RSRC2:TIDIG_COMP_CNT: 0
	.section	.text._ZN2at4cuda17kernelHistogram1DIlilLi1ELi2ELin1ELNS0_23CUDAHistogramMemoryTypeE0EZNS0_21CUDA_tensor_histogramIliLb0EEEbNS_6TensorES4_S4_lNS_14AccumulateTypeIT0_Lb1EE4typeES8_NS0_13TensorArgTypeES9_S9_EUllE_EEvNS0_6detail10TensorInfoIT_T1_EESF_NSC_IKS6_SE_EElS8_S8_SE_T6_,"axG",@progbits,_ZN2at4cuda17kernelHistogram1DIlilLi1ELi2ELin1ELNS0_23CUDAHistogramMemoryTypeE0EZNS0_21CUDA_tensor_histogramIliLb0EEEbNS_6TensorES4_S4_lNS_14AccumulateTypeIT0_Lb1EE4typeES8_NS0_13TensorArgTypeES9_S9_EUllE_EEvNS0_6detail10TensorInfoIT_T1_EESF_NSC_IKS6_SE_EElS8_S8_SE_T6_,comdat
	.protected	_ZN2at4cuda17kernelHistogram1DIlilLi1ELi2ELin1ELNS0_23CUDAHistogramMemoryTypeE0EZNS0_21CUDA_tensor_histogramIliLb0EEEbNS_6TensorES4_S4_lNS_14AccumulateTypeIT0_Lb1EE4typeES8_NS0_13TensorArgTypeES9_S9_EUllE_EEvNS0_6detail10TensorInfoIT_T1_EESF_NSC_IKS6_SE_EElS8_S8_SE_T6_ ; -- Begin function _ZN2at4cuda17kernelHistogram1DIlilLi1ELi2ELin1ELNS0_23CUDAHistogramMemoryTypeE0EZNS0_21CUDA_tensor_histogramIliLb0EEEbNS_6TensorES4_S4_lNS_14AccumulateTypeIT0_Lb1EE4typeES8_NS0_13TensorArgTypeES9_S9_EUllE_EEvNS0_6detail10TensorInfoIT_T1_EESF_NSC_IKS6_SE_EElS8_S8_SE_T6_
	.globl	_ZN2at4cuda17kernelHistogram1DIlilLi1ELi2ELin1ELNS0_23CUDAHistogramMemoryTypeE0EZNS0_21CUDA_tensor_histogramIliLb0EEEbNS_6TensorES4_S4_lNS_14AccumulateTypeIT0_Lb1EE4typeES8_NS0_13TensorArgTypeES9_S9_EUllE_EEvNS0_6detail10TensorInfoIT_T1_EESF_NSC_IKS6_SE_EElS8_S8_SE_T6_
	.p2align	8
	.type	_ZN2at4cuda17kernelHistogram1DIlilLi1ELi2ELin1ELNS0_23CUDAHistogramMemoryTypeE0EZNS0_21CUDA_tensor_histogramIliLb0EEEbNS_6TensorES4_S4_lNS_14AccumulateTypeIT0_Lb1EE4typeES8_NS0_13TensorArgTypeES9_S9_EUllE_EEvNS0_6detail10TensorInfoIT_T1_EESF_NSC_IKS6_SE_EElS8_S8_SE_T6_,@function
_ZN2at4cuda17kernelHistogram1DIlilLi1ELi2ELin1ELNS0_23CUDAHistogramMemoryTypeE0EZNS0_21CUDA_tensor_histogramIliLb0EEEbNS_6TensorES4_S4_lNS_14AccumulateTypeIT0_Lb1EE4typeES8_NS0_13TensorArgTypeES9_S9_EUllE_EEvNS0_6detail10TensorInfoIT_T1_EESF_NSC_IKS6_SE_EElS8_S8_SE_T6_: ; @_ZN2at4cuda17kernelHistogram1DIlilLi1ELi2ELin1ELNS0_23CUDAHistogramMemoryTypeE0EZNS0_21CUDA_tensor_histogramIliLb0EEEbNS_6TensorES4_S4_lNS_14AccumulateTypeIT0_Lb1EE4typeES8_NS0_13TensorArgTypeES9_S9_EUllE_EEvNS0_6detail10TensorInfoIT_T1_EESF_NSC_IKS6_SE_EElS8_S8_SE_T6_
; %bb.0:
	s_clause 0x2
	s_load_b128 s[12:15], s[0:1], 0x0
	s_load_b64 s[16:17], s[0:1], 0x500
	s_load_b256 s[4:11], s[0:1], 0x4e0
	v_mov_b32_e32 v1, 0
	s_add_nc_u64 s[28:29], s[0:1], 0x6a0
	s_mov_b32 s3, exec_lo
                                        ; implicit-def: $sgpr18
                                        ; implicit-def: $sgpr19
	s_wait_kmcnt 0x0
	s_delay_alu instid0(VALU_DEP_1)
	v_cmp_gt_i64_e64 s2, s[14:15], v[0:1]
	v_cmpx_le_i64_e64 s[14:15], v[0:1]
	s_xor_b32 s3, exec_lo, s3
	s_cbranch_execz .LBB28_2
; %bb.1:
	s_load_b32 s18, s[28:29], 0xc
	s_wait_kmcnt 0x0
	s_and_b32 s19, s18, 0xffff
.LBB28_2:
	s_or_saveexec_b32 s3, s3
	v_dual_mov_b32 v16, s18 :: v_dual_mov_b32 v15, s19
	v_lshl_add_u32 v14, v0, 3, 0
	s_xor_b32 exec_lo, exec_lo, s3
	s_cbranch_execz .LBB28_6
; %bb.3:
	s_load_b32 s20, s[28:29], 0xc
	v_mov_b64_e32 v[2:3], 0
	v_mov_b64_e32 v[4:5], v[0:1]
	v_lshl_add_u32 v6, v0, 3, 0
	s_mov_b32 s19, 0
	s_delay_alu instid0(SALU_CYCLE_1) | instskip(SKIP_2) | instid1(SALU_CYCLE_1)
	s_mov_b32 s21, s19
	s_wait_kmcnt 0x0
	s_and_b32 s18, s20, 0xffff
	s_lshl_b32 s22, s18, 3
.LBB28_4:                               ; =>This Inner Loop Header: Depth=1
	v_add_nc_u64_e32 v[4:5], s[18:19], v[4:5]
	ds_store_b64 v6, v[2:3]
	v_add_nc_u32_e32 v6, s22, v6
	v_cmp_le_i64_e32 vcc_lo, s[14:15], v[4:5]
	s_or_b32 s21, vcc_lo, s21
	s_delay_alu instid0(SALU_CYCLE_1)
	s_and_not1_b32 exec_lo, exec_lo, s21
	s_cbranch_execnz .LBB28_4
; %bb.5:
	s_or_b32 exec_lo, exec_lo, s21
	v_dual_mov_b32 v16, s20 :: v_dual_mov_b32 v15, s18
.LBB28_6:
	s_or_b32 exec_lo, exec_lo, s3
	s_bfe_u32 s3, ttmp6, 0x4000c
	s_clause 0x1
	s_load_b64 s[18:19], s[0:1], 0xd0
	s_load_b64 s[20:21], s[0:1], 0x5d0
	s_add_co_i32 s3, s3, 1
	s_and_b32 s22, ttmp6, 15
	s_mul_i32 s3, ttmp9, s3
	s_getreg_b32 s23, hwreg(HW_REG_IB_STS2, 6, 4)
	s_add_co_i32 s22, s22, s3
	s_cmp_eq_u32 s23, 0
	v_mov_b32_e32 v4, 0
	s_cselect_b32 s3, ttmp9, s22
	s_mov_b32 s23, 0
	v_mad_u32 v2, s3, v15, v0
	s_mov_b32 s3, exec_lo
	v_mov_b32_e32 v3, v4
	s_wait_dscnt 0x0
	s_barrier_signal -1
	s_barrier_wait -1
	s_delay_alu instid0(VALU_DEP_1)
	v_cmpx_gt_i64_e64 s[10:11], v[2:3]
	s_cbranch_execz .LBB28_22
; %bb.7:
	s_load_b32 s33, s[0:1], 0x4d8
	s_load_b32 s22, s[28:29], 0x0
	s_clause 0x1
	s_load_b64 s[24:25], s[0:1], 0x410
	s_load_b64 s[26:27], s[0:1], 0x340
	s_add_nc_u64 s[34:35], s[0:1], 0x340
	v_mov_b32_e32 v7, v4
	s_wait_xcnt 0x0
	s_sub_nc_u64 s[28:29], s[8:9], s[6:7]
	s_mov_b64 s[30:31], 0xffffffff
	s_mov_b32 s46, 0
	s_wait_kmcnt 0x0
	s_cmp_gt_i32 s33, 1
	v_mul_lo_u32 v6, s22, v15
	s_cselect_b32 s1, -1, 0
	s_add_co_i32 s22, s33, -1
	s_add_co_i32 s33, s33, 1
	s_lshl_b64 s[36:37], s[22:23], 3
	s_delay_alu instid0(SALU_CYCLE_1)
	s_add_nc_u64 s[34:35], s[34:35], s[36:37]
	s_ashr_i32 s36, s29, 31
	s_add_nc_u64 s[34:35], s[34:35], 8
	s_branch .LBB28_10
.LBB28_8:                               ;   in Loop: Header=BB28_10 Depth=1
	s_or_b32 exec_lo, exec_lo, s0
	v_mul_u64_e32 v[8:9], s[20:21], v[2:3]
	s_delay_alu instid0(VALU_DEP_2) | instskip(NEXT) | instid1(VALU_DEP_1)
	v_ashrrev_i32_e32 v11, 31, v10
	v_cmp_eq_u64_e32 vcc_lo, s[4:5], v[10:11]
	v_subrev_co_ci_u32_e64 v5, null, 0, v10, vcc_lo
	s_delay_alu instid0(VALU_DEP_1)
	v_lshl_add_u32 v5, v5, 3, 0
	v_lshl_add_u64 v[8:9], v[8:9], 3, s[16:17]
	global_load_b64 v[8:9], v[8:9], off
	s_wait_loadcnt 0x0
	ds_add_u64 v5, v[8:9]
.LBB28_9:                               ;   in Loop: Header=BB28_10 Depth=1
	s_wait_xcnt 0x0
	s_or_b32 exec_lo, exec_lo, s40
	v_add_nc_u64_e32 v[2:3], v[2:3], v[6:7]
	s_delay_alu instid0(VALU_DEP_1) | instskip(SKIP_1) | instid1(SALU_CYCLE_1)
	v_cmp_le_i64_e32 vcc_lo, s[10:11], v[2:3]
	s_or_b32 s46, vcc_lo, s46
	s_and_not1_b32 exec_lo, exec_lo, s46
	s_cbranch_execz .LBB28_22
.LBB28_10:                              ; =>This Loop Header: Depth=1
                                        ;     Child Loop BB28_11 Depth 2
	v_mov_b64_e32 v[8:9], 0
	v_mov_b64_e32 v[10:11], v[2:3]
	;; [unrolled: 1-line block ×3, first 2 shown]
	s_and_not1_b32 vcc_lo, exec_lo, s1
	s_mov_b64 s[38:39], s[34:35]
	s_mov_b32 s37, s33
	s_cbranch_vccnz .LBB28_17
.LBB28_11:                              ;   Parent Loop BB28_10 Depth=1
                                        ; =>  This Inner Loop Header: Depth=2
	s_load_b64 s[40:41], s[38:39], 0x0
                                        ; implicit-def: $vgpr12_vgpr13
	s_mov_b32 s0, exec_lo
	s_wait_kmcnt 0x0
	s_delay_alu instid0(VALU_DEP_1) | instskip(NEXT) | instid1(VALU_DEP_1)
	v_or_b32_e32 v5, s41, v11
	v_cmpx_ne_u64_e32 0, v[4:5]
	s_xor_b32 s47, exec_lo, s0
	s_cbranch_execz .LBB28_13
; %bb.12:                               ;   in Loop: Header=BB28_11 Depth=2
	s_ashr_i32 s42, s41, 31
	v_dual_mov_b32 v21, v4 :: v_dual_ashrrev_i32 v12, 31, v11
	s_mov_b32 s43, s42
	v_mov_b32_e32 v29, v4
	s_add_nc_u64 s[44:45], s[40:41], s[42:43]
	s_delay_alu instid0(VALU_DEP_2) | instskip(SKIP_1) | instid1(SALU_CYCLE_1)
	v_mov_b32_e32 v13, v12
	s_xor_b64 s[44:45], s[44:45], s[42:43]
	s_cvt_f32_u32 s0, s44
	s_cvt_f32_u32 s22, s45
	s_sub_nc_u64 s[50:51], 0, s[44:45]
	v_add_nc_u64_e32 v[18:19], v[10:11], v[12:13]
	v_mov_b32_e32 v25, v4
	s_fmamk_f32 s0, s22, 0x4f800000, s0
	s_delay_alu instid0(SALU_CYCLE_3) | instskip(NEXT) | instid1(VALU_DEP_2)
	v_s_rcp_f32 s0, s0
	v_xor_b32_e32 v20, v18, v12
	s_delay_alu instid0(VALU_DEP_3) | instskip(SKIP_1) | instid1(TRANS32_DEP_1)
	v_xor_b32_e32 v24, v19, v12
	v_xor_b32_e32 v12, s42, v12
	s_mul_f32 s0, s0, 0x5f7ffffc
	s_delay_alu instid0(SALU_CYCLE_3) | instskip(NEXT) | instid1(SALU_CYCLE_3)
	s_mul_f32 s22, s0, 0x2f800000
	s_trunc_f32 s22, s22
	s_delay_alu instid0(SALU_CYCLE_3) | instskip(SKIP_1) | instid1(SALU_CYCLE_2)
	s_fmamk_f32 s0, s22, 0xcf800000, s0
	s_cvt_u32_f32 s49, s22
	s_cvt_u32_f32 s48, s0
	s_delay_alu instid0(SALU_CYCLE_3) | instskip(NEXT) | instid1(SALU_CYCLE_1)
	s_mul_u64 s[52:53], s[50:51], s[48:49]
	s_mul_hi_u32 s55, s48, s53
	s_mul_i32 s54, s48, s53
	s_mul_hi_u32 s22, s48, s52
	s_mul_i32 s43, s49, s52
	s_add_nc_u64 s[54:55], s[22:23], s[54:55]
	s_mul_hi_u32 s0, s49, s52
	s_mul_hi_u32 s56, s49, s53
	s_add_co_u32 s22, s54, s43
	s_add_co_ci_u32 s22, s55, s0
	s_mul_i32 s52, s49, s53
	s_add_co_ci_u32 s53, s56, 0
	s_delay_alu instid0(SALU_CYCLE_1) | instskip(NEXT) | instid1(SALU_CYCLE_1)
	s_add_nc_u64 s[52:53], s[22:23], s[52:53]
	s_add_co_u32 s48, s48, s52
	s_cselect_b32 s0, -1, 0
	s_delay_alu instid0(SALU_CYCLE_1) | instskip(SKIP_1) | instid1(SALU_CYCLE_1)
	s_cmp_lg_u32 s0, 0
	s_add_co_ci_u32 s49, s49, s53
	s_mul_u64 s[50:51], s[50:51], s[48:49]
	s_delay_alu instid0(SALU_CYCLE_1)
	s_mul_hi_u32 s53, s48, s51
	s_mul_i32 s52, s48, s51
	s_mul_hi_u32 s22, s48, s50
	s_mul_i32 s43, s49, s50
	s_add_nc_u64 s[52:53], s[22:23], s[52:53]
	s_mul_hi_u32 s0, s49, s50
	s_mul_hi_u32 s54, s49, s51
	s_add_co_u32 s22, s52, s43
	s_add_co_ci_u32 s22, s53, s0
	s_mul_i32 s50, s49, s51
	s_add_co_ci_u32 s51, s54, 0
	s_delay_alu instid0(SALU_CYCLE_1) | instskip(NEXT) | instid1(SALU_CYCLE_1)
	s_add_nc_u64 s[50:51], s[22:23], s[50:51]
	s_add_co_u32 s0, s48, s50
	s_cselect_b32 s22, -1, 0
	v_mul_hi_u32 v28, v20, s0
	s_cmp_lg_u32 s22, 0
	s_add_co_ci_u32 s22, s49, s51
	s_and_b64 s[48:49], s[0:1], s[30:31]
	v_mul_u64_e32 v[22:23], s[22:23], v[20:21]
	v_mul_u64_e32 v[18:19], s[48:49], v[24:25]
	;; [unrolled: 1-line block ×3, first 2 shown]
	s_delay_alu instid0(VALU_DEP_3) | instskip(NEXT) | instid1(VALU_DEP_1)
	v_add_nc_u64_e32 v[22:23], v[28:29], v[22:23]
	v_add_co_u32 v5, vcc_lo, v22, v18
	s_delay_alu instid0(VALU_DEP_2) | instskip(NEXT) | instid1(VALU_DEP_4)
	v_add_co_ci_u32_e32 v28, vcc_lo, v23, v19, vcc_lo
	v_add_co_ci_u32_e32 v27, vcc_lo, 0, v27, vcc_lo
	s_delay_alu instid0(VALU_DEP_1) | instskip(NEXT) | instid1(VALU_DEP_1)
	v_add_nc_u64_e32 v[18:19], v[28:29], v[26:27]
	v_mul_u64_e32 v[22:23], s[44:45], v[18:19]
	s_delay_alu instid0(VALU_DEP_1) | instskip(NEXT) | instid1(VALU_DEP_2)
	v_sub_nc_u32_e32 v5, v24, v23
	v_sub_co_u32 v13, vcc_lo, v20, v22
	s_delay_alu instid0(VALU_DEP_1) | instskip(NEXT) | instid1(VALU_DEP_3)
	v_sub_co_ci_u32_e64 v24, null, v24, v23, vcc_lo
	v_subrev_co_ci_u32_e64 v5, null, s45, v5, vcc_lo
	s_delay_alu instid0(VALU_DEP_3) | instskip(SKIP_1) | instid1(VALU_DEP_3)
	v_sub_co_u32 v17, s0, v13, s44
	v_add_nc_u64_e32 v[22:23], 1, v[18:19]
	v_subrev_co_ci_u32_e64 v5, null, 0, v5, s0
	s_delay_alu instid0(VALU_DEP_3) | instskip(SKIP_1) | instid1(VALU_DEP_3)
	v_cmp_le_u32_e32 vcc_lo, s44, v17
	v_cndmask_b32_e64 v17, 0, -1, vcc_lo
	v_cmp_le_u32_e32 vcc_lo, s45, v5
	v_cndmask_b32_e64 v20, 0, -1, vcc_lo
	;; [unrolled: 2-line block ×4, first 2 shown]
	v_cmp_eq_u32_e32 vcc_lo, s45, v5
	v_cndmask_b32_e32 v5, v20, v17, vcc_lo
	v_cmp_eq_u32_e32 vcc_lo, s45, v24
	v_add_nc_u64_e32 v[20:21], 2, v[18:19]
	v_cndmask_b32_e32 v13, v25, v13, vcc_lo
	s_delay_alu instid0(VALU_DEP_4) | instskip(NEXT) | instid1(VALU_DEP_2)
	v_cmp_ne_u32_e32 vcc_lo, 0, v5
	v_cmp_ne_u32_e64 s0, 0, v13
	s_delay_alu instid0(VALU_DEP_4) | instskip(NEXT) | instid1(VALU_DEP_1)
	v_dual_cndmask_b32 v5, v23, v21, vcc_lo :: v_dual_cndmask_b32 v13, v22, v20, vcc_lo
	v_dual_cndmask_b32 v17, v18, v13, s0 :: v_dual_mov_b32 v13, v12
	s_delay_alu instid0(VALU_DEP_1) | instskip(NEXT) | instid1(VALU_DEP_1)
	v_dual_cndmask_b32 v5, v19, v5, s0 :: v_dual_bitop2_b32 v18, v17, v12 bitop3:0x14
	v_xor_b32_e32 v19, v5, v12
	s_delay_alu instid0(VALU_DEP_1)
	v_sub_nc_u64_e32 v[12:13], v[18:19], v[12:13]
.LBB28_13:                              ;   in Loop: Header=BB28_11 Depth=2
	s_and_not1_saveexec_b32 s0, s47
	s_cbranch_execz .LBB28_15
; %bb.14:                               ;   in Loop: Header=BB28_11 Depth=2
	v_cvt_f32_u32_e32 v5, s40
	s_sub_co_i32 s22, 0, s40
	s_delay_alu instid0(VALU_DEP_1) | instskip(SKIP_1) | instid1(TRANS32_DEP_1)
	v_rcp_iflag_f32_e32 v5, v5
	v_nop
	v_mul_f32_e32 v5, 0x4f7ffffe, v5
	s_delay_alu instid0(VALU_DEP_1) | instskip(NEXT) | instid1(VALU_DEP_1)
	v_cvt_u32_f32_e32 v5, v5
	v_mul_lo_u32 v12, s22, v5
	s_delay_alu instid0(VALU_DEP_1) | instskip(NEXT) | instid1(VALU_DEP_1)
	v_mul_hi_u32 v12, v5, v12
	v_add_nc_u32_e32 v5, v5, v12
	s_delay_alu instid0(VALU_DEP_1) | instskip(NEXT) | instid1(VALU_DEP_1)
	v_mul_hi_u32 v5, v10, v5
	v_mul_lo_u32 v12, v5, s40
	s_delay_alu instid0(VALU_DEP_1) | instskip(NEXT) | instid1(VALU_DEP_1)
	v_dual_add_nc_u32 v13, 1, v5 :: v_dual_sub_nc_u32 v12, v10, v12
	v_subrev_nc_u32_e32 v17, s40, v12
	v_cmp_le_u32_e32 vcc_lo, s40, v12
	s_delay_alu instid0(VALU_DEP_2) | instskip(NEXT) | instid1(VALU_DEP_4)
	v_cndmask_b32_e32 v12, v12, v17, vcc_lo
	v_cndmask_b32_e32 v5, v5, v13, vcc_lo
	s_delay_alu instid0(VALU_DEP_2) | instskip(NEXT) | instid1(VALU_DEP_2)
	v_cmp_le_u32_e32 vcc_lo, s40, v12
	v_add_nc_u32_e32 v13, 1, v5
	s_delay_alu instid0(VALU_DEP_1)
	v_dual_cndmask_b32 v12, v5, v13 :: v_dual_mov_b32 v13, v4
.LBB28_15:                              ;   in Loop: Header=BB28_11 Depth=2
	s_or_b32 exec_lo, exec_lo, s0
	s_delay_alu instid0(VALU_DEP_1)
	v_mul_u64_e32 v[18:19], s[40:41], v[12:13]
	s_load_b64 s[40:41], s[38:39], 0xc8
	s_add_co_i32 s37, s37, -1
	s_wait_xcnt 0x0
	s_add_nc_u64 s[38:39], s[38:39], -8
	s_cmp_gt_u32 s37, 2
	s_delay_alu instid0(VALU_DEP_1) | instskip(SKIP_1) | instid1(VALU_DEP_1)
	v_sub_nc_u64_e32 v[10:11], v[10:11], v[18:19]
	s_wait_kmcnt 0x0
	v_mad_nc_u64_u32 v[8:9], s40, v10, v[8:9]
	s_delay_alu instid0(VALU_DEP_1) | instskip(NEXT) | instid1(VALU_DEP_1)
	v_mad_u32 v5, s41, v10, v9
	v_mad_u32 v9, s40, v11, v5
	s_cbranch_scc0 .LBB28_17
; %bb.16:                               ;   in Loop: Header=BB28_11 Depth=2
	v_mov_b64_e32 v[10:11], v[12:13]
	s_branch .LBB28_11
.LBB28_17:                              ;   in Loop: Header=BB28_10 Depth=1
	s_delay_alu instid0(VALU_DEP_1) | instskip(NEXT) | instid1(VALU_DEP_1)
	v_mul_u64_e32 v[10:11], s[24:25], v[12:13]
	v_lshl_add_u64 v[10:11], v[10:11], 2, s[26:27]
	s_delay_alu instid0(VALU_DEP_1) | instskip(SKIP_4) | instid1(VALU_DEP_1)
	v_lshl_add_u64 v[8:9], v[8:9], 2, v[10:11]
	global_load_b32 v8, v[8:9], off
	s_wait_loadcnt 0x0
	s_wait_xcnt 0x0
	v_ashrrev_i32_e32 v9, 31, v8
	v_cmp_le_i64_e32 vcc_lo, s[6:7], v[8:9]
	v_cmp_ge_i64_e64 s0, s[8:9], v[8:9]
	s_and_b32 s0, vcc_lo, s0
	s_delay_alu instid0(SALU_CYCLE_1)
	s_and_saveexec_b32 s40, s0
	s_cbranch_execz .LBB28_9
; %bb.18:                               ;   in Loop: Header=BB28_10 Depth=1
	v_sub_nc_u64_e64 v[8:9], v[8:9], s[6:7]
                                        ; implicit-def: $vgpr10_vgpr11
	s_mov_b32 s0, exec_lo
	s_delay_alu instid0(VALU_DEP_1) | instskip(NEXT) | instid1(VALU_DEP_1)
	v_mul_u64_e32 v[8:9], s[4:5], v[8:9]
	v_or_b32_e32 v5, s29, v9
	s_delay_alu instid0(VALU_DEP_1)
	v_cmpx_ne_u64_e32 0, v[4:5]
	s_xor_b32 s41, exec_lo, s0
	s_cbranch_execz .LBB28_20
; %bb.19:                               ;   in Loop: Header=BB28_10 Depth=1
	s_mov_b32 s37, s36
	v_dual_mov_b32 v13, v4 :: v_dual_ashrrev_i32 v10, 31, v9
	s_add_nc_u64 s[38:39], s[28:29], s[36:37]
	v_mov_b32_e32 v25, v4
	s_xor_b64 s[38:39], s[38:39], s[36:37]
	s_delay_alu instid0(VALU_DEP_2) | instskip(SKIP_3) | instid1(VALU_DEP_1)
	v_mov_b32_e32 v11, v10
	s_cvt_f32_u32 s0, s38
	s_cvt_f32_u32 s22, s39
	s_sub_nc_u64 s[44:45], 0, s[38:39]
	v_add_nc_u64_e32 v[8:9], v[8:9], v[10:11]
	s_delay_alu instid0(SALU_CYCLE_1) | instskip(SKIP_1) | instid1(SALU_CYCLE_2)
	s_fmamk_f32 s0, s22, 0x4f800000, s0
	v_mov_b32_e32 v21, v4
	v_s_rcp_f32 s0, s0
	s_delay_alu instid0(VALU_DEP_2) | instskip(NEXT) | instid1(VALU_DEP_3)
	v_xor_b32_e32 v12, v8, v10
	v_xor_b32_e32 v20, v9, v10
	s_delay_alu instid0(TRANS32_DEP_1) | instskip(NEXT) | instid1(SALU_CYCLE_3)
	s_mul_f32 s0, s0, 0x5f7ffffc
	s_mul_f32 s22, s0, 0x2f800000
	s_delay_alu instid0(SALU_CYCLE_3) | instskip(NEXT) | instid1(SALU_CYCLE_3)
	s_trunc_f32 s22, s22
	s_fmamk_f32 s0, s22, 0xcf800000, s0
	s_cvt_u32_f32 s43, s22
	s_delay_alu instid0(SALU_CYCLE_2) | instskip(NEXT) | instid1(SALU_CYCLE_3)
	s_cvt_u32_f32 s42, s0
	s_mul_u64 s[48:49], s[44:45], s[42:43]
	s_delay_alu instid0(SALU_CYCLE_1)
	s_mul_hi_u32 s51, s42, s49
	s_mul_i32 s50, s42, s49
	s_mul_hi_u32 s22, s42, s48
	s_mul_i32 s37, s43, s48
	s_add_nc_u64 s[50:51], s[22:23], s[50:51]
	s_mul_hi_u32 s0, s43, s48
	s_mul_hi_u32 s47, s43, s49
	s_add_co_u32 s22, s50, s37
	s_add_co_ci_u32 s22, s51, s0
	s_mul_i32 s48, s43, s49
	s_add_co_ci_u32 s49, s47, 0
	s_delay_alu instid0(SALU_CYCLE_1) | instskip(NEXT) | instid1(SALU_CYCLE_1)
	s_add_nc_u64 s[48:49], s[22:23], s[48:49]
	s_add_co_u32 s42, s42, s48
	s_cselect_b32 s0, -1, 0
	s_delay_alu instid0(SALU_CYCLE_1) | instskip(SKIP_1) | instid1(SALU_CYCLE_1)
	s_cmp_lg_u32 s0, 0
	s_add_co_ci_u32 s43, s43, s49
	s_mul_u64 s[44:45], s[44:45], s[42:43]
	s_delay_alu instid0(SALU_CYCLE_1)
	s_mul_hi_u32 s49, s42, s45
	s_mul_i32 s48, s42, s45
	s_mul_hi_u32 s22, s42, s44
	s_mul_i32 s37, s43, s44
	s_add_nc_u64 s[48:49], s[22:23], s[48:49]
	s_mul_hi_u32 s0, s43, s44
	s_mul_hi_u32 s47, s43, s45
	s_add_co_u32 s22, s48, s37
	s_add_co_ci_u32 s22, s49, s0
	s_mul_i32 s44, s43, s45
	s_add_co_ci_u32 s45, s47, 0
	s_delay_alu instid0(SALU_CYCLE_1) | instskip(NEXT) | instid1(SALU_CYCLE_1)
	s_add_nc_u64 s[44:45], s[22:23], s[44:45]
	s_add_co_u32 s0, s42, s44
	s_cselect_b32 s22, -1, 0
	v_mul_hi_u32 v24, v12, s0
	s_cmp_lg_u32 s22, 0
	s_add_co_ci_u32 s22, s43, s45
	s_and_b64 s[42:43], s[0:1], s[30:31]
	v_mul_u64_e32 v[18:19], s[22:23], v[12:13]
	v_mul_u64_e32 v[8:9], s[42:43], v[20:21]
	v_mul_u64_e32 v[22:23], s[22:23], v[20:21]
	s_delay_alu instid0(VALU_DEP_3) | instskip(NEXT) | instid1(VALU_DEP_1)
	v_add_nc_u64_e32 v[18:19], v[24:25], v[18:19]
	v_add_co_u32 v5, vcc_lo, v18, v8
	s_delay_alu instid0(VALU_DEP_2) | instskip(NEXT) | instid1(VALU_DEP_4)
	v_add_co_ci_u32_e32 v24, vcc_lo, v19, v9, vcc_lo
	v_add_co_ci_u32_e32 v23, vcc_lo, 0, v23, vcc_lo
	s_delay_alu instid0(VALU_DEP_1) | instskip(NEXT) | instid1(VALU_DEP_1)
	v_add_nc_u64_e32 v[8:9], v[24:25], v[22:23]
	v_mul_u64_e32 v[18:19], s[38:39], v[8:9]
	s_delay_alu instid0(VALU_DEP_1) | instskip(NEXT) | instid1(VALU_DEP_2)
	v_sub_nc_u32_e32 v5, v20, v19
	v_sub_co_u32 v11, vcc_lo, v12, v18
	s_delay_alu instid0(VALU_DEP_1) | instskip(NEXT) | instid1(VALU_DEP_3)
	v_sub_co_ci_u32_e64 v17, null, v20, v19, vcc_lo
	v_subrev_co_ci_u32_e64 v5, null, s39, v5, vcc_lo
	s_delay_alu instid0(VALU_DEP_3) | instskip(SKIP_1) | instid1(VALU_DEP_3)
	v_sub_co_u32 v12, s0, v11, s38
	v_add_nc_u64_e32 v[18:19], 1, v[8:9]
	v_subrev_co_ci_u32_e64 v5, null, 0, v5, s0
	s_delay_alu instid0(VALU_DEP_3) | instskip(SKIP_1) | instid1(VALU_DEP_3)
	v_cmp_le_u32_e32 vcc_lo, s38, v12
	v_cndmask_b32_e64 v12, 0, -1, vcc_lo
	v_cmp_le_u32_e32 vcc_lo, s39, v5
	v_cndmask_b32_e64 v13, 0, -1, vcc_lo
	;; [unrolled: 2-line block ×4, first 2 shown]
	v_cmp_eq_u32_e32 vcc_lo, s39, v5
	v_cndmask_b32_e32 v5, v13, v12, vcc_lo
	v_cmp_eq_u32_e32 vcc_lo, s39, v17
	v_add_nc_u64_e32 v[12:13], 2, v[8:9]
	v_cndmask_b32_e32 v11, v20, v11, vcc_lo
	s_delay_alu instid0(VALU_DEP_4) | instskip(NEXT) | instid1(VALU_DEP_3)
	v_cmp_ne_u32_e32 vcc_lo, 0, v5
	v_cndmask_b32_e32 v5, v19, v13, vcc_lo
	s_delay_alu instid0(VALU_DEP_3) | instskip(SKIP_1) | instid1(VALU_DEP_1)
	v_cmp_ne_u32_e64 s0, 0, v11
	v_dual_cndmask_b32 v11, v18, v12, vcc_lo :: v_dual_bitop2_b32 v10, s36, v10 bitop3:0x14
	v_dual_cndmask_b32 v5, v9, v5, s0 :: v_dual_cndmask_b32 v8, v8, v11, s0
	s_delay_alu instid0(VALU_DEP_1) | instskip(NEXT) | instid1(VALU_DEP_2)
	v_dual_mov_b32 v11, v10 :: v_dual_bitop2_b32 v9, v5, v10 bitop3:0x14
	v_xor_b32_e32 v8, v8, v10
	s_delay_alu instid0(VALU_DEP_1)
	v_sub_nc_u64_e32 v[10:11], v[8:9], v[10:11]
                                        ; implicit-def: $vgpr8_vgpr9
.LBB28_20:                              ;   in Loop: Header=BB28_10 Depth=1
	s_and_not1_saveexec_b32 s0, s41
	s_cbranch_execz .LBB28_8
; %bb.21:                               ;   in Loop: Header=BB28_10 Depth=1
	v_cvt_f32_u32_e32 v5, s28
	s_sub_co_i32 s22, 0, s28
	s_delay_alu instid0(VALU_DEP_1) | instskip(SKIP_1) | instid1(TRANS32_DEP_1)
	v_rcp_iflag_f32_e32 v5, v5
	v_nop
	v_mul_f32_e32 v5, 0x4f7ffffe, v5
	s_delay_alu instid0(VALU_DEP_1) | instskip(NEXT) | instid1(VALU_DEP_1)
	v_cvt_u32_f32_e32 v5, v5
	v_mul_lo_u32 v9, s22, v5
	s_delay_alu instid0(VALU_DEP_1) | instskip(NEXT) | instid1(VALU_DEP_1)
	v_mul_hi_u32 v9, v5, v9
	v_add_nc_u32_e32 v5, v5, v9
	s_delay_alu instid0(VALU_DEP_1) | instskip(NEXT) | instid1(VALU_DEP_1)
	v_mul_hi_u32 v5, v8, v5
	v_mul_lo_u32 v9, v5, s28
	s_delay_alu instid0(VALU_DEP_1) | instskip(SKIP_1) | instid1(VALU_DEP_2)
	v_sub_nc_u32_e32 v8, v8, v9
	v_add_nc_u32_e32 v9, 1, v5
	v_subrev_nc_u32_e32 v10, s28, v8
	v_cmp_le_u32_e32 vcc_lo, s28, v8
	s_delay_alu instid0(VALU_DEP_2) | instskip(NEXT) | instid1(VALU_DEP_1)
	v_dual_cndmask_b32 v8, v8, v10 :: v_dual_cndmask_b32 v5, v5, v9
	v_cmp_le_u32_e32 vcc_lo, s28, v8
	s_delay_alu instid0(VALU_DEP_2) | instskip(NEXT) | instid1(VALU_DEP_1)
	v_add_nc_u32_e32 v9, 1, v5
	v_cndmask_b32_e32 v10, v5, v9, vcc_lo
	s_branch .LBB28_8
.LBB28_22:
	s_or_b32 exec_lo, exec_lo, s3
; %bb.23:
	s_wait_dscnt 0x0
	s_barrier_signal -1
	s_barrier_wait -1
	s_wait_xcnt 0x0
	s_and_saveexec_b32 s0, s2
	s_cbranch_execz .LBB28_26
; %bb.24:
	s_mov_b32 s0, 0
	v_and_b32_e32 v2, 0xffff, v16
	v_dual_mov_b32 v3, s0 :: v_dual_lshlrev_b32 v8, 3, v15
	s_wait_kmcnt 0x0
	v_mul_u64_e32 v[6:7], s[18:19], v[0:1]
	s_delay_alu instid0(VALU_DEP_2) | instskip(NEXT) | instid1(VALU_DEP_2)
	v_mul_u64_e32 v[4:5], s[18:19], v[2:3]
	v_lshl_add_u64 v[6:7], v[6:7], 3, s[12:13]
	s_delay_alu instid0(VALU_DEP_2)
	v_lshlrev_b64_e32 v[4:5], 3, v[4:5]
.LBB28_25:                              ; =>This Inner Loop Header: Depth=1
	ds_load_b64 v[10:11], v14
	v_add_nc_u64_e32 v[0:1], v[0:1], v[2:3]
	v_add_nc_u32_e32 v14, v14, v8
	s_delay_alu instid0(VALU_DEP_2)
	v_cmp_le_i64_e32 vcc_lo, s[14:15], v[0:1]
	s_or_b32 s0, vcc_lo, s0
	s_wait_dscnt 0x0
	global_atomic_add_u64 v[6:7], v[10:11], off scope:SCOPE_SYS
	s_wait_xcnt 0x0
	v_add_nc_u64_e32 v[6:7], v[6:7], v[4:5]
	s_and_not1_b32 exec_lo, exec_lo, s0
	s_cbranch_execnz .LBB28_25
.LBB28_26:
	s_endpgm
	.section	.rodata,"a",@progbits
	.p2align	6, 0x0
	.amdhsa_kernel _ZN2at4cuda17kernelHistogram1DIlilLi1ELi2ELin1ELNS0_23CUDAHistogramMemoryTypeE0EZNS0_21CUDA_tensor_histogramIliLb0EEEbNS_6TensorES4_S4_lNS_14AccumulateTypeIT0_Lb1EE4typeES8_NS0_13TensorArgTypeES9_S9_EUllE_EEvNS0_6detail10TensorInfoIT_T1_EESF_NSC_IKS6_SE_EElS8_S8_SE_T6_
		.amdhsa_group_segment_fixed_size 0
		.amdhsa_private_segment_fixed_size 0
		.amdhsa_kernarg_size 1952
		.amdhsa_user_sgpr_count 2
		.amdhsa_user_sgpr_dispatch_ptr 0
		.amdhsa_user_sgpr_queue_ptr 0
		.amdhsa_user_sgpr_kernarg_segment_ptr 1
		.amdhsa_user_sgpr_dispatch_id 0
		.amdhsa_user_sgpr_kernarg_preload_length 0
		.amdhsa_user_sgpr_kernarg_preload_offset 0
		.amdhsa_user_sgpr_private_segment_size 0
		.amdhsa_wavefront_size32 1
		.amdhsa_uses_dynamic_stack 0
		.amdhsa_enable_private_segment 0
		.amdhsa_system_sgpr_workgroup_id_x 1
		.amdhsa_system_sgpr_workgroup_id_y 0
		.amdhsa_system_sgpr_workgroup_id_z 0
		.amdhsa_system_sgpr_workgroup_info 0
		.amdhsa_system_vgpr_workitem_id 0
		.amdhsa_next_free_vgpr 30
		.amdhsa_next_free_sgpr 57
		.amdhsa_named_barrier_count 0
		.amdhsa_reserve_vcc 1
		.amdhsa_float_round_mode_32 0
		.amdhsa_float_round_mode_16_64 0
		.amdhsa_float_denorm_mode_32 3
		.amdhsa_float_denorm_mode_16_64 3
		.amdhsa_fp16_overflow 0
		.amdhsa_memory_ordered 1
		.amdhsa_forward_progress 1
		.amdhsa_inst_pref_size 19
		.amdhsa_round_robin_scheduling 0
		.amdhsa_exception_fp_ieee_invalid_op 0
		.amdhsa_exception_fp_denorm_src 0
		.amdhsa_exception_fp_ieee_div_zero 0
		.amdhsa_exception_fp_ieee_overflow 0
		.amdhsa_exception_fp_ieee_underflow 0
		.amdhsa_exception_fp_ieee_inexact 0
		.amdhsa_exception_int_div_zero 0
	.end_amdhsa_kernel
	.section	.text._ZN2at4cuda17kernelHistogram1DIlilLi1ELi2ELin1ELNS0_23CUDAHistogramMemoryTypeE0EZNS0_21CUDA_tensor_histogramIliLb0EEEbNS_6TensorES4_S4_lNS_14AccumulateTypeIT0_Lb1EE4typeES8_NS0_13TensorArgTypeES9_S9_EUllE_EEvNS0_6detail10TensorInfoIT_T1_EESF_NSC_IKS6_SE_EElS8_S8_SE_T6_,"axG",@progbits,_ZN2at4cuda17kernelHistogram1DIlilLi1ELi2ELin1ELNS0_23CUDAHistogramMemoryTypeE0EZNS0_21CUDA_tensor_histogramIliLb0EEEbNS_6TensorES4_S4_lNS_14AccumulateTypeIT0_Lb1EE4typeES8_NS0_13TensorArgTypeES9_S9_EUllE_EEvNS0_6detail10TensorInfoIT_T1_EESF_NSC_IKS6_SE_EElS8_S8_SE_T6_,comdat
.Lfunc_end28:
	.size	_ZN2at4cuda17kernelHistogram1DIlilLi1ELi2ELin1ELNS0_23CUDAHistogramMemoryTypeE0EZNS0_21CUDA_tensor_histogramIliLb0EEEbNS_6TensorES4_S4_lNS_14AccumulateTypeIT0_Lb1EE4typeES8_NS0_13TensorArgTypeES9_S9_EUllE_EEvNS0_6detail10TensorInfoIT_T1_EESF_NSC_IKS6_SE_EElS8_S8_SE_T6_, .Lfunc_end28-_ZN2at4cuda17kernelHistogram1DIlilLi1ELi2ELin1ELNS0_23CUDAHistogramMemoryTypeE0EZNS0_21CUDA_tensor_histogramIliLb0EEEbNS_6TensorES4_S4_lNS_14AccumulateTypeIT0_Lb1EE4typeES8_NS0_13TensorArgTypeES9_S9_EUllE_EEvNS0_6detail10TensorInfoIT_T1_EESF_NSC_IKS6_SE_EElS8_S8_SE_T6_
                                        ; -- End function
	.set _ZN2at4cuda17kernelHistogram1DIlilLi1ELi2ELin1ELNS0_23CUDAHistogramMemoryTypeE0EZNS0_21CUDA_tensor_histogramIliLb0EEEbNS_6TensorES4_S4_lNS_14AccumulateTypeIT0_Lb1EE4typeES8_NS0_13TensorArgTypeES9_S9_EUllE_EEvNS0_6detail10TensorInfoIT_T1_EESF_NSC_IKS6_SE_EElS8_S8_SE_T6_.num_vgpr, 30
	.set _ZN2at4cuda17kernelHistogram1DIlilLi1ELi2ELin1ELNS0_23CUDAHistogramMemoryTypeE0EZNS0_21CUDA_tensor_histogramIliLb0EEEbNS_6TensorES4_S4_lNS_14AccumulateTypeIT0_Lb1EE4typeES8_NS0_13TensorArgTypeES9_S9_EUllE_EEvNS0_6detail10TensorInfoIT_T1_EESF_NSC_IKS6_SE_EElS8_S8_SE_T6_.num_agpr, 0
	.set _ZN2at4cuda17kernelHistogram1DIlilLi1ELi2ELin1ELNS0_23CUDAHistogramMemoryTypeE0EZNS0_21CUDA_tensor_histogramIliLb0EEEbNS_6TensorES4_S4_lNS_14AccumulateTypeIT0_Lb1EE4typeES8_NS0_13TensorArgTypeES9_S9_EUllE_EEvNS0_6detail10TensorInfoIT_T1_EESF_NSC_IKS6_SE_EElS8_S8_SE_T6_.numbered_sgpr, 57
	.set _ZN2at4cuda17kernelHistogram1DIlilLi1ELi2ELin1ELNS0_23CUDAHistogramMemoryTypeE0EZNS0_21CUDA_tensor_histogramIliLb0EEEbNS_6TensorES4_S4_lNS_14AccumulateTypeIT0_Lb1EE4typeES8_NS0_13TensorArgTypeES9_S9_EUllE_EEvNS0_6detail10TensorInfoIT_T1_EESF_NSC_IKS6_SE_EElS8_S8_SE_T6_.num_named_barrier, 0
	.set _ZN2at4cuda17kernelHistogram1DIlilLi1ELi2ELin1ELNS0_23CUDAHistogramMemoryTypeE0EZNS0_21CUDA_tensor_histogramIliLb0EEEbNS_6TensorES4_S4_lNS_14AccumulateTypeIT0_Lb1EE4typeES8_NS0_13TensorArgTypeES9_S9_EUllE_EEvNS0_6detail10TensorInfoIT_T1_EESF_NSC_IKS6_SE_EElS8_S8_SE_T6_.private_seg_size, 0
	.set _ZN2at4cuda17kernelHistogram1DIlilLi1ELi2ELin1ELNS0_23CUDAHistogramMemoryTypeE0EZNS0_21CUDA_tensor_histogramIliLb0EEEbNS_6TensorES4_S4_lNS_14AccumulateTypeIT0_Lb1EE4typeES8_NS0_13TensorArgTypeES9_S9_EUllE_EEvNS0_6detail10TensorInfoIT_T1_EESF_NSC_IKS6_SE_EElS8_S8_SE_T6_.uses_vcc, 1
	.set _ZN2at4cuda17kernelHistogram1DIlilLi1ELi2ELin1ELNS0_23CUDAHistogramMemoryTypeE0EZNS0_21CUDA_tensor_histogramIliLb0EEEbNS_6TensorES4_S4_lNS_14AccumulateTypeIT0_Lb1EE4typeES8_NS0_13TensorArgTypeES9_S9_EUllE_EEvNS0_6detail10TensorInfoIT_T1_EESF_NSC_IKS6_SE_EElS8_S8_SE_T6_.uses_flat_scratch, 0
	.set _ZN2at4cuda17kernelHistogram1DIlilLi1ELi2ELin1ELNS0_23CUDAHistogramMemoryTypeE0EZNS0_21CUDA_tensor_histogramIliLb0EEEbNS_6TensorES4_S4_lNS_14AccumulateTypeIT0_Lb1EE4typeES8_NS0_13TensorArgTypeES9_S9_EUllE_EEvNS0_6detail10TensorInfoIT_T1_EESF_NSC_IKS6_SE_EElS8_S8_SE_T6_.has_dyn_sized_stack, 0
	.set _ZN2at4cuda17kernelHistogram1DIlilLi1ELi2ELin1ELNS0_23CUDAHistogramMemoryTypeE0EZNS0_21CUDA_tensor_histogramIliLb0EEEbNS_6TensorES4_S4_lNS_14AccumulateTypeIT0_Lb1EE4typeES8_NS0_13TensorArgTypeES9_S9_EUllE_EEvNS0_6detail10TensorInfoIT_T1_EESF_NSC_IKS6_SE_EElS8_S8_SE_T6_.has_recursion, 0
	.set _ZN2at4cuda17kernelHistogram1DIlilLi1ELi2ELin1ELNS0_23CUDAHistogramMemoryTypeE0EZNS0_21CUDA_tensor_histogramIliLb0EEEbNS_6TensorES4_S4_lNS_14AccumulateTypeIT0_Lb1EE4typeES8_NS0_13TensorArgTypeES9_S9_EUllE_EEvNS0_6detail10TensorInfoIT_T1_EESF_NSC_IKS6_SE_EElS8_S8_SE_T6_.has_indirect_call, 0
	.section	.AMDGPU.csdata,"",@progbits
; Kernel info:
; codeLenInByte = 2384
; TotalNumSgprs: 59
; NumVgprs: 30
; ScratchSize: 0
; MemoryBound: 0
; FloatMode: 240
; IeeeMode: 1
; LDSByteSize: 0 bytes/workgroup (compile time only)
; SGPRBlocks: 0
; VGPRBlocks: 1
; NumSGPRsForWavesPerEU: 59
; NumVGPRsForWavesPerEU: 30
; NamedBarCnt: 0
; Occupancy: 16
; WaveLimiterHint : 1
; COMPUTE_PGM_RSRC2:SCRATCH_EN: 0
; COMPUTE_PGM_RSRC2:USER_SGPR: 2
; COMPUTE_PGM_RSRC2:TRAP_HANDLER: 0
; COMPUTE_PGM_RSRC2:TGID_X_EN: 1
; COMPUTE_PGM_RSRC2:TGID_Y_EN: 0
; COMPUTE_PGM_RSRC2:TGID_Z_EN: 0
; COMPUTE_PGM_RSRC2:TIDIG_COMP_CNT: 0
	.section	.text._ZN2at4cuda17kernelHistogram1DIlilLi1ELi2ELin1ELNS0_23CUDAHistogramMemoryTypeE1EZNS0_21CUDA_tensor_histogramIliLb0EEEbNS_6TensorES4_S4_lNS_14AccumulateTypeIT0_Lb1EE4typeES8_NS0_13TensorArgTypeES9_S9_EUllE_EEvNS0_6detail10TensorInfoIT_T1_EESF_NSC_IKS6_SE_EElS8_S8_SE_T6_,"axG",@progbits,_ZN2at4cuda17kernelHistogram1DIlilLi1ELi2ELin1ELNS0_23CUDAHistogramMemoryTypeE1EZNS0_21CUDA_tensor_histogramIliLb0EEEbNS_6TensorES4_S4_lNS_14AccumulateTypeIT0_Lb1EE4typeES8_NS0_13TensorArgTypeES9_S9_EUllE_EEvNS0_6detail10TensorInfoIT_T1_EESF_NSC_IKS6_SE_EElS8_S8_SE_T6_,comdat
	.protected	_ZN2at4cuda17kernelHistogram1DIlilLi1ELi2ELin1ELNS0_23CUDAHistogramMemoryTypeE1EZNS0_21CUDA_tensor_histogramIliLb0EEEbNS_6TensorES4_S4_lNS_14AccumulateTypeIT0_Lb1EE4typeES8_NS0_13TensorArgTypeES9_S9_EUllE_EEvNS0_6detail10TensorInfoIT_T1_EESF_NSC_IKS6_SE_EElS8_S8_SE_T6_ ; -- Begin function _ZN2at4cuda17kernelHistogram1DIlilLi1ELi2ELin1ELNS0_23CUDAHistogramMemoryTypeE1EZNS0_21CUDA_tensor_histogramIliLb0EEEbNS_6TensorES4_S4_lNS_14AccumulateTypeIT0_Lb1EE4typeES8_NS0_13TensorArgTypeES9_S9_EUllE_EEvNS0_6detail10TensorInfoIT_T1_EESF_NSC_IKS6_SE_EElS8_S8_SE_T6_
	.globl	_ZN2at4cuda17kernelHistogram1DIlilLi1ELi2ELin1ELNS0_23CUDAHistogramMemoryTypeE1EZNS0_21CUDA_tensor_histogramIliLb0EEEbNS_6TensorES4_S4_lNS_14AccumulateTypeIT0_Lb1EE4typeES8_NS0_13TensorArgTypeES9_S9_EUllE_EEvNS0_6detail10TensorInfoIT_T1_EESF_NSC_IKS6_SE_EElS8_S8_SE_T6_
	.p2align	8
	.type	_ZN2at4cuda17kernelHistogram1DIlilLi1ELi2ELin1ELNS0_23CUDAHistogramMemoryTypeE1EZNS0_21CUDA_tensor_histogramIliLb0EEEbNS_6TensorES4_S4_lNS_14AccumulateTypeIT0_Lb1EE4typeES8_NS0_13TensorArgTypeES9_S9_EUllE_EEvNS0_6detail10TensorInfoIT_T1_EESF_NSC_IKS6_SE_EElS8_S8_SE_T6_,@function
_ZN2at4cuda17kernelHistogram1DIlilLi1ELi2ELin1ELNS0_23CUDAHistogramMemoryTypeE1EZNS0_21CUDA_tensor_histogramIliLb0EEEbNS_6TensorES4_S4_lNS_14AccumulateTypeIT0_Lb1EE4typeES8_NS0_13TensorArgTypeES9_S9_EUllE_EEvNS0_6detail10TensorInfoIT_T1_EESF_NSC_IKS6_SE_EElS8_S8_SE_T6_: ; @_ZN2at4cuda17kernelHistogram1DIlilLi1ELi2ELin1ELNS0_23CUDAHistogramMemoryTypeE1EZNS0_21CUDA_tensor_histogramIliLb0EEEbNS_6TensorES4_S4_lNS_14AccumulateTypeIT0_Lb1EE4typeES8_NS0_13TensorArgTypeES9_S9_EUllE_EEvNS0_6detail10TensorInfoIT_T1_EESF_NSC_IKS6_SE_EElS8_S8_SE_T6_
; %bb.0:
	s_load_b32 s2, s[0:1], 0x6ac
	s_bfe_u32 s12, ttmp6, 0x4000c
	s_load_b256 s[4:11], s[0:1], 0x4e0
	s_add_co_i32 s12, s12, 1
	s_and_b32 s3, ttmp6, 15
	s_mul_i32 s12, ttmp9, s12
	s_getreg_b32 s13, hwreg(HW_REG_IB_STS2, 6, 4)
	s_add_co_i32 s3, s3, s12
	v_mov_b32_e32 v2, 0
	s_mov_b32 s12, exec_lo
	s_delay_alu instid0(VALU_DEP_1) | instskip(SKIP_4) | instid1(SALU_CYCLE_1)
	v_mov_b32_e32 v1, v2
	s_wait_kmcnt 0x0
	s_and_b32 s2, s2, 0xffff
	s_cmp_eq_u32 s13, 0
	s_cselect_b32 s3, ttmp9, s3
	v_mad_u32 v0, s3, s2, v0
	s_mov_b32 s3, 0
	s_delay_alu instid0(VALU_DEP_1)
	v_cmpx_gt_i64_e64 s[10:11], v[0:1]
	s_cbranch_execz .LBB29_16
; %bb.1:
	s_clause 0x1
	s_load_b64 s[12:13], s[0:1], 0x5d0
	s_load_b32 s33, s[0:1], 0x4d8
	s_add_nc_u64 s[24:25], s[0:1], 0x6a0
	s_load_b32 s26, s[24:25], 0x0
	s_clause 0x4
	s_load_b64 s[14:15], s[0:1], 0x500
	s_load_b64 s[16:17], s[0:1], 0x0
	;; [unrolled: 1-line block ×5, first 2 shown]
	s_add_nc_u64 s[30:31], s[0:1], 0x340
	s_wait_xcnt 0x0
	s_sub_nc_u64 s[24:25], s[8:9], s[6:7]
	s_mov_b32 s27, s3
	s_mov_b64 s[28:29], 0xffffffff
	s_mov_b32 s44, 0
	s_wait_kmcnt 0x0
	s_mul_i32 s26, s26, s2
	s_cmp_gt_i32 s33, 1
	s_cselect_b32 s1, -1, 0
	s_add_co_i32 s2, s33, -1
	s_add_co_i32 s33, s33, 1
	s_lshl_b64 s[34:35], s[2:3], 3
	s_delay_alu instid0(SALU_CYCLE_1)
	s_add_nc_u64 s[34:35], s[30:31], s[34:35]
	s_ashr_i32 s30, s25, 31
	s_add_nc_u64 s[34:35], s[34:35], 8
	s_branch .LBB29_4
.LBB29_2:                               ;   in Loop: Header=BB29_4 Depth=1
	s_or_b32 exec_lo, exec_lo, s0
	v_mul_u64_e32 v[4:5], s[12:13], v[0:1]
	s_delay_alu instid0(VALU_DEP_2) | instskip(NEXT) | instid1(VALU_DEP_1)
	v_dual_ashrrev_i32 v7, 31, v6 :: v_dual_mov_b32 v9, s3
	v_cmp_eq_u64_e32 vcc_lo, s[4:5], v[6:7]
	v_cndmask_b32_e64 v8, 0, 1, vcc_lo
	s_delay_alu instid0(VALU_DEP_1) | instskip(NEXT) | instid1(VALU_DEP_1)
	v_sub_nc_u64_e32 v[6:7], v[6:7], v[8:9]
	v_mul_u64_e32 v[6:7], s[18:19], v[6:7]
	v_lshl_add_u64 v[4:5], v[4:5], 3, s[14:15]
	global_load_b64 v[4:5], v[4:5], off
	v_lshl_add_u64 v[6:7], v[6:7], 3, s[16:17]
	s_wait_xcnt 0x0
	s_wait_loadcnt 0x0
	global_atomic_add_u64 v[6:7], v[4:5], off scope:SCOPE_SYS
.LBB29_3:                               ;   in Loop: Header=BB29_4 Depth=1
	s_wait_xcnt 0x0
	s_or_b32 exec_lo, exec_lo, s38
	v_add_nc_u64_e32 v[0:1], s[26:27], v[0:1]
	s_delay_alu instid0(VALU_DEP_1) | instskip(SKIP_1) | instid1(SALU_CYCLE_1)
	v_cmp_le_i64_e32 vcc_lo, s[10:11], v[0:1]
	s_or_b32 s44, vcc_lo, s44
	s_and_not1_b32 exec_lo, exec_lo, s44
	s_cbranch_execz .LBB29_16
.LBB29_4:                               ; =>This Loop Header: Depth=1
                                        ;     Child Loop BB29_5 Depth 2
	v_mov_b64_e32 v[4:5], 0
	v_mov_b64_e32 v[6:7], v[0:1]
	;; [unrolled: 1-line block ×3, first 2 shown]
	s_and_not1_b32 vcc_lo, exec_lo, s1
	s_mov_b64 s[36:37], s[34:35]
	s_mov_b32 s31, s33
	s_cbranch_vccnz .LBB29_11
.LBB29_5:                               ;   Parent Loop BB29_4 Depth=1
                                        ; =>  This Inner Loop Header: Depth=2
	s_load_b64 s[38:39], s[36:37], 0x0
                                        ; implicit-def: $vgpr8_vgpr9
	s_mov_b32 s0, exec_lo
	s_wait_kmcnt 0x0
	s_delay_alu instid0(VALU_DEP_1) | instskip(NEXT) | instid1(VALU_DEP_1)
	v_or_b32_e32 v3, s39, v7
	v_cmpx_ne_u64_e32 0, v[2:3]
	s_xor_b32 s45, exec_lo, s0
	s_cbranch_execz .LBB29_7
; %bb.6:                                ;   in Loop: Header=BB29_5 Depth=2
	s_ashr_i32 s40, s39, 31
	v_dual_mov_b32 v13, v2 :: v_dual_ashrrev_i32 v8, 31, v7
	s_mov_b32 s41, s40
	s_delay_alu instid0(SALU_CYCLE_1) | instskip(NEXT) | instid1(VALU_DEP_1)
	s_add_nc_u64 s[42:43], s[38:39], s[40:41]
	v_mov_b32_e32 v9, v8
	s_xor_b64 s[42:43], s[42:43], s[40:41]
	s_delay_alu instid0(SALU_CYCLE_1)
	s_cvt_f32_u32 s0, s42
	s_cvt_f32_u32 s2, s43
	s_sub_nc_u64 s[48:49], 0, s[42:43]
	v_add_nc_u64_e32 v[10:11], v[6:7], v[8:9]
	v_mov_b32_e32 v17, v2
	s_fmamk_f32 s0, s2, 0x4f800000, s0
	s_delay_alu instid0(SALU_CYCLE_3) | instskip(NEXT) | instid1(VALU_DEP_2)
	v_s_rcp_f32 s0, s0
	v_xor_b32_e32 v12, v10, v8
	s_delay_alu instid0(VALU_DEP_3) | instskip(SKIP_1) | instid1(TRANS32_DEP_1)
	v_dual_mov_b32 v21, v2 :: v_dual_bitop2_b32 v16, v11, v8 bitop3:0x14
	v_xor_b32_e32 v8, s40, v8
	s_mul_f32 s0, s0, 0x5f7ffffc
	s_delay_alu instid0(SALU_CYCLE_3) | instskip(NEXT) | instid1(SALU_CYCLE_3)
	s_mul_f32 s2, s0, 0x2f800000
	s_trunc_f32 s2, s2
	s_delay_alu instid0(SALU_CYCLE_3) | instskip(SKIP_1) | instid1(SALU_CYCLE_2)
	s_fmamk_f32 s0, s2, 0xcf800000, s0
	s_cvt_u32_f32 s47, s2
	s_cvt_u32_f32 s46, s0
	s_delay_alu instid0(SALU_CYCLE_3) | instskip(NEXT) | instid1(SALU_CYCLE_1)
	s_mul_u64 s[50:51], s[48:49], s[46:47]
	s_mul_hi_u32 s53, s46, s51
	s_mul_i32 s52, s46, s51
	s_mul_hi_u32 s2, s46, s50
	s_mul_i32 s41, s47, s50
	s_add_nc_u64 s[52:53], s[2:3], s[52:53]
	s_mul_hi_u32 s0, s47, s50
	s_mul_hi_u32 s54, s47, s51
	s_add_co_u32 s2, s52, s41
	s_add_co_ci_u32 s2, s53, s0
	s_mul_i32 s50, s47, s51
	s_add_co_ci_u32 s51, s54, 0
	s_delay_alu instid0(SALU_CYCLE_1) | instskip(NEXT) | instid1(SALU_CYCLE_1)
	s_add_nc_u64 s[50:51], s[2:3], s[50:51]
	s_add_co_u32 s46, s46, s50
	s_cselect_b32 s0, -1, 0
	s_delay_alu instid0(SALU_CYCLE_1) | instskip(SKIP_1) | instid1(SALU_CYCLE_1)
	s_cmp_lg_u32 s0, 0
	s_add_co_ci_u32 s47, s47, s51
	s_mul_u64 s[48:49], s[48:49], s[46:47]
	s_delay_alu instid0(SALU_CYCLE_1)
	s_mul_hi_u32 s51, s46, s49
	s_mul_i32 s50, s46, s49
	s_mul_hi_u32 s2, s46, s48
	s_mul_i32 s41, s47, s48
	s_add_nc_u64 s[50:51], s[2:3], s[50:51]
	s_mul_hi_u32 s0, s47, s48
	s_mul_hi_u32 s52, s47, s49
	s_add_co_u32 s2, s50, s41
	s_add_co_ci_u32 s2, s51, s0
	s_mul_i32 s48, s47, s49
	s_add_co_ci_u32 s49, s52, 0
	s_delay_alu instid0(SALU_CYCLE_1) | instskip(NEXT) | instid1(SALU_CYCLE_1)
	s_add_nc_u64 s[48:49], s[2:3], s[48:49]
	s_add_co_u32 s0, s46, s48
	s_cselect_b32 s2, -1, 0
	v_mul_hi_u32 v20, v12, s0
	s_cmp_lg_u32 s2, 0
	s_add_co_ci_u32 s2, s47, s49
	s_and_b64 s[46:47], s[0:1], s[28:29]
	v_mul_u64_e32 v[14:15], s[2:3], v[12:13]
	v_mul_u64_e32 v[10:11], s[46:47], v[16:17]
	;; [unrolled: 1-line block ×3, first 2 shown]
	s_delay_alu instid0(VALU_DEP_3) | instskip(NEXT) | instid1(VALU_DEP_1)
	v_add_nc_u64_e32 v[14:15], v[20:21], v[14:15]
	v_add_co_u32 v3, vcc_lo, v14, v10
	s_delay_alu instid0(VALU_DEP_2) | instskip(NEXT) | instid1(VALU_DEP_4)
	v_add_co_ci_u32_e32 v20, vcc_lo, v15, v11, vcc_lo
	v_add_co_ci_u32_e32 v19, vcc_lo, 0, v19, vcc_lo
	s_delay_alu instid0(VALU_DEP_1) | instskip(NEXT) | instid1(VALU_DEP_1)
	v_add_nc_u64_e32 v[10:11], v[20:21], v[18:19]
	v_mul_u64_e32 v[14:15], s[42:43], v[10:11]
	s_delay_alu instid0(VALU_DEP_1) | instskip(NEXT) | instid1(VALU_DEP_2)
	v_sub_nc_u32_e32 v3, v16, v15
	v_sub_co_u32 v9, vcc_lo, v12, v14
	s_delay_alu instid0(VALU_DEP_1) | instskip(NEXT) | instid1(VALU_DEP_3)
	v_sub_co_ci_u32_e64 v16, null, v16, v15, vcc_lo
	v_subrev_co_ci_u32_e64 v3, null, s43, v3, vcc_lo
	s_delay_alu instid0(VALU_DEP_3) | instskip(SKIP_1) | instid1(VALU_DEP_3)
	v_sub_co_u32 v12, s0, v9, s42
	v_add_nc_u64_e32 v[14:15], 1, v[10:11]
	v_subrev_co_ci_u32_e64 v3, null, 0, v3, s0
	s_delay_alu instid0(VALU_DEP_3) | instskip(SKIP_1) | instid1(VALU_DEP_3)
	v_cmp_le_u32_e32 vcc_lo, s42, v12
	v_cndmask_b32_e64 v12, 0, -1, vcc_lo
	v_cmp_le_u32_e32 vcc_lo, s43, v3
	v_cndmask_b32_e64 v13, 0, -1, vcc_lo
	;; [unrolled: 2-line block ×4, first 2 shown]
	v_cmp_eq_u32_e32 vcc_lo, s43, v3
	v_cndmask_b32_e32 v3, v13, v12, vcc_lo
	v_cmp_eq_u32_e32 vcc_lo, s43, v16
	v_add_nc_u64_e32 v[12:13], 2, v[10:11]
	v_cndmask_b32_e32 v9, v17, v9, vcc_lo
	s_delay_alu instid0(VALU_DEP_4) | instskip(NEXT) | instid1(VALU_DEP_2)
	v_cmp_ne_u32_e32 vcc_lo, 0, v3
	v_cmp_ne_u32_e64 s0, 0, v9
	s_delay_alu instid0(VALU_DEP_4) | instskip(NEXT) | instid1(VALU_DEP_1)
	v_dual_cndmask_b32 v3, v15, v13, vcc_lo :: v_dual_cndmask_b32 v9, v14, v12, vcc_lo
	v_dual_cndmask_b32 v10, v10, v9, s0 :: v_dual_mov_b32 v9, v8
	s_delay_alu instid0(VALU_DEP_1) | instskip(NEXT) | instid1(VALU_DEP_1)
	v_dual_cndmask_b32 v3, v11, v3, s0 :: v_dual_bitop2_b32 v10, v10, v8 bitop3:0x14
	v_xor_b32_e32 v11, v3, v8
	s_delay_alu instid0(VALU_DEP_1)
	v_sub_nc_u64_e32 v[8:9], v[10:11], v[8:9]
.LBB29_7:                               ;   in Loop: Header=BB29_5 Depth=2
	s_and_not1_saveexec_b32 s0, s45
	s_cbranch_execz .LBB29_9
; %bb.8:                                ;   in Loop: Header=BB29_5 Depth=2
	v_cvt_f32_u32_e32 v3, s38
	s_sub_co_i32 s2, 0, s38
	s_delay_alu instid0(VALU_DEP_1) | instskip(SKIP_1) | instid1(TRANS32_DEP_1)
	v_rcp_iflag_f32_e32 v3, v3
	v_nop
	v_mul_f32_e32 v3, 0x4f7ffffe, v3
	s_delay_alu instid0(VALU_DEP_1) | instskip(NEXT) | instid1(VALU_DEP_1)
	v_cvt_u32_f32_e32 v3, v3
	v_mul_lo_u32 v8, s2, v3
	s_delay_alu instid0(VALU_DEP_1) | instskip(NEXT) | instid1(VALU_DEP_1)
	v_mul_hi_u32 v8, v3, v8
	v_add_nc_u32_e32 v3, v3, v8
	s_delay_alu instid0(VALU_DEP_1) | instskip(NEXT) | instid1(VALU_DEP_1)
	v_mul_hi_u32 v3, v6, v3
	v_mul_lo_u32 v8, v3, s38
	s_delay_alu instid0(VALU_DEP_1) | instskip(NEXT) | instid1(VALU_DEP_1)
	v_dual_add_nc_u32 v9, 1, v3 :: v_dual_sub_nc_u32 v8, v6, v8
	v_subrev_nc_u32_e32 v10, s38, v8
	v_cmp_le_u32_e32 vcc_lo, s38, v8
	s_delay_alu instid0(VALU_DEP_2) | instskip(NEXT) | instid1(VALU_DEP_1)
	v_dual_cndmask_b32 v8, v8, v10 :: v_dual_cndmask_b32 v3, v3, v9
	v_cmp_le_u32_e32 vcc_lo, s38, v8
	s_delay_alu instid0(VALU_DEP_2) | instskip(NEXT) | instid1(VALU_DEP_1)
	v_add_nc_u32_e32 v9, 1, v3
	v_dual_cndmask_b32 v8, v3, v9 :: v_dual_mov_b32 v9, v2
.LBB29_9:                               ;   in Loop: Header=BB29_5 Depth=2
	s_or_b32 exec_lo, exec_lo, s0
	s_delay_alu instid0(VALU_DEP_1)
	v_mul_u64_e32 v[10:11], s[38:39], v[8:9]
	s_load_b64 s[38:39], s[36:37], 0xc8
	s_add_co_i32 s31, s31, -1
	s_wait_xcnt 0x0
	s_add_nc_u64 s[36:37], s[36:37], -8
	s_cmp_gt_u32 s31, 2
	s_delay_alu instid0(VALU_DEP_1) | instskip(SKIP_1) | instid1(VALU_DEP_1)
	v_sub_nc_u64_e32 v[6:7], v[6:7], v[10:11]
	s_wait_kmcnt 0x0
	v_mad_nc_u64_u32 v[4:5], s38, v6, v[4:5]
	s_delay_alu instid0(VALU_DEP_1) | instskip(NEXT) | instid1(VALU_DEP_1)
	v_mad_u32 v3, s39, v6, v5
	v_mad_u32 v5, s38, v7, v3
	s_cbranch_scc0 .LBB29_11
; %bb.10:                               ;   in Loop: Header=BB29_5 Depth=2
	v_mov_b64_e32 v[6:7], v[8:9]
	s_branch .LBB29_5
.LBB29_11:                              ;   in Loop: Header=BB29_4 Depth=1
	s_delay_alu instid0(VALU_DEP_1) | instskip(NEXT) | instid1(VALU_DEP_1)
	v_mul_u64_e32 v[6:7], s[20:21], v[8:9]
	v_lshl_add_u64 v[6:7], v[6:7], 2, s[22:23]
	s_delay_alu instid0(VALU_DEP_1) | instskip(SKIP_4) | instid1(VALU_DEP_1)
	v_lshl_add_u64 v[4:5], v[4:5], 2, v[6:7]
	global_load_b32 v4, v[4:5], off
	s_wait_loadcnt 0x0
	s_wait_xcnt 0x0
	v_ashrrev_i32_e32 v5, 31, v4
	v_cmp_le_i64_e32 vcc_lo, s[6:7], v[4:5]
	v_cmp_ge_i64_e64 s0, s[8:9], v[4:5]
	s_and_b32 s0, vcc_lo, s0
	s_delay_alu instid0(SALU_CYCLE_1)
	s_and_saveexec_b32 s38, s0
	s_cbranch_execz .LBB29_3
; %bb.12:                               ;   in Loop: Header=BB29_4 Depth=1
	v_sub_nc_u64_e64 v[4:5], v[4:5], s[6:7]
                                        ; implicit-def: $vgpr6_vgpr7
	s_mov_b32 s0, exec_lo
	s_delay_alu instid0(VALU_DEP_1) | instskip(NEXT) | instid1(VALU_DEP_1)
	v_mul_u64_e32 v[4:5], s[4:5], v[4:5]
	v_or_b32_e32 v3, s25, v5
	s_delay_alu instid0(VALU_DEP_1)
	v_cmpx_ne_u64_e32 0, v[2:3]
	s_xor_b32 s39, exec_lo, s0
	s_cbranch_execz .LBB29_14
; %bb.13:                               ;   in Loop: Header=BB29_4 Depth=1
	s_mov_b32 s31, s30
	v_dual_mov_b32 v9, v2 :: v_dual_ashrrev_i32 v6, 31, v5
	s_add_nc_u64 s[36:37], s[24:25], s[30:31]
	s_delay_alu instid0(SALU_CYCLE_1) | instskip(NEXT) | instid1(VALU_DEP_1)
	s_xor_b64 s[36:37], s[36:37], s[30:31]
	v_mov_b32_e32 v7, v6
	s_cvt_f32_u32 s0, s36
	s_cvt_f32_u32 s2, s37
	s_sub_nc_u64 s[42:43], 0, s[36:37]
	s_delay_alu instid0(VALU_DEP_1) | instskip(NEXT) | instid1(SALU_CYCLE_1)
	v_add_nc_u64_e32 v[4:5], v[4:5], v[6:7]
	s_fmamk_f32 s0, s2, 0x4f800000, s0
	v_mov_b32_e32 v13, v2
	s_delay_alu instid0(SALU_CYCLE_2) | instskip(NEXT) | instid1(VALU_DEP_2)
	v_s_rcp_f32 s0, s0
	v_xor_b32_e32 v8, v4, v6
	s_delay_alu instid0(VALU_DEP_3) | instskip(NEXT) | instid1(TRANS32_DEP_1)
	v_dual_mov_b32 v17, v2 :: v_dual_bitop2_b32 v12, v5, v6 bitop3:0x14
	s_mul_f32 s0, s0, 0x5f7ffffc
	s_delay_alu instid0(SALU_CYCLE_3) | instskip(NEXT) | instid1(SALU_CYCLE_3)
	s_mul_f32 s2, s0, 0x2f800000
	s_trunc_f32 s2, s2
	s_delay_alu instid0(SALU_CYCLE_3) | instskip(SKIP_1) | instid1(SALU_CYCLE_2)
	s_fmamk_f32 s0, s2, 0xcf800000, s0
	s_cvt_u32_f32 s41, s2
	s_cvt_u32_f32 s40, s0
	s_delay_alu instid0(SALU_CYCLE_3) | instskip(NEXT) | instid1(SALU_CYCLE_1)
	s_mul_u64 s[46:47], s[42:43], s[40:41]
	s_mul_hi_u32 s49, s40, s47
	s_mul_i32 s48, s40, s47
	s_mul_hi_u32 s2, s40, s46
	s_mul_i32 s31, s41, s46
	s_add_nc_u64 s[48:49], s[2:3], s[48:49]
	s_mul_hi_u32 s0, s41, s46
	s_mul_hi_u32 s45, s41, s47
	s_add_co_u32 s2, s48, s31
	s_add_co_ci_u32 s2, s49, s0
	s_mul_i32 s46, s41, s47
	s_add_co_ci_u32 s47, s45, 0
	s_delay_alu instid0(SALU_CYCLE_1) | instskip(NEXT) | instid1(SALU_CYCLE_1)
	s_add_nc_u64 s[46:47], s[2:3], s[46:47]
	s_add_co_u32 s40, s40, s46
	s_cselect_b32 s0, -1, 0
	s_delay_alu instid0(SALU_CYCLE_1) | instskip(SKIP_1) | instid1(SALU_CYCLE_1)
	s_cmp_lg_u32 s0, 0
	s_add_co_ci_u32 s41, s41, s47
	s_mul_u64 s[42:43], s[42:43], s[40:41]
	s_delay_alu instid0(SALU_CYCLE_1)
	s_mul_hi_u32 s47, s40, s43
	s_mul_i32 s46, s40, s43
	s_mul_hi_u32 s2, s40, s42
	s_mul_i32 s31, s41, s42
	s_add_nc_u64 s[46:47], s[2:3], s[46:47]
	s_mul_hi_u32 s0, s41, s42
	s_mul_hi_u32 s45, s41, s43
	s_add_co_u32 s2, s46, s31
	s_add_co_ci_u32 s2, s47, s0
	s_mul_i32 s42, s41, s43
	s_add_co_ci_u32 s43, s45, 0
	s_delay_alu instid0(SALU_CYCLE_1) | instskip(NEXT) | instid1(SALU_CYCLE_1)
	s_add_nc_u64 s[42:43], s[2:3], s[42:43]
	s_add_co_u32 s0, s40, s42
	s_cselect_b32 s2, -1, 0
	v_mul_hi_u32 v16, v8, s0
	s_cmp_lg_u32 s2, 0
	s_add_co_ci_u32 s2, s41, s43
	s_and_b64 s[40:41], s[0:1], s[28:29]
	v_mul_u64_e32 v[10:11], s[2:3], v[8:9]
	v_mul_u64_e32 v[4:5], s[40:41], v[12:13]
	;; [unrolled: 1-line block ×3, first 2 shown]
	s_delay_alu instid0(VALU_DEP_3) | instskip(NEXT) | instid1(VALU_DEP_1)
	v_add_nc_u64_e32 v[10:11], v[16:17], v[10:11]
	v_add_co_u32 v3, vcc_lo, v10, v4
	s_delay_alu instid0(VALU_DEP_2) | instskip(NEXT) | instid1(VALU_DEP_4)
	v_add_co_ci_u32_e32 v16, vcc_lo, v11, v5, vcc_lo
	v_add_co_ci_u32_e32 v15, vcc_lo, 0, v15, vcc_lo
	s_delay_alu instid0(VALU_DEP_1) | instskip(NEXT) | instid1(VALU_DEP_1)
	v_add_nc_u64_e32 v[4:5], v[16:17], v[14:15]
	v_mul_u64_e32 v[10:11], s[36:37], v[4:5]
	s_delay_alu instid0(VALU_DEP_1) | instskip(NEXT) | instid1(VALU_DEP_2)
	v_sub_nc_u32_e32 v3, v12, v11
	v_sub_co_u32 v7, vcc_lo, v8, v10
	s_delay_alu instid0(VALU_DEP_1) | instskip(NEXT) | instid1(VALU_DEP_3)
	v_sub_co_ci_u32_e64 v12, null, v12, v11, vcc_lo
	v_subrev_co_ci_u32_e64 v3, null, s37, v3, vcc_lo
	s_delay_alu instid0(VALU_DEP_3) | instskip(SKIP_1) | instid1(VALU_DEP_3)
	v_sub_co_u32 v8, s0, v7, s36
	v_add_nc_u64_e32 v[10:11], 1, v[4:5]
	v_subrev_co_ci_u32_e64 v3, null, 0, v3, s0
	s_delay_alu instid0(VALU_DEP_3) | instskip(SKIP_1) | instid1(VALU_DEP_3)
	v_cmp_le_u32_e32 vcc_lo, s36, v8
	v_cndmask_b32_e64 v8, 0, -1, vcc_lo
	v_cmp_le_u32_e32 vcc_lo, s37, v3
	v_cndmask_b32_e64 v9, 0, -1, vcc_lo
	;; [unrolled: 2-line block ×4, first 2 shown]
	v_cmp_eq_u32_e32 vcc_lo, s37, v3
	v_cndmask_b32_e32 v3, v9, v8, vcc_lo
	v_cmp_eq_u32_e32 vcc_lo, s37, v12
	v_add_nc_u64_e32 v[8:9], 2, v[4:5]
	v_cndmask_b32_e32 v7, v13, v7, vcc_lo
	s_delay_alu instid0(VALU_DEP_4) | instskip(NEXT) | instid1(VALU_DEP_3)
	v_cmp_ne_u32_e32 vcc_lo, 0, v3
	v_cndmask_b32_e32 v3, v11, v9, vcc_lo
	s_delay_alu instid0(VALU_DEP_3) | instskip(SKIP_1) | instid1(VALU_DEP_2)
	v_cmp_ne_u32_e64 s0, 0, v7
	v_dual_cndmask_b32 v7, v10, v8, vcc_lo :: v_dual_bitop2_b32 v6, s30, v6 bitop3:0x14
	v_cndmask_b32_e64 v3, v5, v3, s0
	s_delay_alu instid0(VALU_DEP_2) | instskip(NEXT) | instid1(VALU_DEP_2)
	v_dual_cndmask_b32 v4, v4, v7, s0 :: v_dual_mov_b32 v7, v6
	v_xor_b32_e32 v5, v3, v6
	s_delay_alu instid0(VALU_DEP_2) | instskip(NEXT) | instid1(VALU_DEP_1)
	v_xor_b32_e32 v4, v4, v6
	v_sub_nc_u64_e32 v[6:7], v[4:5], v[6:7]
                                        ; implicit-def: $vgpr4_vgpr5
.LBB29_14:                              ;   in Loop: Header=BB29_4 Depth=1
	s_and_not1_saveexec_b32 s0, s39
	s_cbranch_execz .LBB29_2
; %bb.15:                               ;   in Loop: Header=BB29_4 Depth=1
	v_cvt_f32_u32_e32 v3, s24
	s_sub_co_i32 s2, 0, s24
	s_delay_alu instid0(VALU_DEP_1) | instskip(SKIP_1) | instid1(TRANS32_DEP_1)
	v_rcp_iflag_f32_e32 v3, v3
	v_nop
	v_mul_f32_e32 v3, 0x4f7ffffe, v3
	s_delay_alu instid0(VALU_DEP_1) | instskip(NEXT) | instid1(VALU_DEP_1)
	v_cvt_u32_f32_e32 v3, v3
	v_mul_lo_u32 v5, s2, v3
	s_delay_alu instid0(VALU_DEP_1) | instskip(NEXT) | instid1(VALU_DEP_1)
	v_mul_hi_u32 v5, v3, v5
	v_add_nc_u32_e32 v3, v3, v5
	s_delay_alu instid0(VALU_DEP_1) | instskip(NEXT) | instid1(VALU_DEP_1)
	v_mul_hi_u32 v3, v4, v3
	v_mul_lo_u32 v5, v3, s24
	s_delay_alu instid0(VALU_DEP_1) | instskip(NEXT) | instid1(VALU_DEP_1)
	v_dual_sub_nc_u32 v4, v4, v5 :: v_dual_add_nc_u32 v5, 1, v3
	v_subrev_nc_u32_e32 v6, s24, v4
	v_cmp_le_u32_e32 vcc_lo, s24, v4
	s_delay_alu instid0(VALU_DEP_2) | instskip(NEXT) | instid1(VALU_DEP_1)
	v_dual_cndmask_b32 v4, v4, v6 :: v_dual_cndmask_b32 v3, v3, v5
	v_cmp_le_u32_e32 vcc_lo, s24, v4
	s_delay_alu instid0(VALU_DEP_2) | instskip(NEXT) | instid1(VALU_DEP_1)
	v_add_nc_u32_e32 v5, 1, v3
	v_cndmask_b32_e32 v6, v3, v5, vcc_lo
	s_branch .LBB29_2
.LBB29_16:
	s_endpgm
	.section	.rodata,"a",@progbits
	.p2align	6, 0x0
	.amdhsa_kernel _ZN2at4cuda17kernelHistogram1DIlilLi1ELi2ELin1ELNS0_23CUDAHistogramMemoryTypeE1EZNS0_21CUDA_tensor_histogramIliLb0EEEbNS_6TensorES4_S4_lNS_14AccumulateTypeIT0_Lb1EE4typeES8_NS0_13TensorArgTypeES9_S9_EUllE_EEvNS0_6detail10TensorInfoIT_T1_EESF_NSC_IKS6_SE_EElS8_S8_SE_T6_
		.amdhsa_group_segment_fixed_size 0
		.amdhsa_private_segment_fixed_size 0
		.amdhsa_kernarg_size 1952
		.amdhsa_user_sgpr_count 2
		.amdhsa_user_sgpr_dispatch_ptr 0
		.amdhsa_user_sgpr_queue_ptr 0
		.amdhsa_user_sgpr_kernarg_segment_ptr 1
		.amdhsa_user_sgpr_dispatch_id 0
		.amdhsa_user_sgpr_kernarg_preload_length 0
		.amdhsa_user_sgpr_kernarg_preload_offset 0
		.amdhsa_user_sgpr_private_segment_size 0
		.amdhsa_wavefront_size32 1
		.amdhsa_uses_dynamic_stack 0
		.amdhsa_enable_private_segment 0
		.amdhsa_system_sgpr_workgroup_id_x 1
		.amdhsa_system_sgpr_workgroup_id_y 0
		.amdhsa_system_sgpr_workgroup_id_z 0
		.amdhsa_system_sgpr_workgroup_info 0
		.amdhsa_system_vgpr_workitem_id 0
		.amdhsa_next_free_vgpr 22
		.amdhsa_next_free_sgpr 55
		.amdhsa_named_barrier_count 0
		.amdhsa_reserve_vcc 1
		.amdhsa_float_round_mode_32 0
		.amdhsa_float_round_mode_16_64 0
		.amdhsa_float_denorm_mode_32 3
		.amdhsa_float_denorm_mode_16_64 3
		.amdhsa_fp16_overflow 0
		.amdhsa_memory_ordered 1
		.amdhsa_forward_progress 1
		.amdhsa_inst_pref_size 17
		.amdhsa_round_robin_scheduling 0
		.amdhsa_exception_fp_ieee_invalid_op 0
		.amdhsa_exception_fp_denorm_src 0
		.amdhsa_exception_fp_ieee_div_zero 0
		.amdhsa_exception_fp_ieee_overflow 0
		.amdhsa_exception_fp_ieee_underflow 0
		.amdhsa_exception_fp_ieee_inexact 0
		.amdhsa_exception_int_div_zero 0
	.end_amdhsa_kernel
	.section	.text._ZN2at4cuda17kernelHistogram1DIlilLi1ELi2ELin1ELNS0_23CUDAHistogramMemoryTypeE1EZNS0_21CUDA_tensor_histogramIliLb0EEEbNS_6TensorES4_S4_lNS_14AccumulateTypeIT0_Lb1EE4typeES8_NS0_13TensorArgTypeES9_S9_EUllE_EEvNS0_6detail10TensorInfoIT_T1_EESF_NSC_IKS6_SE_EElS8_S8_SE_T6_,"axG",@progbits,_ZN2at4cuda17kernelHistogram1DIlilLi1ELi2ELin1ELNS0_23CUDAHistogramMemoryTypeE1EZNS0_21CUDA_tensor_histogramIliLb0EEEbNS_6TensorES4_S4_lNS_14AccumulateTypeIT0_Lb1EE4typeES8_NS0_13TensorArgTypeES9_S9_EUllE_EEvNS0_6detail10TensorInfoIT_T1_EESF_NSC_IKS6_SE_EElS8_S8_SE_T6_,comdat
.Lfunc_end29:
	.size	_ZN2at4cuda17kernelHistogram1DIlilLi1ELi2ELin1ELNS0_23CUDAHistogramMemoryTypeE1EZNS0_21CUDA_tensor_histogramIliLb0EEEbNS_6TensorES4_S4_lNS_14AccumulateTypeIT0_Lb1EE4typeES8_NS0_13TensorArgTypeES9_S9_EUllE_EEvNS0_6detail10TensorInfoIT_T1_EESF_NSC_IKS6_SE_EElS8_S8_SE_T6_, .Lfunc_end29-_ZN2at4cuda17kernelHistogram1DIlilLi1ELi2ELin1ELNS0_23CUDAHistogramMemoryTypeE1EZNS0_21CUDA_tensor_histogramIliLb0EEEbNS_6TensorES4_S4_lNS_14AccumulateTypeIT0_Lb1EE4typeES8_NS0_13TensorArgTypeES9_S9_EUllE_EEvNS0_6detail10TensorInfoIT_T1_EESF_NSC_IKS6_SE_EElS8_S8_SE_T6_
                                        ; -- End function
	.set _ZN2at4cuda17kernelHistogram1DIlilLi1ELi2ELin1ELNS0_23CUDAHistogramMemoryTypeE1EZNS0_21CUDA_tensor_histogramIliLb0EEEbNS_6TensorES4_S4_lNS_14AccumulateTypeIT0_Lb1EE4typeES8_NS0_13TensorArgTypeES9_S9_EUllE_EEvNS0_6detail10TensorInfoIT_T1_EESF_NSC_IKS6_SE_EElS8_S8_SE_T6_.num_vgpr, 22
	.set _ZN2at4cuda17kernelHistogram1DIlilLi1ELi2ELin1ELNS0_23CUDAHistogramMemoryTypeE1EZNS0_21CUDA_tensor_histogramIliLb0EEEbNS_6TensorES4_S4_lNS_14AccumulateTypeIT0_Lb1EE4typeES8_NS0_13TensorArgTypeES9_S9_EUllE_EEvNS0_6detail10TensorInfoIT_T1_EESF_NSC_IKS6_SE_EElS8_S8_SE_T6_.num_agpr, 0
	.set _ZN2at4cuda17kernelHistogram1DIlilLi1ELi2ELin1ELNS0_23CUDAHistogramMemoryTypeE1EZNS0_21CUDA_tensor_histogramIliLb0EEEbNS_6TensorES4_S4_lNS_14AccumulateTypeIT0_Lb1EE4typeES8_NS0_13TensorArgTypeES9_S9_EUllE_EEvNS0_6detail10TensorInfoIT_T1_EESF_NSC_IKS6_SE_EElS8_S8_SE_T6_.numbered_sgpr, 55
	.set _ZN2at4cuda17kernelHistogram1DIlilLi1ELi2ELin1ELNS0_23CUDAHistogramMemoryTypeE1EZNS0_21CUDA_tensor_histogramIliLb0EEEbNS_6TensorES4_S4_lNS_14AccumulateTypeIT0_Lb1EE4typeES8_NS0_13TensorArgTypeES9_S9_EUllE_EEvNS0_6detail10TensorInfoIT_T1_EESF_NSC_IKS6_SE_EElS8_S8_SE_T6_.num_named_barrier, 0
	.set _ZN2at4cuda17kernelHistogram1DIlilLi1ELi2ELin1ELNS0_23CUDAHistogramMemoryTypeE1EZNS0_21CUDA_tensor_histogramIliLb0EEEbNS_6TensorES4_S4_lNS_14AccumulateTypeIT0_Lb1EE4typeES8_NS0_13TensorArgTypeES9_S9_EUllE_EEvNS0_6detail10TensorInfoIT_T1_EESF_NSC_IKS6_SE_EElS8_S8_SE_T6_.private_seg_size, 0
	.set _ZN2at4cuda17kernelHistogram1DIlilLi1ELi2ELin1ELNS0_23CUDAHistogramMemoryTypeE1EZNS0_21CUDA_tensor_histogramIliLb0EEEbNS_6TensorES4_S4_lNS_14AccumulateTypeIT0_Lb1EE4typeES8_NS0_13TensorArgTypeES9_S9_EUllE_EEvNS0_6detail10TensorInfoIT_T1_EESF_NSC_IKS6_SE_EElS8_S8_SE_T6_.uses_vcc, 1
	.set _ZN2at4cuda17kernelHistogram1DIlilLi1ELi2ELin1ELNS0_23CUDAHistogramMemoryTypeE1EZNS0_21CUDA_tensor_histogramIliLb0EEEbNS_6TensorES4_S4_lNS_14AccumulateTypeIT0_Lb1EE4typeES8_NS0_13TensorArgTypeES9_S9_EUllE_EEvNS0_6detail10TensorInfoIT_T1_EESF_NSC_IKS6_SE_EElS8_S8_SE_T6_.uses_flat_scratch, 0
	.set _ZN2at4cuda17kernelHistogram1DIlilLi1ELi2ELin1ELNS0_23CUDAHistogramMemoryTypeE1EZNS0_21CUDA_tensor_histogramIliLb0EEEbNS_6TensorES4_S4_lNS_14AccumulateTypeIT0_Lb1EE4typeES8_NS0_13TensorArgTypeES9_S9_EUllE_EEvNS0_6detail10TensorInfoIT_T1_EESF_NSC_IKS6_SE_EElS8_S8_SE_T6_.has_dyn_sized_stack, 0
	.set _ZN2at4cuda17kernelHistogram1DIlilLi1ELi2ELin1ELNS0_23CUDAHistogramMemoryTypeE1EZNS0_21CUDA_tensor_histogramIliLb0EEEbNS_6TensorES4_S4_lNS_14AccumulateTypeIT0_Lb1EE4typeES8_NS0_13TensorArgTypeES9_S9_EUllE_EEvNS0_6detail10TensorInfoIT_T1_EESF_NSC_IKS6_SE_EElS8_S8_SE_T6_.has_recursion, 0
	.set _ZN2at4cuda17kernelHistogram1DIlilLi1ELi2ELin1ELNS0_23CUDAHistogramMemoryTypeE1EZNS0_21CUDA_tensor_histogramIliLb0EEEbNS_6TensorES4_S4_lNS_14AccumulateTypeIT0_Lb1EE4typeES8_NS0_13TensorArgTypeES9_S9_EUllE_EEvNS0_6detail10TensorInfoIT_T1_EESF_NSC_IKS6_SE_EElS8_S8_SE_T6_.has_indirect_call, 0
	.section	.AMDGPU.csdata,"",@progbits
; Kernel info:
; codeLenInByte = 2092
; TotalNumSgprs: 57
; NumVgprs: 22
; ScratchSize: 0
; MemoryBound: 0
; FloatMode: 240
; IeeeMode: 1
; LDSByteSize: 0 bytes/workgroup (compile time only)
; SGPRBlocks: 0
; VGPRBlocks: 1
; NumSGPRsForWavesPerEU: 57
; NumVGPRsForWavesPerEU: 22
; NamedBarCnt: 0
; Occupancy: 16
; WaveLimiterHint : 1
; COMPUTE_PGM_RSRC2:SCRATCH_EN: 0
; COMPUTE_PGM_RSRC2:USER_SGPR: 2
; COMPUTE_PGM_RSRC2:TRAP_HANDLER: 0
; COMPUTE_PGM_RSRC2:TGID_X_EN: 1
; COMPUTE_PGM_RSRC2:TGID_Y_EN: 0
; COMPUTE_PGM_RSRC2:TGID_Z_EN: 0
; COMPUTE_PGM_RSRC2:TIDIG_COMP_CNT: 0
	.section	.text._ZN2at4cuda17kernelHistogram1DIlilLi1ELi2ELin1ELNS0_23CUDAHistogramMemoryTypeE0EZNS0_21CUDA_tensor_histogramIliLb0EEEbNS_6TensorES4_S4_lNS_14AccumulateTypeIT0_Lb1EE4typeES8_NS0_13TensorArgTypeES9_S9_EUllE0_EEvNS0_6detail10TensorInfoIT_T1_EESF_NSC_IKS6_SE_EElS8_S8_SE_T6_,"axG",@progbits,_ZN2at4cuda17kernelHistogram1DIlilLi1ELi2ELin1ELNS0_23CUDAHistogramMemoryTypeE0EZNS0_21CUDA_tensor_histogramIliLb0EEEbNS_6TensorES4_S4_lNS_14AccumulateTypeIT0_Lb1EE4typeES8_NS0_13TensorArgTypeES9_S9_EUllE0_EEvNS0_6detail10TensorInfoIT_T1_EESF_NSC_IKS6_SE_EElS8_S8_SE_T6_,comdat
	.protected	_ZN2at4cuda17kernelHistogram1DIlilLi1ELi2ELin1ELNS0_23CUDAHistogramMemoryTypeE0EZNS0_21CUDA_tensor_histogramIliLb0EEEbNS_6TensorES4_S4_lNS_14AccumulateTypeIT0_Lb1EE4typeES8_NS0_13TensorArgTypeES9_S9_EUllE0_EEvNS0_6detail10TensorInfoIT_T1_EESF_NSC_IKS6_SE_EElS8_S8_SE_T6_ ; -- Begin function _ZN2at4cuda17kernelHistogram1DIlilLi1ELi2ELin1ELNS0_23CUDAHistogramMemoryTypeE0EZNS0_21CUDA_tensor_histogramIliLb0EEEbNS_6TensorES4_S4_lNS_14AccumulateTypeIT0_Lb1EE4typeES8_NS0_13TensorArgTypeES9_S9_EUllE0_EEvNS0_6detail10TensorInfoIT_T1_EESF_NSC_IKS6_SE_EElS8_S8_SE_T6_
	.globl	_ZN2at4cuda17kernelHistogram1DIlilLi1ELi2ELin1ELNS0_23CUDAHistogramMemoryTypeE0EZNS0_21CUDA_tensor_histogramIliLb0EEEbNS_6TensorES4_S4_lNS_14AccumulateTypeIT0_Lb1EE4typeES8_NS0_13TensorArgTypeES9_S9_EUllE0_EEvNS0_6detail10TensorInfoIT_T1_EESF_NSC_IKS6_SE_EElS8_S8_SE_T6_
	.p2align	8
	.type	_ZN2at4cuda17kernelHistogram1DIlilLi1ELi2ELin1ELNS0_23CUDAHistogramMemoryTypeE0EZNS0_21CUDA_tensor_histogramIliLb0EEEbNS_6TensorES4_S4_lNS_14AccumulateTypeIT0_Lb1EE4typeES8_NS0_13TensorArgTypeES9_S9_EUllE0_EEvNS0_6detail10TensorInfoIT_T1_EESF_NSC_IKS6_SE_EElS8_S8_SE_T6_,@function
_ZN2at4cuda17kernelHistogram1DIlilLi1ELi2ELin1ELNS0_23CUDAHistogramMemoryTypeE0EZNS0_21CUDA_tensor_histogramIliLb0EEEbNS_6TensorES4_S4_lNS_14AccumulateTypeIT0_Lb1EE4typeES8_NS0_13TensorArgTypeES9_S9_EUllE0_EEvNS0_6detail10TensorInfoIT_T1_EESF_NSC_IKS6_SE_EElS8_S8_SE_T6_: ; @_ZN2at4cuda17kernelHistogram1DIlilLi1ELi2ELin1ELNS0_23CUDAHistogramMemoryTypeE0EZNS0_21CUDA_tensor_histogramIliLb0EEEbNS_6TensorES4_S4_lNS_14AccumulateTypeIT0_Lb1EE4typeES8_NS0_13TensorArgTypeES9_S9_EUllE0_EEvNS0_6detail10TensorInfoIT_T1_EESF_NSC_IKS6_SE_EElS8_S8_SE_T6_
; %bb.0:
	s_load_b128 s[12:15], s[0:1], 0x0
	v_mov_b32_e32 v1, 0
	s_add_nc_u64 s[24:25], s[0:1], 0x508
	s_mov_b32 s3, exec_lo
                                        ; implicit-def: $sgpr4
                                        ; implicit-def: $sgpr5
	s_wait_kmcnt 0x0
	s_delay_alu instid0(VALU_DEP_1)
	v_cmp_gt_i64_e64 s2, s[14:15], v[0:1]
	v_cmpx_le_i64_e64 s[14:15], v[0:1]
	s_xor_b32 s3, exec_lo, s3
	s_cbranch_execz .LBB30_2
; %bb.1:
	s_load_b32 s4, s[24:25], 0xc
	s_wait_kmcnt 0x0
	s_and_b32 s5, s4, 0xffff
.LBB30_2:
	s_or_saveexec_b32 s3, s3
	v_dual_mov_b32 v18, s4 :: v_dual_mov_b32 v17, s5
	v_lshl_add_u32 v16, v0, 3, 0
	s_xor_b32 exec_lo, exec_lo, s3
	s_cbranch_execz .LBB30_6
; %bb.3:
	s_load_b32 s6, s[24:25], 0xc
	v_mov_b64_e32 v[2:3], 0
	v_mov_b64_e32 v[4:5], v[0:1]
	v_lshl_add_u32 v6, v0, 3, 0
	s_mov_b32 s5, 0
	s_delay_alu instid0(SALU_CYCLE_1) | instskip(SKIP_2) | instid1(SALU_CYCLE_1)
	s_mov_b32 s7, s5
	s_wait_kmcnt 0x0
	s_and_b32 s4, s6, 0xffff
	s_lshl_b32 s8, s4, 3
.LBB30_4:                               ; =>This Inner Loop Header: Depth=1
	v_add_nc_u64_e32 v[4:5], s[4:5], v[4:5]
	ds_store_b64 v6, v[2:3]
	v_add_nc_u32_e32 v6, s8, v6
	v_cmp_le_i64_e32 vcc_lo, s[14:15], v[4:5]
	s_or_b32 s7, vcc_lo, s7
	s_delay_alu instid0(SALU_CYCLE_1)
	s_and_not1_b32 exec_lo, exec_lo, s7
	s_cbranch_execnz .LBB30_4
; %bb.5:
	s_or_b32 exec_lo, exec_lo, s7
	v_dual_mov_b32 v18, s6 :: v_dual_mov_b32 v17, s4
.LBB30_6:
	s_or_b32 exec_lo, exec_lo, s3
	s_bfe_u32 s3, ttmp6, 0x4000c
	s_clause 0x1
	s_load_b64 s[16:17], s[0:1], 0xd0
	s_load_b256 s[4:11], s[0:1], 0x4e0
	s_add_co_i32 s3, s3, 1
	s_and_b32 s18, ttmp6, 15
	s_mul_i32 s3, ttmp9, s3
	s_getreg_b32 s19, hwreg(HW_REG_IB_STS2, 6, 4)
	s_add_co_i32 s18, s18, s3
	s_cmp_eq_u32 s19, 0
	v_mov_b32_e32 v4, 0
	s_cselect_b32 s3, ttmp9, s18
	s_mov_b32 s19, 0
	v_mad_u32 v2, s3, v17, v0
	s_mov_b32 s3, exec_lo
	v_mov_b32_e32 v3, v4
	s_wait_dscnt 0x0
	s_barrier_signal -1
	s_barrier_wait -1
	s_wait_kmcnt 0x0
	s_delay_alu instid0(VALU_DEP_2)
	v_cmpx_gt_i64_e64 s[10:11], v[2:3]
	s_cbranch_execz .LBB30_22
; %bb.7:
	s_load_b32 s33, s[0:1], 0x4d8
	s_load_b32 s18, s[24:25], 0x0
	s_clause 0x1
	s_load_b64 s[20:21], s[0:1], 0x410
	s_load_b64 s[22:23], s[0:1], 0x340
	s_add_nc_u64 s[28:29], s[0:1], 0x340
	v_mov_b64_e32 v[8:9], 1
	v_mov_b32_e32 v7, v4
	s_wait_xcnt 0x0
	s_sub_nc_u64 s[24:25], s[8:9], s[6:7]
	s_mov_b64 s[26:27], 0xffffffff
	s_mov_b32 s42, 0
	s_wait_kmcnt 0x0
	s_cmp_gt_i32 s33, 1
	v_mul_lo_u32 v6, s18, v17
	s_cselect_b32 s1, -1, 0
	s_add_co_i32 s18, s33, -1
	s_add_co_i32 s33, s33, 1
	s_lshl_b64 s[30:31], s[18:19], 3
	s_delay_alu instid0(SALU_CYCLE_1)
	s_add_nc_u64 s[28:29], s[28:29], s[30:31]
	s_ashr_i32 s30, s25, 31
	s_add_nc_u64 s[28:29], s[28:29], 8
	s_branch .LBB30_10
.LBB30_8:                               ;   in Loop: Header=BB30_10 Depth=1
	s_or_b32 exec_lo, exec_lo, s0
	s_delay_alu instid0(VALU_DEP_1) | instskip(NEXT) | instid1(VALU_DEP_1)
	v_ashrrev_i32_e32 v13, 31, v12
	v_cmp_eq_u64_e32 vcc_lo, s[4:5], v[12:13]
	v_subrev_co_ci_u32_e64 v5, null, 0, v12, vcc_lo
	s_delay_alu instid0(VALU_DEP_1)
	v_lshl_add_u32 v5, v5, 3, 0
	ds_add_u64 v5, v[8:9]
.LBB30_9:                               ;   in Loop: Header=BB30_10 Depth=1
	s_or_b32 exec_lo, exec_lo, s36
	v_add_nc_u64_e32 v[2:3], v[2:3], v[6:7]
	s_delay_alu instid0(VALU_DEP_1) | instskip(SKIP_1) | instid1(SALU_CYCLE_1)
	v_cmp_le_i64_e32 vcc_lo, s[10:11], v[2:3]
	s_or_b32 s42, vcc_lo, s42
	s_and_not1_b32 exec_lo, exec_lo, s42
	s_cbranch_execz .LBB30_22
.LBB30_10:                              ; =>This Loop Header: Depth=1
                                        ;     Child Loop BB30_11 Depth 2
	v_mov_b64_e32 v[10:11], 0
	v_mov_b64_e32 v[12:13], v[2:3]
	;; [unrolled: 1-line block ×3, first 2 shown]
	s_and_not1_b32 vcc_lo, exec_lo, s1
	s_mov_b64 s[34:35], s[28:29]
	s_mov_b32 s31, s33
	s_cbranch_vccnz .LBB30_17
.LBB30_11:                              ;   Parent Loop BB30_10 Depth=1
                                        ; =>  This Inner Loop Header: Depth=2
	s_load_b64 s[36:37], s[34:35], 0x0
                                        ; implicit-def: $vgpr14_vgpr15
	s_mov_b32 s0, exec_lo
	s_wait_kmcnt 0x0
	s_delay_alu instid0(VALU_DEP_1) | instskip(NEXT) | instid1(VALU_DEP_1)
	v_or_b32_e32 v5, s37, v13
	v_cmpx_ne_u64_e32 0, v[4:5]
	s_xor_b32 s43, exec_lo, s0
	s_cbranch_execz .LBB30_13
; %bb.12:                               ;   in Loop: Header=BB30_11 Depth=2
	s_ashr_i32 s38, s37, 31
	v_dual_mov_b32 v23, v4 :: v_dual_ashrrev_i32 v14, 31, v13
	s_mov_b32 s39, s38
	s_delay_alu instid0(SALU_CYCLE_1) | instskip(NEXT) | instid1(VALU_DEP_1)
	s_add_nc_u64 s[40:41], s[36:37], s[38:39]
	v_mov_b32_e32 v15, v14
	s_xor_b64 s[40:41], s[40:41], s[38:39]
	s_delay_alu instid0(SALU_CYCLE_1)
	s_cvt_f32_u32 s0, s40
	s_cvt_f32_u32 s18, s41
	s_sub_nc_u64 s[46:47], 0, s[40:41]
	v_add_nc_u64_e32 v[20:21], v[12:13], v[14:15]
	v_mov_b32_e32 v27, v4
	s_fmamk_f32 s0, s18, 0x4f800000, s0
	s_delay_alu instid0(SALU_CYCLE_3) | instskip(NEXT) | instid1(VALU_DEP_2)
	v_s_rcp_f32 s0, s0
	v_xor_b32_e32 v22, v20, v14
	s_delay_alu instid0(VALU_DEP_3) | instskip(SKIP_1) | instid1(TRANS32_DEP_1)
	v_dual_mov_b32 v31, v4 :: v_dual_bitop2_b32 v26, v21, v14 bitop3:0x14
	v_xor_b32_e32 v14, s38, v14
	s_mul_f32 s0, s0, 0x5f7ffffc
	s_delay_alu instid0(SALU_CYCLE_3) | instskip(NEXT) | instid1(SALU_CYCLE_3)
	s_mul_f32 s18, s0, 0x2f800000
	s_trunc_f32 s18, s18
	s_delay_alu instid0(SALU_CYCLE_3) | instskip(SKIP_1) | instid1(SALU_CYCLE_2)
	s_fmamk_f32 s0, s18, 0xcf800000, s0
	s_cvt_u32_f32 s45, s18
	s_cvt_u32_f32 s44, s0
	s_delay_alu instid0(SALU_CYCLE_3) | instskip(NEXT) | instid1(SALU_CYCLE_1)
	s_mul_u64 s[48:49], s[46:47], s[44:45]
	s_mul_hi_u32 s51, s44, s49
	s_mul_i32 s50, s44, s49
	s_mul_hi_u32 s18, s44, s48
	s_mul_i32 s39, s45, s48
	s_add_nc_u64 s[50:51], s[18:19], s[50:51]
	s_mul_hi_u32 s0, s45, s48
	s_mul_hi_u32 s52, s45, s49
	s_add_co_u32 s18, s50, s39
	s_add_co_ci_u32 s18, s51, s0
	s_mul_i32 s48, s45, s49
	s_add_co_ci_u32 s49, s52, 0
	s_delay_alu instid0(SALU_CYCLE_1) | instskip(NEXT) | instid1(SALU_CYCLE_1)
	s_add_nc_u64 s[48:49], s[18:19], s[48:49]
	s_add_co_u32 s44, s44, s48
	s_cselect_b32 s0, -1, 0
	s_delay_alu instid0(SALU_CYCLE_1) | instskip(SKIP_1) | instid1(SALU_CYCLE_1)
	s_cmp_lg_u32 s0, 0
	s_add_co_ci_u32 s45, s45, s49
	s_mul_u64 s[46:47], s[46:47], s[44:45]
	s_delay_alu instid0(SALU_CYCLE_1)
	s_mul_hi_u32 s49, s44, s47
	s_mul_i32 s48, s44, s47
	s_mul_hi_u32 s18, s44, s46
	s_mul_i32 s39, s45, s46
	s_add_nc_u64 s[48:49], s[18:19], s[48:49]
	s_mul_hi_u32 s0, s45, s46
	s_mul_hi_u32 s50, s45, s47
	s_add_co_u32 s18, s48, s39
	s_add_co_ci_u32 s18, s49, s0
	s_mul_i32 s46, s45, s47
	s_add_co_ci_u32 s47, s50, 0
	s_delay_alu instid0(SALU_CYCLE_1) | instskip(NEXT) | instid1(SALU_CYCLE_1)
	s_add_nc_u64 s[46:47], s[18:19], s[46:47]
	s_add_co_u32 s0, s44, s46
	s_cselect_b32 s18, -1, 0
	v_mul_hi_u32 v30, v22, s0
	s_cmp_lg_u32 s18, 0
	s_add_co_ci_u32 s18, s45, s47
	s_and_b64 s[44:45], s[0:1], s[26:27]
	v_mul_u64_e32 v[24:25], s[18:19], v[22:23]
	v_mul_u64_e32 v[20:21], s[44:45], v[26:27]
	;; [unrolled: 1-line block ×3, first 2 shown]
	s_delay_alu instid0(VALU_DEP_3) | instskip(NEXT) | instid1(VALU_DEP_1)
	v_add_nc_u64_e32 v[24:25], v[30:31], v[24:25]
	v_add_co_u32 v5, vcc_lo, v24, v20
	s_delay_alu instid0(VALU_DEP_2) | instskip(NEXT) | instid1(VALU_DEP_4)
	v_add_co_ci_u32_e32 v30, vcc_lo, v25, v21, vcc_lo
	v_add_co_ci_u32_e32 v29, vcc_lo, 0, v29, vcc_lo
	s_delay_alu instid0(VALU_DEP_1) | instskip(NEXT) | instid1(VALU_DEP_1)
	v_add_nc_u64_e32 v[20:21], v[30:31], v[28:29]
	v_mul_u64_e32 v[24:25], s[40:41], v[20:21]
	s_delay_alu instid0(VALU_DEP_1) | instskip(NEXT) | instid1(VALU_DEP_2)
	v_sub_nc_u32_e32 v5, v26, v25
	v_sub_co_u32 v15, vcc_lo, v22, v24
	s_delay_alu instid0(VALU_DEP_1) | instskip(NEXT) | instid1(VALU_DEP_3)
	v_sub_co_ci_u32_e64 v26, null, v26, v25, vcc_lo
	v_subrev_co_ci_u32_e64 v5, null, s41, v5, vcc_lo
	s_delay_alu instid0(VALU_DEP_3) | instskip(SKIP_1) | instid1(VALU_DEP_3)
	v_sub_co_u32 v19, s0, v15, s40
	v_add_nc_u64_e32 v[24:25], 1, v[20:21]
	v_subrev_co_ci_u32_e64 v5, null, 0, v5, s0
	s_delay_alu instid0(VALU_DEP_3) | instskip(SKIP_1) | instid1(VALU_DEP_3)
	v_cmp_le_u32_e32 vcc_lo, s40, v19
	v_cndmask_b32_e64 v19, 0, -1, vcc_lo
	v_cmp_le_u32_e32 vcc_lo, s41, v5
	v_cndmask_b32_e64 v22, 0, -1, vcc_lo
	;; [unrolled: 2-line block ×4, first 2 shown]
	v_cmp_eq_u32_e32 vcc_lo, s41, v5
	v_cndmask_b32_e32 v5, v22, v19, vcc_lo
	v_cmp_eq_u32_e32 vcc_lo, s41, v26
	v_add_nc_u64_e32 v[22:23], 2, v[20:21]
	v_cndmask_b32_e32 v15, v27, v15, vcc_lo
	s_delay_alu instid0(VALU_DEP_4) | instskip(NEXT) | instid1(VALU_DEP_2)
	v_cmp_ne_u32_e32 vcc_lo, 0, v5
	v_cmp_ne_u32_e64 s0, 0, v15
	s_delay_alu instid0(VALU_DEP_4) | instskip(NEXT) | instid1(VALU_DEP_1)
	v_dual_cndmask_b32 v5, v25, v23, vcc_lo :: v_dual_cndmask_b32 v15, v24, v22, vcc_lo
	v_dual_cndmask_b32 v19, v20, v15, s0 :: v_dual_mov_b32 v15, v14
	s_delay_alu instid0(VALU_DEP_1) | instskip(NEXT) | instid1(VALU_DEP_1)
	v_dual_cndmask_b32 v5, v21, v5, s0 :: v_dual_bitop2_b32 v20, v19, v14 bitop3:0x14
	v_xor_b32_e32 v21, v5, v14
	s_delay_alu instid0(VALU_DEP_1)
	v_sub_nc_u64_e32 v[14:15], v[20:21], v[14:15]
.LBB30_13:                              ;   in Loop: Header=BB30_11 Depth=2
	s_and_not1_saveexec_b32 s0, s43
	s_cbranch_execz .LBB30_15
; %bb.14:                               ;   in Loop: Header=BB30_11 Depth=2
	v_cvt_f32_u32_e32 v5, s36
	s_sub_co_i32 s18, 0, s36
	s_delay_alu instid0(VALU_DEP_1) | instskip(SKIP_1) | instid1(TRANS32_DEP_1)
	v_rcp_iflag_f32_e32 v5, v5
	v_nop
	v_mul_f32_e32 v5, 0x4f7ffffe, v5
	s_delay_alu instid0(VALU_DEP_1) | instskip(NEXT) | instid1(VALU_DEP_1)
	v_cvt_u32_f32_e32 v5, v5
	v_mul_lo_u32 v14, s18, v5
	s_delay_alu instid0(VALU_DEP_1) | instskip(NEXT) | instid1(VALU_DEP_1)
	v_mul_hi_u32 v14, v5, v14
	v_add_nc_u32_e32 v5, v5, v14
	s_delay_alu instid0(VALU_DEP_1) | instskip(NEXT) | instid1(VALU_DEP_1)
	v_mul_hi_u32 v5, v12, v5
	v_mul_lo_u32 v14, v5, s36
	s_delay_alu instid0(VALU_DEP_1) | instskip(NEXT) | instid1(VALU_DEP_1)
	v_dual_add_nc_u32 v15, 1, v5 :: v_dual_sub_nc_u32 v14, v12, v14
	v_subrev_nc_u32_e32 v19, s36, v14
	v_cmp_le_u32_e32 vcc_lo, s36, v14
	s_delay_alu instid0(VALU_DEP_2) | instskip(NEXT) | instid1(VALU_DEP_4)
	v_cndmask_b32_e32 v14, v14, v19, vcc_lo
	v_cndmask_b32_e32 v5, v5, v15, vcc_lo
	s_delay_alu instid0(VALU_DEP_2) | instskip(NEXT) | instid1(VALU_DEP_2)
	v_cmp_le_u32_e32 vcc_lo, s36, v14
	v_add_nc_u32_e32 v15, 1, v5
	s_delay_alu instid0(VALU_DEP_1)
	v_dual_cndmask_b32 v14, v5, v15 :: v_dual_mov_b32 v15, v4
.LBB30_15:                              ;   in Loop: Header=BB30_11 Depth=2
	s_or_b32 exec_lo, exec_lo, s0
	s_delay_alu instid0(VALU_DEP_1)
	v_mul_u64_e32 v[20:21], s[36:37], v[14:15]
	s_load_b64 s[36:37], s[34:35], 0xc8
	s_add_co_i32 s31, s31, -1
	s_wait_xcnt 0x0
	s_add_nc_u64 s[34:35], s[34:35], -8
	s_cmp_gt_u32 s31, 2
	s_delay_alu instid0(VALU_DEP_1) | instskip(SKIP_1) | instid1(VALU_DEP_1)
	v_sub_nc_u64_e32 v[12:13], v[12:13], v[20:21]
	s_wait_kmcnt 0x0
	v_mad_nc_u64_u32 v[10:11], s36, v12, v[10:11]
	s_delay_alu instid0(VALU_DEP_1) | instskip(NEXT) | instid1(VALU_DEP_1)
	v_mad_u32 v5, s37, v12, v11
	v_mad_u32 v11, s36, v13, v5
	s_cbranch_scc0 .LBB30_17
; %bb.16:                               ;   in Loop: Header=BB30_11 Depth=2
	v_mov_b64_e32 v[12:13], v[14:15]
	s_branch .LBB30_11
.LBB30_17:                              ;   in Loop: Header=BB30_10 Depth=1
	s_delay_alu instid0(VALU_DEP_1) | instskip(NEXT) | instid1(VALU_DEP_1)
	v_mul_u64_e32 v[12:13], s[20:21], v[14:15]
	v_lshl_add_u64 v[12:13], v[12:13], 2, s[22:23]
	s_delay_alu instid0(VALU_DEP_1) | instskip(SKIP_4) | instid1(VALU_DEP_1)
	v_lshl_add_u64 v[10:11], v[10:11], 2, v[12:13]
	global_load_b32 v10, v[10:11], off
	s_wait_loadcnt 0x0
	s_wait_xcnt 0x0
	v_ashrrev_i32_e32 v11, 31, v10
	v_cmp_le_i64_e32 vcc_lo, s[6:7], v[10:11]
	v_cmp_ge_i64_e64 s0, s[8:9], v[10:11]
	s_and_b32 s0, vcc_lo, s0
	s_delay_alu instid0(SALU_CYCLE_1)
	s_and_saveexec_b32 s36, s0
	s_cbranch_execz .LBB30_9
; %bb.18:                               ;   in Loop: Header=BB30_10 Depth=1
	v_sub_nc_u64_e64 v[10:11], v[10:11], s[6:7]
                                        ; implicit-def: $vgpr12_vgpr13
	s_mov_b32 s0, exec_lo
	s_delay_alu instid0(VALU_DEP_1) | instskip(NEXT) | instid1(VALU_DEP_1)
	v_mul_u64_e32 v[10:11], s[4:5], v[10:11]
	v_or_b32_e32 v5, s25, v11
	s_delay_alu instid0(VALU_DEP_1)
	v_cmpx_ne_u64_e32 0, v[4:5]
	s_xor_b32 s37, exec_lo, s0
	s_cbranch_execz .LBB30_20
; %bb.19:                               ;   in Loop: Header=BB30_10 Depth=1
	s_mov_b32 s31, s30
	v_dual_mov_b32 v15, v4 :: v_dual_ashrrev_i32 v12, 31, v11
	s_add_nc_u64 s[34:35], s[24:25], s[30:31]
	s_delay_alu instid0(SALU_CYCLE_1) | instskip(NEXT) | instid1(VALU_DEP_1)
	s_xor_b64 s[34:35], s[34:35], s[30:31]
	v_mov_b32_e32 v13, v12
	s_cvt_f32_u32 s0, s34
	s_cvt_f32_u32 s18, s35
	s_sub_nc_u64 s[40:41], 0, s[34:35]
	s_delay_alu instid0(VALU_DEP_1) | instskip(NEXT) | instid1(SALU_CYCLE_1)
	v_add_nc_u64_e32 v[10:11], v[10:11], v[12:13]
	s_fmamk_f32 s0, s18, 0x4f800000, s0
	v_mov_b32_e32 v23, v4
	s_delay_alu instid0(SALU_CYCLE_2) | instskip(NEXT) | instid1(VALU_DEP_2)
	v_s_rcp_f32 s0, s0
	v_xor_b32_e32 v14, v10, v12
	s_delay_alu instid0(VALU_DEP_3) | instskip(NEXT) | instid1(TRANS32_DEP_1)
	v_dual_mov_b32 v27, v4 :: v_dual_bitop2_b32 v22, v11, v12 bitop3:0x14
	s_mul_f32 s0, s0, 0x5f7ffffc
	s_delay_alu instid0(SALU_CYCLE_3) | instskip(NEXT) | instid1(SALU_CYCLE_3)
	s_mul_f32 s18, s0, 0x2f800000
	s_trunc_f32 s18, s18
	s_delay_alu instid0(SALU_CYCLE_3) | instskip(SKIP_1) | instid1(SALU_CYCLE_2)
	s_fmamk_f32 s0, s18, 0xcf800000, s0
	s_cvt_u32_f32 s39, s18
	s_cvt_u32_f32 s38, s0
	s_delay_alu instid0(SALU_CYCLE_3) | instskip(NEXT) | instid1(SALU_CYCLE_1)
	s_mul_u64 s[44:45], s[40:41], s[38:39]
	s_mul_hi_u32 s47, s38, s45
	s_mul_i32 s46, s38, s45
	s_mul_hi_u32 s18, s38, s44
	s_mul_i32 s31, s39, s44
	s_add_nc_u64 s[46:47], s[18:19], s[46:47]
	s_mul_hi_u32 s0, s39, s44
	s_mul_hi_u32 s43, s39, s45
	s_add_co_u32 s18, s46, s31
	s_add_co_ci_u32 s18, s47, s0
	s_mul_i32 s44, s39, s45
	s_add_co_ci_u32 s45, s43, 0
	s_delay_alu instid0(SALU_CYCLE_1) | instskip(NEXT) | instid1(SALU_CYCLE_1)
	s_add_nc_u64 s[44:45], s[18:19], s[44:45]
	s_add_co_u32 s38, s38, s44
	s_cselect_b32 s0, -1, 0
	s_delay_alu instid0(SALU_CYCLE_1) | instskip(SKIP_1) | instid1(SALU_CYCLE_1)
	s_cmp_lg_u32 s0, 0
	s_add_co_ci_u32 s39, s39, s45
	s_mul_u64 s[40:41], s[40:41], s[38:39]
	s_delay_alu instid0(SALU_CYCLE_1)
	s_mul_hi_u32 s45, s38, s41
	s_mul_i32 s44, s38, s41
	s_mul_hi_u32 s18, s38, s40
	s_mul_i32 s31, s39, s40
	s_add_nc_u64 s[44:45], s[18:19], s[44:45]
	s_mul_hi_u32 s0, s39, s40
	s_mul_hi_u32 s43, s39, s41
	s_add_co_u32 s18, s44, s31
	s_add_co_ci_u32 s18, s45, s0
	s_mul_i32 s40, s39, s41
	s_add_co_ci_u32 s41, s43, 0
	s_delay_alu instid0(SALU_CYCLE_1) | instskip(NEXT) | instid1(SALU_CYCLE_1)
	s_add_nc_u64 s[40:41], s[18:19], s[40:41]
	s_add_co_u32 s0, s38, s40
	s_cselect_b32 s18, -1, 0
	v_mul_hi_u32 v26, v14, s0
	s_cmp_lg_u32 s18, 0
	s_add_co_ci_u32 s18, s39, s41
	s_and_b64 s[38:39], s[0:1], s[26:27]
	v_mul_u64_e32 v[20:21], s[18:19], v[14:15]
	v_mul_u64_e32 v[10:11], s[38:39], v[22:23]
	;; [unrolled: 1-line block ×3, first 2 shown]
	s_delay_alu instid0(VALU_DEP_3) | instskip(NEXT) | instid1(VALU_DEP_1)
	v_add_nc_u64_e32 v[20:21], v[26:27], v[20:21]
	v_add_co_u32 v5, vcc_lo, v20, v10
	s_delay_alu instid0(VALU_DEP_2) | instskip(NEXT) | instid1(VALU_DEP_4)
	v_add_co_ci_u32_e32 v26, vcc_lo, v21, v11, vcc_lo
	v_add_co_ci_u32_e32 v25, vcc_lo, 0, v25, vcc_lo
	s_delay_alu instid0(VALU_DEP_1) | instskip(NEXT) | instid1(VALU_DEP_1)
	v_add_nc_u64_e32 v[10:11], v[26:27], v[24:25]
	v_mul_u64_e32 v[20:21], s[34:35], v[10:11]
	s_delay_alu instid0(VALU_DEP_1) | instskip(NEXT) | instid1(VALU_DEP_2)
	v_sub_nc_u32_e32 v5, v22, v21
	v_sub_co_u32 v13, vcc_lo, v14, v20
	s_delay_alu instid0(VALU_DEP_1) | instskip(NEXT) | instid1(VALU_DEP_3)
	v_sub_co_ci_u32_e64 v19, null, v22, v21, vcc_lo
	v_subrev_co_ci_u32_e64 v5, null, s35, v5, vcc_lo
	s_delay_alu instid0(VALU_DEP_3) | instskip(SKIP_1) | instid1(VALU_DEP_3)
	v_sub_co_u32 v14, s0, v13, s34
	v_add_nc_u64_e32 v[20:21], 1, v[10:11]
	v_subrev_co_ci_u32_e64 v5, null, 0, v5, s0
	s_delay_alu instid0(VALU_DEP_3) | instskip(SKIP_1) | instid1(VALU_DEP_3)
	v_cmp_le_u32_e32 vcc_lo, s34, v14
	v_cndmask_b32_e64 v14, 0, -1, vcc_lo
	v_cmp_le_u32_e32 vcc_lo, s35, v5
	v_cndmask_b32_e64 v15, 0, -1, vcc_lo
	;; [unrolled: 2-line block ×4, first 2 shown]
	v_cmp_eq_u32_e32 vcc_lo, s35, v5
	v_cndmask_b32_e32 v5, v15, v14, vcc_lo
	v_cmp_eq_u32_e32 vcc_lo, s35, v19
	v_add_nc_u64_e32 v[14:15], 2, v[10:11]
	v_cndmask_b32_e32 v13, v22, v13, vcc_lo
	s_delay_alu instid0(VALU_DEP_4) | instskip(NEXT) | instid1(VALU_DEP_2)
	v_cmp_ne_u32_e32 vcc_lo, 0, v5
	v_cmp_ne_u32_e64 s0, 0, v13
	s_delay_alu instid0(VALU_DEP_4) | instskip(NEXT) | instid1(VALU_DEP_1)
	v_dual_cndmask_b32 v5, v21, v15, vcc_lo :: v_dual_cndmask_b32 v13, v20, v14, vcc_lo
	v_dual_cndmask_b32 v5, v11, v5, s0 :: v_dual_bitop2_b32 v12, s30, v12 bitop3:0x14
	s_delay_alu instid0(VALU_DEP_1) | instskip(NEXT) | instid1(VALU_DEP_2)
	v_dual_cndmask_b32 v10, v10, v13, s0 :: v_dual_mov_b32 v13, v12
	v_xor_b32_e32 v11, v5, v12
	s_delay_alu instid0(VALU_DEP_2) | instskip(NEXT) | instid1(VALU_DEP_1)
	v_xor_b32_e32 v10, v10, v12
	v_sub_nc_u64_e32 v[12:13], v[10:11], v[12:13]
                                        ; implicit-def: $vgpr10_vgpr11
.LBB30_20:                              ;   in Loop: Header=BB30_10 Depth=1
	s_and_not1_saveexec_b32 s0, s37
	s_cbranch_execz .LBB30_8
; %bb.21:                               ;   in Loop: Header=BB30_10 Depth=1
	v_cvt_f32_u32_e32 v5, s24
	s_sub_co_i32 s18, 0, s24
	s_delay_alu instid0(VALU_DEP_1) | instskip(SKIP_1) | instid1(TRANS32_DEP_1)
	v_rcp_iflag_f32_e32 v5, v5
	v_nop
	v_mul_f32_e32 v5, 0x4f7ffffe, v5
	s_delay_alu instid0(VALU_DEP_1) | instskip(NEXT) | instid1(VALU_DEP_1)
	v_cvt_u32_f32_e32 v5, v5
	v_mul_lo_u32 v11, s18, v5
	s_delay_alu instid0(VALU_DEP_1) | instskip(NEXT) | instid1(VALU_DEP_1)
	v_mul_hi_u32 v11, v5, v11
	v_add_nc_u32_e32 v5, v5, v11
	s_delay_alu instid0(VALU_DEP_1) | instskip(NEXT) | instid1(VALU_DEP_1)
	v_mul_hi_u32 v5, v10, v5
	v_mul_lo_u32 v11, v5, s24
	s_delay_alu instid0(VALU_DEP_1) | instskip(NEXT) | instid1(VALU_DEP_1)
	v_dual_sub_nc_u32 v10, v10, v11 :: v_dual_add_nc_u32 v11, 1, v5
	v_subrev_nc_u32_e32 v12, s24, v10
	v_cmp_le_u32_e32 vcc_lo, s24, v10
	s_delay_alu instid0(VALU_DEP_2) | instskip(NEXT) | instid1(VALU_DEP_1)
	v_dual_cndmask_b32 v10, v10, v12 :: v_dual_cndmask_b32 v5, v5, v11
	v_cmp_le_u32_e32 vcc_lo, s24, v10
	s_delay_alu instid0(VALU_DEP_2) | instskip(NEXT) | instid1(VALU_DEP_1)
	v_add_nc_u32_e32 v11, 1, v5
	v_cndmask_b32_e32 v12, v5, v11, vcc_lo
	s_branch .LBB30_8
.LBB30_22:
	s_or_b32 exec_lo, exec_lo, s3
; %bb.23:
	s_wait_dscnt 0x0
	s_barrier_signal -1
	s_barrier_wait -1
	s_and_saveexec_b32 s0, s2
	s_cbranch_execz .LBB30_26
; %bb.24:
	s_mov_b32 s0, 0
	v_and_b32_e32 v2, 0xffff, v18
	v_dual_mov_b32 v3, s0 :: v_dual_lshlrev_b32 v8, 3, v17
	v_mul_u64_e32 v[6:7], s[16:17], v[0:1]
	s_delay_alu instid0(VALU_DEP_2) | instskip(NEXT) | instid1(VALU_DEP_2)
	v_mul_u64_e32 v[4:5], s[16:17], v[2:3]
	v_lshl_add_u64 v[6:7], v[6:7], 3, s[12:13]
	s_delay_alu instid0(VALU_DEP_2)
	v_lshlrev_b64_e32 v[4:5], 3, v[4:5]
.LBB30_25:                              ; =>This Inner Loop Header: Depth=1
	ds_load_b64 v[10:11], v16
	v_add_nc_u64_e32 v[0:1], v[0:1], v[2:3]
	v_add_nc_u32_e32 v16, v16, v8
	s_delay_alu instid0(VALU_DEP_2)
	v_cmp_le_i64_e32 vcc_lo, s[14:15], v[0:1]
	s_or_b32 s0, vcc_lo, s0
	s_wait_dscnt 0x0
	global_atomic_add_u64 v[6:7], v[10:11], off scope:SCOPE_SYS
	s_wait_xcnt 0x0
	v_add_nc_u64_e32 v[6:7], v[6:7], v[4:5]
	s_and_not1_b32 exec_lo, exec_lo, s0
	s_cbranch_execnz .LBB30_25
.LBB30_26:
	s_endpgm
	.section	.rodata,"a",@progbits
	.p2align	6, 0x0
	.amdhsa_kernel _ZN2at4cuda17kernelHistogram1DIlilLi1ELi2ELin1ELNS0_23CUDAHistogramMemoryTypeE0EZNS0_21CUDA_tensor_histogramIliLb0EEEbNS_6TensorES4_S4_lNS_14AccumulateTypeIT0_Lb1EE4typeES8_NS0_13TensorArgTypeES9_S9_EUllE0_EEvNS0_6detail10TensorInfoIT_T1_EESF_NSC_IKS6_SE_EElS8_S8_SE_T6_
		.amdhsa_group_segment_fixed_size 0
		.amdhsa_private_segment_fixed_size 0
		.amdhsa_kernarg_size 1544
		.amdhsa_user_sgpr_count 2
		.amdhsa_user_sgpr_dispatch_ptr 0
		.amdhsa_user_sgpr_queue_ptr 0
		.amdhsa_user_sgpr_kernarg_segment_ptr 1
		.amdhsa_user_sgpr_dispatch_id 0
		.amdhsa_user_sgpr_kernarg_preload_length 0
		.amdhsa_user_sgpr_kernarg_preload_offset 0
		.amdhsa_user_sgpr_private_segment_size 0
		.amdhsa_wavefront_size32 1
		.amdhsa_uses_dynamic_stack 0
		.amdhsa_enable_private_segment 0
		.amdhsa_system_sgpr_workgroup_id_x 1
		.amdhsa_system_sgpr_workgroup_id_y 0
		.amdhsa_system_sgpr_workgroup_id_z 0
		.amdhsa_system_sgpr_workgroup_info 0
		.amdhsa_system_vgpr_workitem_id 0
		.amdhsa_next_free_vgpr 32
		.amdhsa_next_free_sgpr 53
		.amdhsa_named_barrier_count 0
		.amdhsa_reserve_vcc 1
		.amdhsa_float_round_mode_32 0
		.amdhsa_float_round_mode_16_64 0
		.amdhsa_float_denorm_mode_32 3
		.amdhsa_float_denorm_mode_16_64 3
		.amdhsa_fp16_overflow 0
		.amdhsa_memory_ordered 1
		.amdhsa_forward_progress 1
		.amdhsa_inst_pref_size 19
		.amdhsa_round_robin_scheduling 0
		.amdhsa_exception_fp_ieee_invalid_op 0
		.amdhsa_exception_fp_denorm_src 0
		.amdhsa_exception_fp_ieee_div_zero 0
		.amdhsa_exception_fp_ieee_overflow 0
		.amdhsa_exception_fp_ieee_underflow 0
		.amdhsa_exception_fp_ieee_inexact 0
		.amdhsa_exception_int_div_zero 0
	.end_amdhsa_kernel
	.section	.text._ZN2at4cuda17kernelHistogram1DIlilLi1ELi2ELin1ELNS0_23CUDAHistogramMemoryTypeE0EZNS0_21CUDA_tensor_histogramIliLb0EEEbNS_6TensorES4_S4_lNS_14AccumulateTypeIT0_Lb1EE4typeES8_NS0_13TensorArgTypeES9_S9_EUllE0_EEvNS0_6detail10TensorInfoIT_T1_EESF_NSC_IKS6_SE_EElS8_S8_SE_T6_,"axG",@progbits,_ZN2at4cuda17kernelHistogram1DIlilLi1ELi2ELin1ELNS0_23CUDAHistogramMemoryTypeE0EZNS0_21CUDA_tensor_histogramIliLb0EEEbNS_6TensorES4_S4_lNS_14AccumulateTypeIT0_Lb1EE4typeES8_NS0_13TensorArgTypeES9_S9_EUllE0_EEvNS0_6detail10TensorInfoIT_T1_EESF_NSC_IKS6_SE_EElS8_S8_SE_T6_,comdat
.Lfunc_end30:
	.size	_ZN2at4cuda17kernelHistogram1DIlilLi1ELi2ELin1ELNS0_23CUDAHistogramMemoryTypeE0EZNS0_21CUDA_tensor_histogramIliLb0EEEbNS_6TensorES4_S4_lNS_14AccumulateTypeIT0_Lb1EE4typeES8_NS0_13TensorArgTypeES9_S9_EUllE0_EEvNS0_6detail10TensorInfoIT_T1_EESF_NSC_IKS6_SE_EElS8_S8_SE_T6_, .Lfunc_end30-_ZN2at4cuda17kernelHistogram1DIlilLi1ELi2ELin1ELNS0_23CUDAHistogramMemoryTypeE0EZNS0_21CUDA_tensor_histogramIliLb0EEEbNS_6TensorES4_S4_lNS_14AccumulateTypeIT0_Lb1EE4typeES8_NS0_13TensorArgTypeES9_S9_EUllE0_EEvNS0_6detail10TensorInfoIT_T1_EESF_NSC_IKS6_SE_EElS8_S8_SE_T6_
                                        ; -- End function
	.set _ZN2at4cuda17kernelHistogram1DIlilLi1ELi2ELin1ELNS0_23CUDAHistogramMemoryTypeE0EZNS0_21CUDA_tensor_histogramIliLb0EEEbNS_6TensorES4_S4_lNS_14AccumulateTypeIT0_Lb1EE4typeES8_NS0_13TensorArgTypeES9_S9_EUllE0_EEvNS0_6detail10TensorInfoIT_T1_EESF_NSC_IKS6_SE_EElS8_S8_SE_T6_.num_vgpr, 32
	.set _ZN2at4cuda17kernelHistogram1DIlilLi1ELi2ELin1ELNS0_23CUDAHistogramMemoryTypeE0EZNS0_21CUDA_tensor_histogramIliLb0EEEbNS_6TensorES4_S4_lNS_14AccumulateTypeIT0_Lb1EE4typeES8_NS0_13TensorArgTypeES9_S9_EUllE0_EEvNS0_6detail10TensorInfoIT_T1_EESF_NSC_IKS6_SE_EElS8_S8_SE_T6_.num_agpr, 0
	.set _ZN2at4cuda17kernelHistogram1DIlilLi1ELi2ELin1ELNS0_23CUDAHistogramMemoryTypeE0EZNS0_21CUDA_tensor_histogramIliLb0EEEbNS_6TensorES4_S4_lNS_14AccumulateTypeIT0_Lb1EE4typeES8_NS0_13TensorArgTypeES9_S9_EUllE0_EEvNS0_6detail10TensorInfoIT_T1_EESF_NSC_IKS6_SE_EElS8_S8_SE_T6_.numbered_sgpr, 53
	.set _ZN2at4cuda17kernelHistogram1DIlilLi1ELi2ELin1ELNS0_23CUDAHistogramMemoryTypeE0EZNS0_21CUDA_tensor_histogramIliLb0EEEbNS_6TensorES4_S4_lNS_14AccumulateTypeIT0_Lb1EE4typeES8_NS0_13TensorArgTypeES9_S9_EUllE0_EEvNS0_6detail10TensorInfoIT_T1_EESF_NSC_IKS6_SE_EElS8_S8_SE_T6_.num_named_barrier, 0
	.set _ZN2at4cuda17kernelHistogram1DIlilLi1ELi2ELin1ELNS0_23CUDAHistogramMemoryTypeE0EZNS0_21CUDA_tensor_histogramIliLb0EEEbNS_6TensorES4_S4_lNS_14AccumulateTypeIT0_Lb1EE4typeES8_NS0_13TensorArgTypeES9_S9_EUllE0_EEvNS0_6detail10TensorInfoIT_T1_EESF_NSC_IKS6_SE_EElS8_S8_SE_T6_.private_seg_size, 0
	.set _ZN2at4cuda17kernelHistogram1DIlilLi1ELi2ELin1ELNS0_23CUDAHistogramMemoryTypeE0EZNS0_21CUDA_tensor_histogramIliLb0EEEbNS_6TensorES4_S4_lNS_14AccumulateTypeIT0_Lb1EE4typeES8_NS0_13TensorArgTypeES9_S9_EUllE0_EEvNS0_6detail10TensorInfoIT_T1_EESF_NSC_IKS6_SE_EElS8_S8_SE_T6_.uses_vcc, 1
	.set _ZN2at4cuda17kernelHistogram1DIlilLi1ELi2ELin1ELNS0_23CUDAHistogramMemoryTypeE0EZNS0_21CUDA_tensor_histogramIliLb0EEEbNS_6TensorES4_S4_lNS_14AccumulateTypeIT0_Lb1EE4typeES8_NS0_13TensorArgTypeES9_S9_EUllE0_EEvNS0_6detail10TensorInfoIT_T1_EESF_NSC_IKS6_SE_EElS8_S8_SE_T6_.uses_flat_scratch, 0
	.set _ZN2at4cuda17kernelHistogram1DIlilLi1ELi2ELin1ELNS0_23CUDAHistogramMemoryTypeE0EZNS0_21CUDA_tensor_histogramIliLb0EEEbNS_6TensorES4_S4_lNS_14AccumulateTypeIT0_Lb1EE4typeES8_NS0_13TensorArgTypeES9_S9_EUllE0_EEvNS0_6detail10TensorInfoIT_T1_EESF_NSC_IKS6_SE_EElS8_S8_SE_T6_.has_dyn_sized_stack, 0
	.set _ZN2at4cuda17kernelHistogram1DIlilLi1ELi2ELin1ELNS0_23CUDAHistogramMemoryTypeE0EZNS0_21CUDA_tensor_histogramIliLb0EEEbNS_6TensorES4_S4_lNS_14AccumulateTypeIT0_Lb1EE4typeES8_NS0_13TensorArgTypeES9_S9_EUllE0_EEvNS0_6detail10TensorInfoIT_T1_EESF_NSC_IKS6_SE_EElS8_S8_SE_T6_.has_recursion, 0
	.set _ZN2at4cuda17kernelHistogram1DIlilLi1ELi2ELin1ELNS0_23CUDAHistogramMemoryTypeE0EZNS0_21CUDA_tensor_histogramIliLb0EEEbNS_6TensorES4_S4_lNS_14AccumulateTypeIT0_Lb1EE4typeES8_NS0_13TensorArgTypeES9_S9_EUllE0_EEvNS0_6detail10TensorInfoIT_T1_EESF_NSC_IKS6_SE_EElS8_S8_SE_T6_.has_indirect_call, 0
	.section	.AMDGPU.csdata,"",@progbits
; Kernel info:
; codeLenInByte = 2348
; TotalNumSgprs: 55
; NumVgprs: 32
; ScratchSize: 0
; MemoryBound: 0
; FloatMode: 240
; IeeeMode: 1
; LDSByteSize: 0 bytes/workgroup (compile time only)
; SGPRBlocks: 0
; VGPRBlocks: 1
; NumSGPRsForWavesPerEU: 55
; NumVGPRsForWavesPerEU: 32
; NamedBarCnt: 0
; Occupancy: 16
; WaveLimiterHint : 1
; COMPUTE_PGM_RSRC2:SCRATCH_EN: 0
; COMPUTE_PGM_RSRC2:USER_SGPR: 2
; COMPUTE_PGM_RSRC2:TRAP_HANDLER: 0
; COMPUTE_PGM_RSRC2:TGID_X_EN: 1
; COMPUTE_PGM_RSRC2:TGID_Y_EN: 0
; COMPUTE_PGM_RSRC2:TGID_Z_EN: 0
; COMPUTE_PGM_RSRC2:TIDIG_COMP_CNT: 0
	.section	.text._ZN2at4cuda17kernelHistogram1DIlilLi1ELi2ELin1ELNS0_23CUDAHistogramMemoryTypeE1EZNS0_21CUDA_tensor_histogramIliLb0EEEbNS_6TensorES4_S4_lNS_14AccumulateTypeIT0_Lb1EE4typeES8_NS0_13TensorArgTypeES9_S9_EUllE0_EEvNS0_6detail10TensorInfoIT_T1_EESF_NSC_IKS6_SE_EElS8_S8_SE_T6_,"axG",@progbits,_ZN2at4cuda17kernelHistogram1DIlilLi1ELi2ELin1ELNS0_23CUDAHistogramMemoryTypeE1EZNS0_21CUDA_tensor_histogramIliLb0EEEbNS_6TensorES4_S4_lNS_14AccumulateTypeIT0_Lb1EE4typeES8_NS0_13TensorArgTypeES9_S9_EUllE0_EEvNS0_6detail10TensorInfoIT_T1_EESF_NSC_IKS6_SE_EElS8_S8_SE_T6_,comdat
	.protected	_ZN2at4cuda17kernelHistogram1DIlilLi1ELi2ELin1ELNS0_23CUDAHistogramMemoryTypeE1EZNS0_21CUDA_tensor_histogramIliLb0EEEbNS_6TensorES4_S4_lNS_14AccumulateTypeIT0_Lb1EE4typeES8_NS0_13TensorArgTypeES9_S9_EUllE0_EEvNS0_6detail10TensorInfoIT_T1_EESF_NSC_IKS6_SE_EElS8_S8_SE_T6_ ; -- Begin function _ZN2at4cuda17kernelHistogram1DIlilLi1ELi2ELin1ELNS0_23CUDAHistogramMemoryTypeE1EZNS0_21CUDA_tensor_histogramIliLb0EEEbNS_6TensorES4_S4_lNS_14AccumulateTypeIT0_Lb1EE4typeES8_NS0_13TensorArgTypeES9_S9_EUllE0_EEvNS0_6detail10TensorInfoIT_T1_EESF_NSC_IKS6_SE_EElS8_S8_SE_T6_
	.globl	_ZN2at4cuda17kernelHistogram1DIlilLi1ELi2ELin1ELNS0_23CUDAHistogramMemoryTypeE1EZNS0_21CUDA_tensor_histogramIliLb0EEEbNS_6TensorES4_S4_lNS_14AccumulateTypeIT0_Lb1EE4typeES8_NS0_13TensorArgTypeES9_S9_EUllE0_EEvNS0_6detail10TensorInfoIT_T1_EESF_NSC_IKS6_SE_EElS8_S8_SE_T6_
	.p2align	8
	.type	_ZN2at4cuda17kernelHistogram1DIlilLi1ELi2ELin1ELNS0_23CUDAHistogramMemoryTypeE1EZNS0_21CUDA_tensor_histogramIliLb0EEEbNS_6TensorES4_S4_lNS_14AccumulateTypeIT0_Lb1EE4typeES8_NS0_13TensorArgTypeES9_S9_EUllE0_EEvNS0_6detail10TensorInfoIT_T1_EESF_NSC_IKS6_SE_EElS8_S8_SE_T6_,@function
_ZN2at4cuda17kernelHistogram1DIlilLi1ELi2ELin1ELNS0_23CUDAHistogramMemoryTypeE1EZNS0_21CUDA_tensor_histogramIliLb0EEEbNS_6TensorES4_S4_lNS_14AccumulateTypeIT0_Lb1EE4typeES8_NS0_13TensorArgTypeES9_S9_EUllE0_EEvNS0_6detail10TensorInfoIT_T1_EESF_NSC_IKS6_SE_EElS8_S8_SE_T6_: ; @_ZN2at4cuda17kernelHistogram1DIlilLi1ELi2ELin1ELNS0_23CUDAHistogramMemoryTypeE1EZNS0_21CUDA_tensor_histogramIliLb0EEEbNS_6TensorES4_S4_lNS_14AccumulateTypeIT0_Lb1EE4typeES8_NS0_13TensorArgTypeES9_S9_EUllE0_EEvNS0_6detail10TensorInfoIT_T1_EESF_NSC_IKS6_SE_EElS8_S8_SE_T6_
; %bb.0:
	s_load_b32 s2, s[0:1], 0x514
	s_bfe_u32 s12, ttmp6, 0x4000c
	s_load_b256 s[4:11], s[0:1], 0x4e0
	s_add_co_i32 s12, s12, 1
	s_and_b32 s3, ttmp6, 15
	s_mul_i32 s12, ttmp9, s12
	s_getreg_b32 s13, hwreg(HW_REG_IB_STS2, 6, 4)
	s_add_co_i32 s3, s3, s12
	v_mov_b32_e32 v2, 0
	s_mov_b32 s12, exec_lo
	s_delay_alu instid0(VALU_DEP_1) | instskip(SKIP_4) | instid1(SALU_CYCLE_1)
	v_mov_b32_e32 v1, v2
	s_wait_kmcnt 0x0
	s_and_b32 s2, s2, 0xffff
	s_cmp_eq_u32 s13, 0
	s_cselect_b32 s3, ttmp9, s3
	v_mad_u32 v0, s3, s2, v0
	s_mov_b32 s3, 0
	s_delay_alu instid0(VALU_DEP_1)
	v_cmpx_gt_i64_e64 s[10:11], v[0:1]
	s_cbranch_execz .LBB31_16
; %bb.1:
	s_load_b32 s28, s[0:1], 0x4d8
	s_add_nc_u64 s[20:21], s[0:1], 0x508
	s_load_b32 s22, s[20:21], 0x0
	s_clause 0x3
	s_load_b64 s[12:13], s[0:1], 0x0
	s_load_b64 s[14:15], s[0:1], 0xd0
	;; [unrolled: 1-line block ×4, first 2 shown]
	s_add_nc_u64 s[26:27], s[0:1], 0x340
	v_mov_b64_e32 v[4:5], 1
	s_wait_xcnt 0x0
	s_sub_nc_u64 s[20:21], s[8:9], s[6:7]
	s_mov_b32 s23, s3
	s_mov_b64 s[24:25], 0xffffffff
	s_mov_b32 s40, 0
	s_wait_kmcnt 0x0
	s_mul_i32 s22, s22, s2
	s_cmp_gt_i32 s28, 1
	s_cselect_b32 s1, -1, 0
	s_add_co_i32 s2, s28, -1
	s_add_co_i32 s33, s28, 1
	s_lshl_b64 s[28:29], s[2:3], 3
	s_delay_alu instid0(SALU_CYCLE_1)
	s_add_nc_u64 s[28:29], s[26:27], s[28:29]
	s_ashr_i32 s26, s21, 31
	s_add_nc_u64 s[28:29], s[28:29], 8
	s_branch .LBB31_4
.LBB31_2:                               ;   in Loop: Header=BB31_4 Depth=1
	s_or_b32 exec_lo, exec_lo, s0
	s_delay_alu instid0(VALU_DEP_1) | instskip(NEXT) | instid1(VALU_DEP_1)
	v_dual_ashrrev_i32 v9, 31, v8 :: v_dual_mov_b32 v7, s3
	v_cmp_eq_u64_e32 vcc_lo, s[4:5], v[8:9]
	v_cndmask_b32_e64 v6, 0, 1, vcc_lo
	s_delay_alu instid0(VALU_DEP_1) | instskip(NEXT) | instid1(VALU_DEP_1)
	v_sub_nc_u64_e32 v[6:7], v[8:9], v[6:7]
	v_mul_u64_e32 v[6:7], s[14:15], v[6:7]
	s_delay_alu instid0(VALU_DEP_1)
	v_lshl_add_u64 v[6:7], v[6:7], 3, s[12:13]
	global_atomic_add_u64 v[6:7], v[4:5], off scope:SCOPE_SYS
.LBB31_3:                               ;   in Loop: Header=BB31_4 Depth=1
	s_wait_xcnt 0x0
	s_or_b32 exec_lo, exec_lo, s34
	v_add_nc_u64_e32 v[0:1], s[22:23], v[0:1]
	s_delay_alu instid0(VALU_DEP_1) | instskip(SKIP_1) | instid1(SALU_CYCLE_1)
	v_cmp_le_i64_e32 vcc_lo, s[10:11], v[0:1]
	s_or_b32 s40, vcc_lo, s40
	s_and_not1_b32 exec_lo, exec_lo, s40
	s_cbranch_execz .LBB31_16
.LBB31_4:                               ; =>This Loop Header: Depth=1
                                        ;     Child Loop BB31_5 Depth 2
	v_mov_b64_e32 v[6:7], 0
	v_mov_b64_e32 v[8:9], v[0:1]
	;; [unrolled: 1-line block ×3, first 2 shown]
	s_and_not1_b32 vcc_lo, exec_lo, s1
	s_mov_b64 s[30:31], s[28:29]
	s_mov_b32 s27, s33
	s_cbranch_vccnz .LBB31_11
.LBB31_5:                               ;   Parent Loop BB31_4 Depth=1
                                        ; =>  This Inner Loop Header: Depth=2
	s_load_b64 s[34:35], s[30:31], 0x0
                                        ; implicit-def: $vgpr10_vgpr11
	s_mov_b32 s0, exec_lo
	s_wait_kmcnt 0x0
	s_delay_alu instid0(VALU_DEP_1) | instskip(NEXT) | instid1(VALU_DEP_1)
	v_or_b32_e32 v3, s35, v9
	v_cmpx_ne_u64_e32 0, v[2:3]
	s_xor_b32 s41, exec_lo, s0
	s_cbranch_execz .LBB31_7
; %bb.6:                                ;   in Loop: Header=BB31_5 Depth=2
	s_ashr_i32 s36, s35, 31
	v_dual_mov_b32 v15, v2 :: v_dual_ashrrev_i32 v10, 31, v9
	s_mov_b32 s37, s36
	v_mov_b32_e32 v23, v2
	s_add_nc_u64 s[38:39], s[34:35], s[36:37]
	s_delay_alu instid0(VALU_DEP_2) | instskip(SKIP_1) | instid1(SALU_CYCLE_1)
	v_mov_b32_e32 v11, v10
	s_xor_b64 s[38:39], s[38:39], s[36:37]
	s_cvt_f32_u32 s0, s38
	s_cvt_f32_u32 s2, s39
	s_sub_nc_u64 s[44:45], 0, s[38:39]
	v_add_nc_u64_e32 v[12:13], v[8:9], v[10:11]
	v_mov_b32_e32 v19, v2
	s_fmamk_f32 s0, s2, 0x4f800000, s0
	s_delay_alu instid0(SALU_CYCLE_3) | instskip(NEXT) | instid1(VALU_DEP_2)
	v_s_rcp_f32 s0, s0
	v_xor_b32_e32 v14, v12, v10
	s_delay_alu instid0(VALU_DEP_3) | instskip(NEXT) | instid1(TRANS32_DEP_1)
	v_xor_b32_e32 v18, v13, v10
	s_mul_f32 s0, s0, 0x5f7ffffc
	s_delay_alu instid0(SALU_CYCLE_3) | instskip(NEXT) | instid1(SALU_CYCLE_3)
	s_mul_f32 s2, s0, 0x2f800000
	s_trunc_f32 s2, s2
	s_delay_alu instid0(SALU_CYCLE_3) | instskip(SKIP_1) | instid1(SALU_CYCLE_2)
	s_fmamk_f32 s0, s2, 0xcf800000, s0
	s_cvt_u32_f32 s43, s2
	s_cvt_u32_f32 s42, s0
	s_delay_alu instid0(SALU_CYCLE_3) | instskip(NEXT) | instid1(SALU_CYCLE_1)
	s_mul_u64 s[46:47], s[44:45], s[42:43]
	s_mul_hi_u32 s49, s42, s47
	s_mul_i32 s48, s42, s47
	s_mul_hi_u32 s2, s42, s46
	s_mul_i32 s37, s43, s46
	s_add_nc_u64 s[48:49], s[2:3], s[48:49]
	s_mul_hi_u32 s0, s43, s46
	s_mul_hi_u32 s50, s43, s47
	s_add_co_u32 s2, s48, s37
	s_add_co_ci_u32 s2, s49, s0
	s_mul_i32 s46, s43, s47
	s_add_co_ci_u32 s47, s50, 0
	s_delay_alu instid0(SALU_CYCLE_1) | instskip(NEXT) | instid1(SALU_CYCLE_1)
	s_add_nc_u64 s[46:47], s[2:3], s[46:47]
	s_add_co_u32 s42, s42, s46
	s_cselect_b32 s0, -1, 0
	s_delay_alu instid0(SALU_CYCLE_1) | instskip(SKIP_1) | instid1(SALU_CYCLE_1)
	s_cmp_lg_u32 s0, 0
	s_add_co_ci_u32 s43, s43, s47
	s_mul_u64 s[44:45], s[44:45], s[42:43]
	s_delay_alu instid0(SALU_CYCLE_1)
	s_mul_hi_u32 s47, s42, s45
	s_mul_i32 s46, s42, s45
	s_mul_hi_u32 s2, s42, s44
	s_mul_i32 s37, s43, s44
	s_add_nc_u64 s[46:47], s[2:3], s[46:47]
	s_mul_hi_u32 s0, s43, s44
	s_mul_hi_u32 s48, s43, s45
	s_add_co_u32 s2, s46, s37
	s_add_co_ci_u32 s2, s47, s0
	s_mul_i32 s44, s43, s45
	s_add_co_ci_u32 s45, s48, 0
	s_delay_alu instid0(SALU_CYCLE_1) | instskip(NEXT) | instid1(SALU_CYCLE_1)
	s_add_nc_u64 s[44:45], s[2:3], s[44:45]
	s_add_co_u32 s0, s42, s44
	s_cselect_b32 s2, -1, 0
	v_mul_hi_u32 v22, v14, s0
	s_cmp_lg_u32 s2, 0
	s_add_co_ci_u32 s2, s43, s45
	s_and_b64 s[42:43], s[0:1], s[24:25]
	v_mul_u64_e32 v[16:17], s[2:3], v[14:15]
	v_mul_u64_e32 v[12:13], s[42:43], v[18:19]
	;; [unrolled: 1-line block ×3, first 2 shown]
	s_delay_alu instid0(VALU_DEP_3) | instskip(NEXT) | instid1(VALU_DEP_1)
	v_add_nc_u64_e32 v[16:17], v[22:23], v[16:17]
	v_add_co_u32 v3, vcc_lo, v16, v12
	s_delay_alu instid0(VALU_DEP_2) | instskip(NEXT) | instid1(VALU_DEP_4)
	v_add_co_ci_u32_e32 v22, vcc_lo, v17, v13, vcc_lo
	v_add_co_ci_u32_e32 v21, vcc_lo, 0, v21, vcc_lo
	s_delay_alu instid0(VALU_DEP_1) | instskip(NEXT) | instid1(VALU_DEP_1)
	v_add_nc_u64_e32 v[12:13], v[22:23], v[20:21]
	v_mul_u64_e32 v[16:17], s[38:39], v[12:13]
	s_delay_alu instid0(VALU_DEP_1) | instskip(NEXT) | instid1(VALU_DEP_2)
	v_sub_nc_u32_e32 v3, v18, v17
	v_sub_co_u32 v11, vcc_lo, v14, v16
	s_delay_alu instid0(VALU_DEP_1) | instskip(NEXT) | instid1(VALU_DEP_3)
	v_sub_co_ci_u32_e64 v18, null, v18, v17, vcc_lo
	v_subrev_co_ci_u32_e64 v3, null, s39, v3, vcc_lo
	s_delay_alu instid0(VALU_DEP_3) | instskip(SKIP_1) | instid1(VALU_DEP_3)
	v_sub_co_u32 v14, s0, v11, s38
	v_add_nc_u64_e32 v[16:17], 1, v[12:13]
	v_subrev_co_ci_u32_e64 v3, null, 0, v3, s0
	s_delay_alu instid0(VALU_DEP_3) | instskip(SKIP_1) | instid1(VALU_DEP_3)
	v_cmp_le_u32_e32 vcc_lo, s38, v14
	v_cndmask_b32_e64 v14, 0, -1, vcc_lo
	v_cmp_le_u32_e32 vcc_lo, s39, v3
	v_cndmask_b32_e64 v15, 0, -1, vcc_lo
	;; [unrolled: 2-line block ×4, first 2 shown]
	v_cmp_eq_u32_e32 vcc_lo, s39, v3
	v_cndmask_b32_e32 v3, v15, v14, vcc_lo
	v_cmp_eq_u32_e32 vcc_lo, s39, v18
	v_add_nc_u64_e32 v[14:15], 2, v[12:13]
	v_cndmask_b32_e32 v11, v19, v11, vcc_lo
	s_delay_alu instid0(VALU_DEP_4) | instskip(NEXT) | instid1(VALU_DEP_2)
	v_cmp_ne_u32_e32 vcc_lo, 0, v3
	v_cmp_ne_u32_e64 s0, 0, v11
	s_delay_alu instid0(VALU_DEP_4) | instskip(NEXT) | instid1(VALU_DEP_1)
	v_dual_cndmask_b32 v3, v17, v15, vcc_lo :: v_dual_cndmask_b32 v11, v16, v14, vcc_lo
	v_dual_cndmask_b32 v3, v13, v3, s0 :: v_dual_bitop2_b32 v10, s36, v10 bitop3:0x14
	s_delay_alu instid0(VALU_DEP_1) | instskip(NEXT) | instid1(VALU_DEP_2)
	v_dual_cndmask_b32 v12, v12, v11, s0 :: v_dual_mov_b32 v11, v10
	v_xor_b32_e32 v13, v3, v10
	s_delay_alu instid0(VALU_DEP_2) | instskip(NEXT) | instid1(VALU_DEP_1)
	v_xor_b32_e32 v12, v12, v10
	v_sub_nc_u64_e32 v[10:11], v[12:13], v[10:11]
.LBB31_7:                               ;   in Loop: Header=BB31_5 Depth=2
	s_and_not1_saveexec_b32 s0, s41
	s_cbranch_execz .LBB31_9
; %bb.8:                                ;   in Loop: Header=BB31_5 Depth=2
	v_cvt_f32_u32_e32 v3, s34
	s_sub_co_i32 s2, 0, s34
	s_delay_alu instid0(VALU_DEP_1) | instskip(SKIP_1) | instid1(TRANS32_DEP_1)
	v_rcp_iflag_f32_e32 v3, v3
	v_nop
	v_mul_f32_e32 v3, 0x4f7ffffe, v3
	s_delay_alu instid0(VALU_DEP_1) | instskip(NEXT) | instid1(VALU_DEP_1)
	v_cvt_u32_f32_e32 v3, v3
	v_mul_lo_u32 v10, s2, v3
	s_delay_alu instid0(VALU_DEP_1) | instskip(NEXT) | instid1(VALU_DEP_1)
	v_mul_hi_u32 v10, v3, v10
	v_add_nc_u32_e32 v3, v3, v10
	s_delay_alu instid0(VALU_DEP_1) | instskip(NEXT) | instid1(VALU_DEP_1)
	v_mul_hi_u32 v3, v8, v3
	v_mul_lo_u32 v10, v3, s34
	s_delay_alu instid0(VALU_DEP_1) | instskip(NEXT) | instid1(VALU_DEP_1)
	v_dual_add_nc_u32 v11, 1, v3 :: v_dual_sub_nc_u32 v10, v8, v10
	v_subrev_nc_u32_e32 v12, s34, v10
	v_cmp_le_u32_e32 vcc_lo, s34, v10
	s_delay_alu instid0(VALU_DEP_2) | instskip(NEXT) | instid1(VALU_DEP_1)
	v_dual_cndmask_b32 v10, v10, v12 :: v_dual_cndmask_b32 v3, v3, v11
	v_cmp_le_u32_e32 vcc_lo, s34, v10
	s_delay_alu instid0(VALU_DEP_2) | instskip(NEXT) | instid1(VALU_DEP_1)
	v_add_nc_u32_e32 v11, 1, v3
	v_dual_cndmask_b32 v10, v3, v11 :: v_dual_mov_b32 v11, v2
.LBB31_9:                               ;   in Loop: Header=BB31_5 Depth=2
	s_or_b32 exec_lo, exec_lo, s0
	s_delay_alu instid0(VALU_DEP_1)
	v_mul_u64_e32 v[12:13], s[34:35], v[10:11]
	s_load_b64 s[34:35], s[30:31], 0xc8
	s_add_co_i32 s27, s27, -1
	s_wait_xcnt 0x0
	s_add_nc_u64 s[30:31], s[30:31], -8
	s_cmp_gt_u32 s27, 2
	s_delay_alu instid0(VALU_DEP_1) | instskip(SKIP_1) | instid1(VALU_DEP_1)
	v_sub_nc_u64_e32 v[8:9], v[8:9], v[12:13]
	s_wait_kmcnt 0x0
	v_mad_nc_u64_u32 v[6:7], s34, v8, v[6:7]
	s_delay_alu instid0(VALU_DEP_1) | instskip(NEXT) | instid1(VALU_DEP_1)
	v_mad_u32 v3, s35, v8, v7
	v_mad_u32 v7, s34, v9, v3
	s_cbranch_scc0 .LBB31_11
; %bb.10:                               ;   in Loop: Header=BB31_5 Depth=2
	v_mov_b64_e32 v[8:9], v[10:11]
	s_branch .LBB31_5
.LBB31_11:                              ;   in Loop: Header=BB31_4 Depth=1
	s_delay_alu instid0(VALU_DEP_1) | instskip(NEXT) | instid1(VALU_DEP_1)
	v_mul_u64_e32 v[8:9], s[16:17], v[10:11]
	v_lshl_add_u64 v[8:9], v[8:9], 2, s[18:19]
	s_delay_alu instid0(VALU_DEP_1) | instskip(SKIP_4) | instid1(VALU_DEP_1)
	v_lshl_add_u64 v[6:7], v[6:7], 2, v[8:9]
	global_load_b32 v6, v[6:7], off
	s_wait_loadcnt 0x0
	s_wait_xcnt 0x0
	v_ashrrev_i32_e32 v7, 31, v6
	v_cmp_le_i64_e32 vcc_lo, s[6:7], v[6:7]
	v_cmp_ge_i64_e64 s0, s[8:9], v[6:7]
	s_and_b32 s0, vcc_lo, s0
	s_delay_alu instid0(SALU_CYCLE_1)
	s_and_saveexec_b32 s34, s0
	s_cbranch_execz .LBB31_3
; %bb.12:                               ;   in Loop: Header=BB31_4 Depth=1
	v_sub_nc_u64_e64 v[6:7], v[6:7], s[6:7]
                                        ; implicit-def: $vgpr8_vgpr9
	s_mov_b32 s0, exec_lo
	s_delay_alu instid0(VALU_DEP_1) | instskip(NEXT) | instid1(VALU_DEP_1)
	v_mul_u64_e32 v[6:7], s[4:5], v[6:7]
	v_or_b32_e32 v3, s21, v7
	s_delay_alu instid0(VALU_DEP_1)
	v_cmpx_ne_u64_e32 0, v[2:3]
	s_xor_b32 s35, exec_lo, s0
	s_cbranch_execz .LBB31_14
; %bb.13:                               ;   in Loop: Header=BB31_4 Depth=1
	s_mov_b32 s27, s26
	v_dual_mov_b32 v11, v2 :: v_dual_ashrrev_i32 v8, 31, v7
	s_add_nc_u64 s[30:31], s[20:21], s[26:27]
	v_mov_b32_e32 v19, v2
	s_xor_b64 s[30:31], s[30:31], s[26:27]
	s_delay_alu instid0(VALU_DEP_2) | instskip(SKIP_3) | instid1(VALU_DEP_1)
	v_mov_b32_e32 v9, v8
	s_cvt_f32_u32 s0, s30
	s_cvt_f32_u32 s2, s31
	s_sub_nc_u64 s[38:39], 0, s[30:31]
	v_add_nc_u64_e32 v[6:7], v[6:7], v[8:9]
	s_delay_alu instid0(SALU_CYCLE_1) | instskip(SKIP_1) | instid1(SALU_CYCLE_2)
	s_fmamk_f32 s0, s2, 0x4f800000, s0
	v_mov_b32_e32 v15, v2
	v_s_rcp_f32 s0, s0
	s_delay_alu instid0(VALU_DEP_2) | instskip(NEXT) | instid1(VALU_DEP_3)
	v_xor_b32_e32 v10, v6, v8
	v_xor_b32_e32 v14, v7, v8
	s_delay_alu instid0(TRANS32_DEP_1) | instskip(NEXT) | instid1(SALU_CYCLE_3)
	s_mul_f32 s0, s0, 0x5f7ffffc
	s_mul_f32 s2, s0, 0x2f800000
	s_delay_alu instid0(SALU_CYCLE_3) | instskip(NEXT) | instid1(SALU_CYCLE_3)
	s_trunc_f32 s2, s2
	s_fmamk_f32 s0, s2, 0xcf800000, s0
	s_cvt_u32_f32 s37, s2
	s_delay_alu instid0(SALU_CYCLE_2) | instskip(NEXT) | instid1(SALU_CYCLE_3)
	s_cvt_u32_f32 s36, s0
	s_mul_u64 s[42:43], s[38:39], s[36:37]
	s_delay_alu instid0(SALU_CYCLE_1)
	s_mul_hi_u32 s45, s36, s43
	s_mul_i32 s44, s36, s43
	s_mul_hi_u32 s2, s36, s42
	s_mul_i32 s27, s37, s42
	s_add_nc_u64 s[44:45], s[2:3], s[44:45]
	s_mul_hi_u32 s0, s37, s42
	s_mul_hi_u32 s41, s37, s43
	s_add_co_u32 s2, s44, s27
	s_add_co_ci_u32 s2, s45, s0
	s_mul_i32 s42, s37, s43
	s_add_co_ci_u32 s43, s41, 0
	s_delay_alu instid0(SALU_CYCLE_1) | instskip(NEXT) | instid1(SALU_CYCLE_1)
	s_add_nc_u64 s[42:43], s[2:3], s[42:43]
	s_add_co_u32 s36, s36, s42
	s_cselect_b32 s0, -1, 0
	s_delay_alu instid0(SALU_CYCLE_1) | instskip(SKIP_1) | instid1(SALU_CYCLE_1)
	s_cmp_lg_u32 s0, 0
	s_add_co_ci_u32 s37, s37, s43
	s_mul_u64 s[38:39], s[38:39], s[36:37]
	s_delay_alu instid0(SALU_CYCLE_1)
	s_mul_hi_u32 s43, s36, s39
	s_mul_i32 s42, s36, s39
	s_mul_hi_u32 s2, s36, s38
	s_mul_i32 s27, s37, s38
	s_add_nc_u64 s[42:43], s[2:3], s[42:43]
	s_mul_hi_u32 s0, s37, s38
	s_mul_hi_u32 s41, s37, s39
	s_add_co_u32 s2, s42, s27
	s_add_co_ci_u32 s2, s43, s0
	s_mul_i32 s38, s37, s39
	s_add_co_ci_u32 s39, s41, 0
	s_delay_alu instid0(SALU_CYCLE_1) | instskip(NEXT) | instid1(SALU_CYCLE_1)
	s_add_nc_u64 s[38:39], s[2:3], s[38:39]
	s_add_co_u32 s0, s36, s38
	s_cselect_b32 s2, -1, 0
	v_mul_hi_u32 v18, v10, s0
	s_cmp_lg_u32 s2, 0
	s_add_co_ci_u32 s2, s37, s39
	s_and_b64 s[36:37], s[0:1], s[24:25]
	v_mul_u64_e32 v[12:13], s[2:3], v[10:11]
	v_mul_u64_e32 v[6:7], s[36:37], v[14:15]
	;; [unrolled: 1-line block ×3, first 2 shown]
	s_delay_alu instid0(VALU_DEP_3) | instskip(NEXT) | instid1(VALU_DEP_1)
	v_add_nc_u64_e32 v[12:13], v[18:19], v[12:13]
	v_add_co_u32 v3, vcc_lo, v12, v6
	s_delay_alu instid0(VALU_DEP_2) | instskip(NEXT) | instid1(VALU_DEP_4)
	v_add_co_ci_u32_e32 v18, vcc_lo, v13, v7, vcc_lo
	v_add_co_ci_u32_e32 v17, vcc_lo, 0, v17, vcc_lo
	s_delay_alu instid0(VALU_DEP_1) | instskip(NEXT) | instid1(VALU_DEP_1)
	v_add_nc_u64_e32 v[6:7], v[18:19], v[16:17]
	v_mul_u64_e32 v[12:13], s[30:31], v[6:7]
	s_delay_alu instid0(VALU_DEP_1) | instskip(NEXT) | instid1(VALU_DEP_2)
	v_sub_nc_u32_e32 v3, v14, v13
	v_sub_co_u32 v9, vcc_lo, v10, v12
	s_delay_alu instid0(VALU_DEP_1) | instskip(NEXT) | instid1(VALU_DEP_3)
	v_sub_co_ci_u32_e64 v14, null, v14, v13, vcc_lo
	v_subrev_co_ci_u32_e64 v3, null, s31, v3, vcc_lo
	s_delay_alu instid0(VALU_DEP_3) | instskip(SKIP_1) | instid1(VALU_DEP_3)
	v_sub_co_u32 v10, s0, v9, s30
	v_add_nc_u64_e32 v[12:13], 1, v[6:7]
	v_subrev_co_ci_u32_e64 v3, null, 0, v3, s0
	s_delay_alu instid0(VALU_DEP_3) | instskip(SKIP_1) | instid1(VALU_DEP_3)
	v_cmp_le_u32_e32 vcc_lo, s30, v10
	v_cndmask_b32_e64 v10, 0, -1, vcc_lo
	v_cmp_le_u32_e32 vcc_lo, s31, v3
	v_cndmask_b32_e64 v11, 0, -1, vcc_lo
	;; [unrolled: 2-line block ×4, first 2 shown]
	v_cmp_eq_u32_e32 vcc_lo, s31, v3
	v_cndmask_b32_e32 v3, v11, v10, vcc_lo
	v_cmp_eq_u32_e32 vcc_lo, s31, v14
	v_add_nc_u64_e32 v[10:11], 2, v[6:7]
	v_cndmask_b32_e32 v9, v15, v9, vcc_lo
	s_delay_alu instid0(VALU_DEP_4) | instskip(NEXT) | instid1(VALU_DEP_3)
	v_cmp_ne_u32_e32 vcc_lo, 0, v3
	v_cndmask_b32_e32 v3, v13, v11, vcc_lo
	s_delay_alu instid0(VALU_DEP_3) | instskip(SKIP_1) | instid1(VALU_DEP_1)
	v_cmp_ne_u32_e64 s0, 0, v9
	v_dual_cndmask_b32 v9, v12, v10, vcc_lo :: v_dual_bitop2_b32 v8, s26, v8 bitop3:0x14
	v_dual_cndmask_b32 v3, v7, v3, s0 :: v_dual_cndmask_b32 v6, v6, v9, s0
	s_delay_alu instid0(VALU_DEP_1) | instskip(NEXT) | instid1(VALU_DEP_2)
	v_dual_mov_b32 v9, v8 :: v_dual_bitop2_b32 v7, v3, v8 bitop3:0x14
	v_xor_b32_e32 v6, v6, v8
	s_delay_alu instid0(VALU_DEP_1)
	v_sub_nc_u64_e32 v[8:9], v[6:7], v[8:9]
                                        ; implicit-def: $vgpr6_vgpr7
.LBB31_14:                              ;   in Loop: Header=BB31_4 Depth=1
	s_and_not1_saveexec_b32 s0, s35
	s_cbranch_execz .LBB31_2
; %bb.15:                               ;   in Loop: Header=BB31_4 Depth=1
	v_cvt_f32_u32_e32 v3, s20
	s_sub_co_i32 s2, 0, s20
	s_delay_alu instid0(VALU_DEP_1) | instskip(SKIP_1) | instid1(TRANS32_DEP_1)
	v_rcp_iflag_f32_e32 v3, v3
	v_nop
	v_mul_f32_e32 v3, 0x4f7ffffe, v3
	s_delay_alu instid0(VALU_DEP_1) | instskip(NEXT) | instid1(VALU_DEP_1)
	v_cvt_u32_f32_e32 v3, v3
	v_mul_lo_u32 v7, s2, v3
	s_delay_alu instid0(VALU_DEP_1) | instskip(NEXT) | instid1(VALU_DEP_1)
	v_mul_hi_u32 v7, v3, v7
	v_add_nc_u32_e32 v3, v3, v7
	s_delay_alu instid0(VALU_DEP_1) | instskip(NEXT) | instid1(VALU_DEP_1)
	v_mul_hi_u32 v3, v6, v3
	v_mul_lo_u32 v7, v3, s20
	s_delay_alu instid0(VALU_DEP_1) | instskip(SKIP_1) | instid1(VALU_DEP_2)
	v_sub_nc_u32_e32 v6, v6, v7
	v_add_nc_u32_e32 v7, 1, v3
	v_subrev_nc_u32_e32 v8, s20, v6
	v_cmp_le_u32_e32 vcc_lo, s20, v6
	s_delay_alu instid0(VALU_DEP_2) | instskip(NEXT) | instid1(VALU_DEP_1)
	v_dual_cndmask_b32 v6, v6, v8 :: v_dual_cndmask_b32 v3, v3, v7
	v_cmp_le_u32_e32 vcc_lo, s20, v6
	s_delay_alu instid0(VALU_DEP_2) | instskip(NEXT) | instid1(VALU_DEP_1)
	v_add_nc_u32_e32 v7, 1, v3
	v_cndmask_b32_e32 v8, v3, v7, vcc_lo
	s_branch .LBB31_2
.LBB31_16:
	s_endpgm
	.section	.rodata,"a",@progbits
	.p2align	6, 0x0
	.amdhsa_kernel _ZN2at4cuda17kernelHistogram1DIlilLi1ELi2ELin1ELNS0_23CUDAHistogramMemoryTypeE1EZNS0_21CUDA_tensor_histogramIliLb0EEEbNS_6TensorES4_S4_lNS_14AccumulateTypeIT0_Lb1EE4typeES8_NS0_13TensorArgTypeES9_S9_EUllE0_EEvNS0_6detail10TensorInfoIT_T1_EESF_NSC_IKS6_SE_EElS8_S8_SE_T6_
		.amdhsa_group_segment_fixed_size 0
		.amdhsa_private_segment_fixed_size 0
		.amdhsa_kernarg_size 1544
		.amdhsa_user_sgpr_count 2
		.amdhsa_user_sgpr_dispatch_ptr 0
		.amdhsa_user_sgpr_queue_ptr 0
		.amdhsa_user_sgpr_kernarg_segment_ptr 1
		.amdhsa_user_sgpr_dispatch_id 0
		.amdhsa_user_sgpr_kernarg_preload_length 0
		.amdhsa_user_sgpr_kernarg_preload_offset 0
		.amdhsa_user_sgpr_private_segment_size 0
		.amdhsa_wavefront_size32 1
		.amdhsa_uses_dynamic_stack 0
		.amdhsa_enable_private_segment 0
		.amdhsa_system_sgpr_workgroup_id_x 1
		.amdhsa_system_sgpr_workgroup_id_y 0
		.amdhsa_system_sgpr_workgroup_id_z 0
		.amdhsa_system_sgpr_workgroup_info 0
		.amdhsa_system_vgpr_workitem_id 0
		.amdhsa_next_free_vgpr 24
		.amdhsa_next_free_sgpr 51
		.amdhsa_named_barrier_count 0
		.amdhsa_reserve_vcc 1
		.amdhsa_float_round_mode_32 0
		.amdhsa_float_round_mode_16_64 0
		.amdhsa_float_denorm_mode_32 3
		.amdhsa_float_denorm_mode_16_64 3
		.amdhsa_fp16_overflow 0
		.amdhsa_memory_ordered 1
		.amdhsa_forward_progress 1
		.amdhsa_inst_pref_size 16
		.amdhsa_round_robin_scheduling 0
		.amdhsa_exception_fp_ieee_invalid_op 0
		.amdhsa_exception_fp_denorm_src 0
		.amdhsa_exception_fp_ieee_div_zero 0
		.amdhsa_exception_fp_ieee_overflow 0
		.amdhsa_exception_fp_ieee_underflow 0
		.amdhsa_exception_fp_ieee_inexact 0
		.amdhsa_exception_int_div_zero 0
	.end_amdhsa_kernel
	.section	.text._ZN2at4cuda17kernelHistogram1DIlilLi1ELi2ELin1ELNS0_23CUDAHistogramMemoryTypeE1EZNS0_21CUDA_tensor_histogramIliLb0EEEbNS_6TensorES4_S4_lNS_14AccumulateTypeIT0_Lb1EE4typeES8_NS0_13TensorArgTypeES9_S9_EUllE0_EEvNS0_6detail10TensorInfoIT_T1_EESF_NSC_IKS6_SE_EElS8_S8_SE_T6_,"axG",@progbits,_ZN2at4cuda17kernelHistogram1DIlilLi1ELi2ELin1ELNS0_23CUDAHistogramMemoryTypeE1EZNS0_21CUDA_tensor_histogramIliLb0EEEbNS_6TensorES4_S4_lNS_14AccumulateTypeIT0_Lb1EE4typeES8_NS0_13TensorArgTypeES9_S9_EUllE0_EEvNS0_6detail10TensorInfoIT_T1_EESF_NSC_IKS6_SE_EElS8_S8_SE_T6_,comdat
.Lfunc_end31:
	.size	_ZN2at4cuda17kernelHistogram1DIlilLi1ELi2ELin1ELNS0_23CUDAHistogramMemoryTypeE1EZNS0_21CUDA_tensor_histogramIliLb0EEEbNS_6TensorES4_S4_lNS_14AccumulateTypeIT0_Lb1EE4typeES8_NS0_13TensorArgTypeES9_S9_EUllE0_EEvNS0_6detail10TensorInfoIT_T1_EESF_NSC_IKS6_SE_EElS8_S8_SE_T6_, .Lfunc_end31-_ZN2at4cuda17kernelHistogram1DIlilLi1ELi2ELin1ELNS0_23CUDAHistogramMemoryTypeE1EZNS0_21CUDA_tensor_histogramIliLb0EEEbNS_6TensorES4_S4_lNS_14AccumulateTypeIT0_Lb1EE4typeES8_NS0_13TensorArgTypeES9_S9_EUllE0_EEvNS0_6detail10TensorInfoIT_T1_EESF_NSC_IKS6_SE_EElS8_S8_SE_T6_
                                        ; -- End function
	.set _ZN2at4cuda17kernelHistogram1DIlilLi1ELi2ELin1ELNS0_23CUDAHistogramMemoryTypeE1EZNS0_21CUDA_tensor_histogramIliLb0EEEbNS_6TensorES4_S4_lNS_14AccumulateTypeIT0_Lb1EE4typeES8_NS0_13TensorArgTypeES9_S9_EUllE0_EEvNS0_6detail10TensorInfoIT_T1_EESF_NSC_IKS6_SE_EElS8_S8_SE_T6_.num_vgpr, 24
	.set _ZN2at4cuda17kernelHistogram1DIlilLi1ELi2ELin1ELNS0_23CUDAHistogramMemoryTypeE1EZNS0_21CUDA_tensor_histogramIliLb0EEEbNS_6TensorES4_S4_lNS_14AccumulateTypeIT0_Lb1EE4typeES8_NS0_13TensorArgTypeES9_S9_EUllE0_EEvNS0_6detail10TensorInfoIT_T1_EESF_NSC_IKS6_SE_EElS8_S8_SE_T6_.num_agpr, 0
	.set _ZN2at4cuda17kernelHistogram1DIlilLi1ELi2ELin1ELNS0_23CUDAHistogramMemoryTypeE1EZNS0_21CUDA_tensor_histogramIliLb0EEEbNS_6TensorES4_S4_lNS_14AccumulateTypeIT0_Lb1EE4typeES8_NS0_13TensorArgTypeES9_S9_EUllE0_EEvNS0_6detail10TensorInfoIT_T1_EESF_NSC_IKS6_SE_EElS8_S8_SE_T6_.numbered_sgpr, 51
	.set _ZN2at4cuda17kernelHistogram1DIlilLi1ELi2ELin1ELNS0_23CUDAHistogramMemoryTypeE1EZNS0_21CUDA_tensor_histogramIliLb0EEEbNS_6TensorES4_S4_lNS_14AccumulateTypeIT0_Lb1EE4typeES8_NS0_13TensorArgTypeES9_S9_EUllE0_EEvNS0_6detail10TensorInfoIT_T1_EESF_NSC_IKS6_SE_EElS8_S8_SE_T6_.num_named_barrier, 0
	.set _ZN2at4cuda17kernelHistogram1DIlilLi1ELi2ELin1ELNS0_23CUDAHistogramMemoryTypeE1EZNS0_21CUDA_tensor_histogramIliLb0EEEbNS_6TensorES4_S4_lNS_14AccumulateTypeIT0_Lb1EE4typeES8_NS0_13TensorArgTypeES9_S9_EUllE0_EEvNS0_6detail10TensorInfoIT_T1_EESF_NSC_IKS6_SE_EElS8_S8_SE_T6_.private_seg_size, 0
	.set _ZN2at4cuda17kernelHistogram1DIlilLi1ELi2ELin1ELNS0_23CUDAHistogramMemoryTypeE1EZNS0_21CUDA_tensor_histogramIliLb0EEEbNS_6TensorES4_S4_lNS_14AccumulateTypeIT0_Lb1EE4typeES8_NS0_13TensorArgTypeES9_S9_EUllE0_EEvNS0_6detail10TensorInfoIT_T1_EESF_NSC_IKS6_SE_EElS8_S8_SE_T6_.uses_vcc, 1
	.set _ZN2at4cuda17kernelHistogram1DIlilLi1ELi2ELin1ELNS0_23CUDAHistogramMemoryTypeE1EZNS0_21CUDA_tensor_histogramIliLb0EEEbNS_6TensorES4_S4_lNS_14AccumulateTypeIT0_Lb1EE4typeES8_NS0_13TensorArgTypeES9_S9_EUllE0_EEvNS0_6detail10TensorInfoIT_T1_EESF_NSC_IKS6_SE_EElS8_S8_SE_T6_.uses_flat_scratch, 0
	.set _ZN2at4cuda17kernelHistogram1DIlilLi1ELi2ELin1ELNS0_23CUDAHistogramMemoryTypeE1EZNS0_21CUDA_tensor_histogramIliLb0EEEbNS_6TensorES4_S4_lNS_14AccumulateTypeIT0_Lb1EE4typeES8_NS0_13TensorArgTypeES9_S9_EUllE0_EEvNS0_6detail10TensorInfoIT_T1_EESF_NSC_IKS6_SE_EElS8_S8_SE_T6_.has_dyn_sized_stack, 0
	.set _ZN2at4cuda17kernelHistogram1DIlilLi1ELi2ELin1ELNS0_23CUDAHistogramMemoryTypeE1EZNS0_21CUDA_tensor_histogramIliLb0EEEbNS_6TensorES4_S4_lNS_14AccumulateTypeIT0_Lb1EE4typeES8_NS0_13TensorArgTypeES9_S9_EUllE0_EEvNS0_6detail10TensorInfoIT_T1_EESF_NSC_IKS6_SE_EElS8_S8_SE_T6_.has_recursion, 0
	.set _ZN2at4cuda17kernelHistogram1DIlilLi1ELi2ELin1ELNS0_23CUDAHistogramMemoryTypeE1EZNS0_21CUDA_tensor_histogramIliLb0EEEbNS_6TensorES4_S4_lNS_14AccumulateTypeIT0_Lb1EE4typeES8_NS0_13TensorArgTypeES9_S9_EUllE0_EEvNS0_6detail10TensorInfoIT_T1_EESF_NSC_IKS6_SE_EElS8_S8_SE_T6_.has_indirect_call, 0
	.section	.AMDGPU.csdata,"",@progbits
; Kernel info:
; codeLenInByte = 2032
; TotalNumSgprs: 53
; NumVgprs: 24
; ScratchSize: 0
; MemoryBound: 0
; FloatMode: 240
; IeeeMode: 1
; LDSByteSize: 0 bytes/workgroup (compile time only)
; SGPRBlocks: 0
; VGPRBlocks: 1
; NumSGPRsForWavesPerEU: 53
; NumVGPRsForWavesPerEU: 24
; NamedBarCnt: 0
; Occupancy: 16
; WaveLimiterHint : 1
; COMPUTE_PGM_RSRC2:SCRATCH_EN: 0
; COMPUTE_PGM_RSRC2:USER_SGPR: 2
; COMPUTE_PGM_RSRC2:TRAP_HANDLER: 0
; COMPUTE_PGM_RSRC2:TGID_X_EN: 1
; COMPUTE_PGM_RSRC2:TGID_Y_EN: 0
; COMPUTE_PGM_RSRC2:TGID_Z_EN: 0
; COMPUTE_PGM_RSRC2:TIDIG_COMP_CNT: 0
	.section	.text._ZN2at4cuda17kernelHistogram1DIdilLi1ELi2ELin1ELNS0_23CUDAHistogramMemoryTypeE0EZNS0_21CUDA_tensor_histogramIdiLb1EEEbNS_6TensorES4_S4_lNS_14AccumulateTypeIT0_Lb1EE4typeES8_NS0_13TensorArgTypeES9_S9_EUllE_EEvNS0_6detail10TensorInfoIT_T1_EESF_NSC_IKS6_SE_EElS8_S8_SE_T6_,"axG",@progbits,_ZN2at4cuda17kernelHistogram1DIdilLi1ELi2ELin1ELNS0_23CUDAHistogramMemoryTypeE0EZNS0_21CUDA_tensor_histogramIdiLb1EEEbNS_6TensorES4_S4_lNS_14AccumulateTypeIT0_Lb1EE4typeES8_NS0_13TensorArgTypeES9_S9_EUllE_EEvNS0_6detail10TensorInfoIT_T1_EESF_NSC_IKS6_SE_EElS8_S8_SE_T6_,comdat
	.protected	_ZN2at4cuda17kernelHistogram1DIdilLi1ELi2ELin1ELNS0_23CUDAHistogramMemoryTypeE0EZNS0_21CUDA_tensor_histogramIdiLb1EEEbNS_6TensorES4_S4_lNS_14AccumulateTypeIT0_Lb1EE4typeES8_NS0_13TensorArgTypeES9_S9_EUllE_EEvNS0_6detail10TensorInfoIT_T1_EESF_NSC_IKS6_SE_EElS8_S8_SE_T6_ ; -- Begin function _ZN2at4cuda17kernelHistogram1DIdilLi1ELi2ELin1ELNS0_23CUDAHistogramMemoryTypeE0EZNS0_21CUDA_tensor_histogramIdiLb1EEEbNS_6TensorES4_S4_lNS_14AccumulateTypeIT0_Lb1EE4typeES8_NS0_13TensorArgTypeES9_S9_EUllE_EEvNS0_6detail10TensorInfoIT_T1_EESF_NSC_IKS6_SE_EElS8_S8_SE_T6_
	.globl	_ZN2at4cuda17kernelHistogram1DIdilLi1ELi2ELin1ELNS0_23CUDAHistogramMemoryTypeE0EZNS0_21CUDA_tensor_histogramIdiLb1EEEbNS_6TensorES4_S4_lNS_14AccumulateTypeIT0_Lb1EE4typeES8_NS0_13TensorArgTypeES9_S9_EUllE_EEvNS0_6detail10TensorInfoIT_T1_EESF_NSC_IKS6_SE_EElS8_S8_SE_T6_
	.p2align	8
	.type	_ZN2at4cuda17kernelHistogram1DIdilLi1ELi2ELin1ELNS0_23CUDAHistogramMemoryTypeE0EZNS0_21CUDA_tensor_histogramIdiLb1EEEbNS_6TensorES4_S4_lNS_14AccumulateTypeIT0_Lb1EE4typeES8_NS0_13TensorArgTypeES9_S9_EUllE_EEvNS0_6detail10TensorInfoIT_T1_EESF_NSC_IKS6_SE_EElS8_S8_SE_T6_,@function
_ZN2at4cuda17kernelHistogram1DIdilLi1ELi2ELin1ELNS0_23CUDAHistogramMemoryTypeE0EZNS0_21CUDA_tensor_histogramIdiLb1EEEbNS_6TensorES4_S4_lNS_14AccumulateTypeIT0_Lb1EE4typeES8_NS0_13TensorArgTypeES9_S9_EUllE_EEvNS0_6detail10TensorInfoIT_T1_EESF_NSC_IKS6_SE_EElS8_S8_SE_T6_: ; @_ZN2at4cuda17kernelHistogram1DIdilLi1ELi2ELin1ELNS0_23CUDAHistogramMemoryTypeE0EZNS0_21CUDA_tensor_histogramIdiLb1EEEbNS_6TensorES4_S4_lNS_14AccumulateTypeIT0_Lb1EE4typeES8_NS0_13TensorArgTypeES9_S9_EUllE_EEvNS0_6detail10TensorInfoIT_T1_EESF_NSC_IKS6_SE_EElS8_S8_SE_T6_
; %bb.0:
	s_clause 0x2
	s_load_b128 s[12:15], s[0:1], 0x0
	s_load_b64 s[16:17], s[0:1], 0x500
	s_load_b256 s[4:11], s[0:1], 0x4e0
	v_mov_b32_e32 v1, 0
	s_add_nc_u64 s[28:29], s[0:1], 0x6a0
	s_mov_b32 s3, exec_lo
                                        ; implicit-def: $sgpr18
                                        ; implicit-def: $sgpr19
	s_wait_kmcnt 0x0
	s_delay_alu instid0(VALU_DEP_1)
	v_cmp_gt_i64_e64 s2, s[14:15], v[0:1]
	v_cmpx_le_i64_e64 s[14:15], v[0:1]
	s_xor_b32 s3, exec_lo, s3
	s_cbranch_execz .LBB32_2
; %bb.1:
	s_load_b32 s18, s[28:29], 0xc
	s_wait_kmcnt 0x0
	s_and_b32 s19, s18, 0xffff
.LBB32_2:
	s_or_saveexec_b32 s3, s3
	v_dual_mov_b32 v16, s18 :: v_dual_mov_b32 v15, s19
	v_lshl_add_u32 v14, v0, 3, 0
	s_xor_b32 exec_lo, exec_lo, s3
	s_cbranch_execz .LBB32_6
; %bb.3:
	s_load_b32 s20, s[28:29], 0xc
	v_mov_b64_e32 v[2:3], 0
	v_mov_b64_e32 v[4:5], v[0:1]
	v_lshl_add_u32 v6, v0, 3, 0
	s_mov_b32 s19, 0
	s_delay_alu instid0(SALU_CYCLE_1) | instskip(SKIP_2) | instid1(SALU_CYCLE_1)
	s_mov_b32 s21, s19
	s_wait_kmcnt 0x0
	s_and_b32 s18, s20, 0xffff
	s_lshl_b32 s22, s18, 3
.LBB32_4:                               ; =>This Inner Loop Header: Depth=1
	v_add_nc_u64_e32 v[4:5], s[18:19], v[4:5]
	ds_store_b64 v6, v[2:3]
	v_add_nc_u32_e32 v6, s22, v6
	v_cmp_le_i64_e32 vcc_lo, s[14:15], v[4:5]
	s_or_b32 s21, vcc_lo, s21
	s_delay_alu instid0(SALU_CYCLE_1)
	s_and_not1_b32 exec_lo, exec_lo, s21
	s_cbranch_execnz .LBB32_4
; %bb.5:
	s_or_b32 exec_lo, exec_lo, s21
	v_dual_mov_b32 v16, s20 :: v_dual_mov_b32 v15, s18
.LBB32_6:
	s_or_b32 exec_lo, exec_lo, s3
	s_bfe_u32 s3, ttmp6, 0x4000c
	s_clause 0x1
	s_load_b64 s[18:19], s[0:1], 0xd0
	s_load_b64 s[20:21], s[0:1], 0x5d0
	s_add_co_i32 s3, s3, 1
	s_and_b32 s22, ttmp6, 15
	s_mul_i32 s3, ttmp9, s3
	s_getreg_b32 s23, hwreg(HW_REG_IB_STS2, 6, 4)
	s_add_co_i32 s22, s22, s3
	s_cmp_eq_u32 s23, 0
	v_mov_b32_e32 v4, 0
	s_cselect_b32 s3, ttmp9, s22
	s_mov_b32 s23, 0
	v_mad_u32 v2, s3, v15, v0
	s_mov_b32 s3, exec_lo
	v_mov_b32_e32 v3, v4
	s_wait_dscnt 0x0
	s_barrier_signal -1
	s_barrier_wait -1
	s_delay_alu instid0(VALU_DEP_1)
	v_cmpx_gt_i64_e64 s[10:11], v[2:3]
	s_cbranch_execz .LBB32_22
; %bb.7:
	s_load_b32 s33, s[0:1], 0x4d8
	s_load_b32 s22, s[28:29], 0x0
	s_clause 0x1
	s_load_b64 s[24:25], s[0:1], 0x410
	s_load_b64 s[26:27], s[0:1], 0x340
	s_add_nc_u64 s[34:35], s[0:1], 0x340
	v_mov_b32_e32 v7, v4
	s_wait_xcnt 0x0
	s_sub_nc_u64 s[28:29], s[8:9], s[6:7]
	s_mov_b64 s[30:31], 0xffffffff
	s_mov_b32 s46, 0
	s_wait_kmcnt 0x0
	s_cmp_gt_i32 s33, 1
	v_mul_lo_u32 v6, s22, v15
	s_cselect_b32 s1, -1, 0
	s_add_co_i32 s22, s33, -1
	s_add_co_i32 s33, s33, 1
	s_lshl_b64 s[36:37], s[22:23], 3
	s_delay_alu instid0(SALU_CYCLE_1)
	s_add_nc_u64 s[34:35], s[34:35], s[36:37]
	s_ashr_i32 s36, s29, 31
	s_add_nc_u64 s[34:35], s[34:35], 8
	s_branch .LBB32_10
.LBB32_8:                               ;   in Loop: Header=BB32_10 Depth=1
	s_or_b32 exec_lo, exec_lo, s0
	v_mul_u64_e32 v[8:9], s[20:21], v[2:3]
	s_delay_alu instid0(VALU_DEP_2) | instskip(NEXT) | instid1(VALU_DEP_1)
	v_ashrrev_i32_e32 v11, 31, v10
	v_cmp_eq_u64_e32 vcc_lo, s[4:5], v[10:11]
	v_subrev_co_ci_u32_e64 v5, null, 0, v10, vcc_lo
	s_delay_alu instid0(VALU_DEP_1)
	v_lshl_add_u32 v5, v5, 3, 0
	v_lshl_add_u64 v[8:9], v[8:9], 3, s[16:17]
	global_load_b64 v[8:9], v[8:9], off
	s_wait_loadcnt 0x0
	ds_add_f64 v5, v[8:9]
.LBB32_9:                               ;   in Loop: Header=BB32_10 Depth=1
	s_wait_xcnt 0x0
	s_or_b32 exec_lo, exec_lo, s40
	v_add_nc_u64_e32 v[2:3], v[2:3], v[6:7]
	s_delay_alu instid0(VALU_DEP_1) | instskip(SKIP_1) | instid1(SALU_CYCLE_1)
	v_cmp_le_i64_e32 vcc_lo, s[10:11], v[2:3]
	s_or_b32 s46, vcc_lo, s46
	s_and_not1_b32 exec_lo, exec_lo, s46
	s_cbranch_execz .LBB32_22
.LBB32_10:                              ; =>This Loop Header: Depth=1
                                        ;     Child Loop BB32_11 Depth 2
	v_mov_b64_e32 v[8:9], 0
	v_mov_b64_e32 v[10:11], v[2:3]
	;; [unrolled: 1-line block ×3, first 2 shown]
	s_and_not1_b32 vcc_lo, exec_lo, s1
	s_mov_b64 s[38:39], s[34:35]
	s_mov_b32 s37, s33
	s_cbranch_vccnz .LBB32_17
.LBB32_11:                              ;   Parent Loop BB32_10 Depth=1
                                        ; =>  This Inner Loop Header: Depth=2
	s_load_b64 s[40:41], s[38:39], 0x0
                                        ; implicit-def: $vgpr12_vgpr13
	s_mov_b32 s0, exec_lo
	s_wait_kmcnt 0x0
	s_delay_alu instid0(VALU_DEP_1) | instskip(NEXT) | instid1(VALU_DEP_1)
	v_or_b32_e32 v5, s41, v11
	v_cmpx_ne_u64_e32 0, v[4:5]
	s_xor_b32 s47, exec_lo, s0
	s_cbranch_execz .LBB32_13
; %bb.12:                               ;   in Loop: Header=BB32_11 Depth=2
	s_ashr_i32 s42, s41, 31
	v_dual_mov_b32 v21, v4 :: v_dual_ashrrev_i32 v12, 31, v11
	s_mov_b32 s43, s42
	v_mov_b32_e32 v29, v4
	s_add_nc_u64 s[44:45], s[40:41], s[42:43]
	s_delay_alu instid0(VALU_DEP_2) | instskip(SKIP_1) | instid1(SALU_CYCLE_1)
	v_mov_b32_e32 v13, v12
	s_xor_b64 s[44:45], s[44:45], s[42:43]
	s_cvt_f32_u32 s0, s44
	s_cvt_f32_u32 s22, s45
	s_sub_nc_u64 s[50:51], 0, s[44:45]
	v_add_nc_u64_e32 v[18:19], v[10:11], v[12:13]
	v_mov_b32_e32 v25, v4
	s_fmamk_f32 s0, s22, 0x4f800000, s0
	s_delay_alu instid0(SALU_CYCLE_3) | instskip(NEXT) | instid1(VALU_DEP_2)
	v_s_rcp_f32 s0, s0
	v_xor_b32_e32 v20, v18, v12
	s_delay_alu instid0(VALU_DEP_3) | instskip(SKIP_1) | instid1(TRANS32_DEP_1)
	v_xor_b32_e32 v24, v19, v12
	v_xor_b32_e32 v12, s42, v12
	s_mul_f32 s0, s0, 0x5f7ffffc
	s_delay_alu instid0(SALU_CYCLE_3) | instskip(NEXT) | instid1(SALU_CYCLE_3)
	s_mul_f32 s22, s0, 0x2f800000
	s_trunc_f32 s22, s22
	s_delay_alu instid0(SALU_CYCLE_3) | instskip(SKIP_1) | instid1(SALU_CYCLE_2)
	s_fmamk_f32 s0, s22, 0xcf800000, s0
	s_cvt_u32_f32 s49, s22
	s_cvt_u32_f32 s48, s0
	s_delay_alu instid0(SALU_CYCLE_3) | instskip(NEXT) | instid1(SALU_CYCLE_1)
	s_mul_u64 s[52:53], s[50:51], s[48:49]
	s_mul_hi_u32 s55, s48, s53
	s_mul_i32 s54, s48, s53
	s_mul_hi_u32 s22, s48, s52
	s_mul_i32 s43, s49, s52
	s_add_nc_u64 s[54:55], s[22:23], s[54:55]
	s_mul_hi_u32 s0, s49, s52
	s_mul_hi_u32 s56, s49, s53
	s_add_co_u32 s22, s54, s43
	s_add_co_ci_u32 s22, s55, s0
	s_mul_i32 s52, s49, s53
	s_add_co_ci_u32 s53, s56, 0
	s_delay_alu instid0(SALU_CYCLE_1) | instskip(NEXT) | instid1(SALU_CYCLE_1)
	s_add_nc_u64 s[52:53], s[22:23], s[52:53]
	s_add_co_u32 s48, s48, s52
	s_cselect_b32 s0, -1, 0
	s_delay_alu instid0(SALU_CYCLE_1) | instskip(SKIP_1) | instid1(SALU_CYCLE_1)
	s_cmp_lg_u32 s0, 0
	s_add_co_ci_u32 s49, s49, s53
	s_mul_u64 s[50:51], s[50:51], s[48:49]
	s_delay_alu instid0(SALU_CYCLE_1)
	s_mul_hi_u32 s53, s48, s51
	s_mul_i32 s52, s48, s51
	s_mul_hi_u32 s22, s48, s50
	s_mul_i32 s43, s49, s50
	s_add_nc_u64 s[52:53], s[22:23], s[52:53]
	s_mul_hi_u32 s0, s49, s50
	s_mul_hi_u32 s54, s49, s51
	s_add_co_u32 s22, s52, s43
	s_add_co_ci_u32 s22, s53, s0
	s_mul_i32 s50, s49, s51
	s_add_co_ci_u32 s51, s54, 0
	s_delay_alu instid0(SALU_CYCLE_1) | instskip(NEXT) | instid1(SALU_CYCLE_1)
	s_add_nc_u64 s[50:51], s[22:23], s[50:51]
	s_add_co_u32 s0, s48, s50
	s_cselect_b32 s22, -1, 0
	v_mul_hi_u32 v28, v20, s0
	s_cmp_lg_u32 s22, 0
	s_add_co_ci_u32 s22, s49, s51
	s_and_b64 s[48:49], s[0:1], s[30:31]
	v_mul_u64_e32 v[22:23], s[22:23], v[20:21]
	v_mul_u64_e32 v[18:19], s[48:49], v[24:25]
	v_mul_u64_e32 v[26:27], s[22:23], v[24:25]
	s_delay_alu instid0(VALU_DEP_3) | instskip(NEXT) | instid1(VALU_DEP_1)
	v_add_nc_u64_e32 v[22:23], v[28:29], v[22:23]
	v_add_co_u32 v5, vcc_lo, v22, v18
	s_delay_alu instid0(VALU_DEP_2) | instskip(NEXT) | instid1(VALU_DEP_4)
	v_add_co_ci_u32_e32 v28, vcc_lo, v23, v19, vcc_lo
	v_add_co_ci_u32_e32 v27, vcc_lo, 0, v27, vcc_lo
	s_delay_alu instid0(VALU_DEP_1) | instskip(NEXT) | instid1(VALU_DEP_1)
	v_add_nc_u64_e32 v[18:19], v[28:29], v[26:27]
	v_mul_u64_e32 v[22:23], s[44:45], v[18:19]
	s_delay_alu instid0(VALU_DEP_1) | instskip(NEXT) | instid1(VALU_DEP_2)
	v_sub_nc_u32_e32 v5, v24, v23
	v_sub_co_u32 v13, vcc_lo, v20, v22
	s_delay_alu instid0(VALU_DEP_1) | instskip(NEXT) | instid1(VALU_DEP_3)
	v_sub_co_ci_u32_e64 v24, null, v24, v23, vcc_lo
	v_subrev_co_ci_u32_e64 v5, null, s45, v5, vcc_lo
	s_delay_alu instid0(VALU_DEP_3) | instskip(SKIP_1) | instid1(VALU_DEP_3)
	v_sub_co_u32 v17, s0, v13, s44
	v_add_nc_u64_e32 v[22:23], 1, v[18:19]
	v_subrev_co_ci_u32_e64 v5, null, 0, v5, s0
	s_delay_alu instid0(VALU_DEP_3) | instskip(SKIP_1) | instid1(VALU_DEP_3)
	v_cmp_le_u32_e32 vcc_lo, s44, v17
	v_cndmask_b32_e64 v17, 0, -1, vcc_lo
	v_cmp_le_u32_e32 vcc_lo, s45, v5
	v_cndmask_b32_e64 v20, 0, -1, vcc_lo
	v_cmp_le_u32_e32 vcc_lo, s44, v13
	v_cndmask_b32_e64 v13, 0, -1, vcc_lo
	v_cmp_le_u32_e32 vcc_lo, s45, v24
	v_cndmask_b32_e64 v25, 0, -1, vcc_lo
	v_cmp_eq_u32_e32 vcc_lo, s45, v5
	v_cndmask_b32_e32 v5, v20, v17, vcc_lo
	v_cmp_eq_u32_e32 vcc_lo, s45, v24
	v_add_nc_u64_e32 v[20:21], 2, v[18:19]
	v_cndmask_b32_e32 v13, v25, v13, vcc_lo
	s_delay_alu instid0(VALU_DEP_4) | instskip(NEXT) | instid1(VALU_DEP_2)
	v_cmp_ne_u32_e32 vcc_lo, 0, v5
	v_cmp_ne_u32_e64 s0, 0, v13
	s_delay_alu instid0(VALU_DEP_4) | instskip(NEXT) | instid1(VALU_DEP_1)
	v_dual_cndmask_b32 v5, v23, v21, vcc_lo :: v_dual_cndmask_b32 v13, v22, v20, vcc_lo
	v_dual_cndmask_b32 v17, v18, v13, s0 :: v_dual_mov_b32 v13, v12
	s_delay_alu instid0(VALU_DEP_1) | instskip(NEXT) | instid1(VALU_DEP_1)
	v_dual_cndmask_b32 v5, v19, v5, s0 :: v_dual_bitop2_b32 v18, v17, v12 bitop3:0x14
	v_xor_b32_e32 v19, v5, v12
	s_delay_alu instid0(VALU_DEP_1)
	v_sub_nc_u64_e32 v[12:13], v[18:19], v[12:13]
.LBB32_13:                              ;   in Loop: Header=BB32_11 Depth=2
	s_and_not1_saveexec_b32 s0, s47
	s_cbranch_execz .LBB32_15
; %bb.14:                               ;   in Loop: Header=BB32_11 Depth=2
	v_cvt_f32_u32_e32 v5, s40
	s_sub_co_i32 s22, 0, s40
	s_delay_alu instid0(VALU_DEP_1) | instskip(SKIP_1) | instid1(TRANS32_DEP_1)
	v_rcp_iflag_f32_e32 v5, v5
	v_nop
	v_mul_f32_e32 v5, 0x4f7ffffe, v5
	s_delay_alu instid0(VALU_DEP_1) | instskip(NEXT) | instid1(VALU_DEP_1)
	v_cvt_u32_f32_e32 v5, v5
	v_mul_lo_u32 v12, s22, v5
	s_delay_alu instid0(VALU_DEP_1) | instskip(NEXT) | instid1(VALU_DEP_1)
	v_mul_hi_u32 v12, v5, v12
	v_add_nc_u32_e32 v5, v5, v12
	s_delay_alu instid0(VALU_DEP_1) | instskip(NEXT) | instid1(VALU_DEP_1)
	v_mul_hi_u32 v5, v10, v5
	v_mul_lo_u32 v12, v5, s40
	s_delay_alu instid0(VALU_DEP_1) | instskip(NEXT) | instid1(VALU_DEP_1)
	v_dual_add_nc_u32 v13, 1, v5 :: v_dual_sub_nc_u32 v12, v10, v12
	v_subrev_nc_u32_e32 v17, s40, v12
	v_cmp_le_u32_e32 vcc_lo, s40, v12
	s_delay_alu instid0(VALU_DEP_2) | instskip(NEXT) | instid1(VALU_DEP_4)
	v_cndmask_b32_e32 v12, v12, v17, vcc_lo
	v_cndmask_b32_e32 v5, v5, v13, vcc_lo
	s_delay_alu instid0(VALU_DEP_2) | instskip(NEXT) | instid1(VALU_DEP_2)
	v_cmp_le_u32_e32 vcc_lo, s40, v12
	v_add_nc_u32_e32 v13, 1, v5
	s_delay_alu instid0(VALU_DEP_1)
	v_dual_cndmask_b32 v12, v5, v13 :: v_dual_mov_b32 v13, v4
.LBB32_15:                              ;   in Loop: Header=BB32_11 Depth=2
	s_or_b32 exec_lo, exec_lo, s0
	s_delay_alu instid0(VALU_DEP_1)
	v_mul_u64_e32 v[18:19], s[40:41], v[12:13]
	s_load_b64 s[40:41], s[38:39], 0xc8
	s_add_co_i32 s37, s37, -1
	s_wait_xcnt 0x0
	s_add_nc_u64 s[38:39], s[38:39], -8
	s_cmp_gt_u32 s37, 2
	s_delay_alu instid0(VALU_DEP_1) | instskip(SKIP_1) | instid1(VALU_DEP_1)
	v_sub_nc_u64_e32 v[10:11], v[10:11], v[18:19]
	s_wait_kmcnt 0x0
	v_mad_nc_u64_u32 v[8:9], s40, v10, v[8:9]
	s_delay_alu instid0(VALU_DEP_1) | instskip(NEXT) | instid1(VALU_DEP_1)
	v_mad_u32 v5, s41, v10, v9
	v_mad_u32 v9, s40, v11, v5
	s_cbranch_scc0 .LBB32_17
; %bb.16:                               ;   in Loop: Header=BB32_11 Depth=2
	v_mov_b64_e32 v[10:11], v[12:13]
	s_branch .LBB32_11
.LBB32_17:                              ;   in Loop: Header=BB32_10 Depth=1
	s_delay_alu instid0(VALU_DEP_1) | instskip(NEXT) | instid1(VALU_DEP_1)
	v_mul_u64_e32 v[10:11], s[24:25], v[12:13]
	v_lshl_add_u64 v[10:11], v[10:11], 2, s[26:27]
	s_delay_alu instid0(VALU_DEP_1) | instskip(SKIP_4) | instid1(VALU_DEP_1)
	v_lshl_add_u64 v[8:9], v[8:9], 2, v[10:11]
	global_load_b32 v8, v[8:9], off
	s_wait_loadcnt 0x0
	s_wait_xcnt 0x0
	v_ashrrev_i32_e32 v9, 31, v8
	v_cmp_le_i64_e32 vcc_lo, s[6:7], v[8:9]
	v_cmp_ge_i64_e64 s0, s[8:9], v[8:9]
	s_and_b32 s0, vcc_lo, s0
	s_delay_alu instid0(SALU_CYCLE_1)
	s_and_saveexec_b32 s40, s0
	s_cbranch_execz .LBB32_9
; %bb.18:                               ;   in Loop: Header=BB32_10 Depth=1
	v_sub_nc_u64_e64 v[8:9], v[8:9], s[6:7]
                                        ; implicit-def: $vgpr10_vgpr11
	s_mov_b32 s0, exec_lo
	s_delay_alu instid0(VALU_DEP_1) | instskip(NEXT) | instid1(VALU_DEP_1)
	v_mul_u64_e32 v[8:9], s[4:5], v[8:9]
	v_or_b32_e32 v5, s29, v9
	s_delay_alu instid0(VALU_DEP_1)
	v_cmpx_ne_u64_e32 0, v[4:5]
	s_xor_b32 s41, exec_lo, s0
	s_cbranch_execz .LBB32_20
; %bb.19:                               ;   in Loop: Header=BB32_10 Depth=1
	s_mov_b32 s37, s36
	v_dual_mov_b32 v13, v4 :: v_dual_ashrrev_i32 v10, 31, v9
	s_add_nc_u64 s[38:39], s[28:29], s[36:37]
	v_mov_b32_e32 v25, v4
	s_xor_b64 s[38:39], s[38:39], s[36:37]
	s_delay_alu instid0(VALU_DEP_2) | instskip(SKIP_3) | instid1(VALU_DEP_1)
	v_mov_b32_e32 v11, v10
	s_cvt_f32_u32 s0, s38
	s_cvt_f32_u32 s22, s39
	s_sub_nc_u64 s[44:45], 0, s[38:39]
	v_add_nc_u64_e32 v[8:9], v[8:9], v[10:11]
	s_delay_alu instid0(SALU_CYCLE_1) | instskip(SKIP_1) | instid1(SALU_CYCLE_2)
	s_fmamk_f32 s0, s22, 0x4f800000, s0
	v_mov_b32_e32 v21, v4
	v_s_rcp_f32 s0, s0
	s_delay_alu instid0(VALU_DEP_2) | instskip(NEXT) | instid1(VALU_DEP_3)
	v_xor_b32_e32 v12, v8, v10
	v_xor_b32_e32 v20, v9, v10
	s_delay_alu instid0(TRANS32_DEP_1) | instskip(NEXT) | instid1(SALU_CYCLE_3)
	s_mul_f32 s0, s0, 0x5f7ffffc
	s_mul_f32 s22, s0, 0x2f800000
	s_delay_alu instid0(SALU_CYCLE_3) | instskip(NEXT) | instid1(SALU_CYCLE_3)
	s_trunc_f32 s22, s22
	s_fmamk_f32 s0, s22, 0xcf800000, s0
	s_cvt_u32_f32 s43, s22
	s_delay_alu instid0(SALU_CYCLE_2) | instskip(NEXT) | instid1(SALU_CYCLE_3)
	s_cvt_u32_f32 s42, s0
	s_mul_u64 s[48:49], s[44:45], s[42:43]
	s_delay_alu instid0(SALU_CYCLE_1)
	s_mul_hi_u32 s51, s42, s49
	s_mul_i32 s50, s42, s49
	s_mul_hi_u32 s22, s42, s48
	s_mul_i32 s37, s43, s48
	s_add_nc_u64 s[50:51], s[22:23], s[50:51]
	s_mul_hi_u32 s0, s43, s48
	s_mul_hi_u32 s47, s43, s49
	s_add_co_u32 s22, s50, s37
	s_add_co_ci_u32 s22, s51, s0
	s_mul_i32 s48, s43, s49
	s_add_co_ci_u32 s49, s47, 0
	s_delay_alu instid0(SALU_CYCLE_1) | instskip(NEXT) | instid1(SALU_CYCLE_1)
	s_add_nc_u64 s[48:49], s[22:23], s[48:49]
	s_add_co_u32 s42, s42, s48
	s_cselect_b32 s0, -1, 0
	s_delay_alu instid0(SALU_CYCLE_1) | instskip(SKIP_1) | instid1(SALU_CYCLE_1)
	s_cmp_lg_u32 s0, 0
	s_add_co_ci_u32 s43, s43, s49
	s_mul_u64 s[44:45], s[44:45], s[42:43]
	s_delay_alu instid0(SALU_CYCLE_1)
	s_mul_hi_u32 s49, s42, s45
	s_mul_i32 s48, s42, s45
	s_mul_hi_u32 s22, s42, s44
	s_mul_i32 s37, s43, s44
	s_add_nc_u64 s[48:49], s[22:23], s[48:49]
	s_mul_hi_u32 s0, s43, s44
	s_mul_hi_u32 s47, s43, s45
	s_add_co_u32 s22, s48, s37
	s_add_co_ci_u32 s22, s49, s0
	s_mul_i32 s44, s43, s45
	s_add_co_ci_u32 s45, s47, 0
	s_delay_alu instid0(SALU_CYCLE_1) | instskip(NEXT) | instid1(SALU_CYCLE_1)
	s_add_nc_u64 s[44:45], s[22:23], s[44:45]
	s_add_co_u32 s0, s42, s44
	s_cselect_b32 s22, -1, 0
	v_mul_hi_u32 v24, v12, s0
	s_cmp_lg_u32 s22, 0
	s_add_co_ci_u32 s22, s43, s45
	s_and_b64 s[42:43], s[0:1], s[30:31]
	v_mul_u64_e32 v[18:19], s[22:23], v[12:13]
	v_mul_u64_e32 v[8:9], s[42:43], v[20:21]
	;; [unrolled: 1-line block ×3, first 2 shown]
	s_delay_alu instid0(VALU_DEP_3) | instskip(NEXT) | instid1(VALU_DEP_1)
	v_add_nc_u64_e32 v[18:19], v[24:25], v[18:19]
	v_add_co_u32 v5, vcc_lo, v18, v8
	s_delay_alu instid0(VALU_DEP_2) | instskip(NEXT) | instid1(VALU_DEP_4)
	v_add_co_ci_u32_e32 v24, vcc_lo, v19, v9, vcc_lo
	v_add_co_ci_u32_e32 v23, vcc_lo, 0, v23, vcc_lo
	s_delay_alu instid0(VALU_DEP_1) | instskip(NEXT) | instid1(VALU_DEP_1)
	v_add_nc_u64_e32 v[8:9], v[24:25], v[22:23]
	v_mul_u64_e32 v[18:19], s[38:39], v[8:9]
	s_delay_alu instid0(VALU_DEP_1) | instskip(NEXT) | instid1(VALU_DEP_2)
	v_sub_nc_u32_e32 v5, v20, v19
	v_sub_co_u32 v11, vcc_lo, v12, v18
	s_delay_alu instid0(VALU_DEP_1) | instskip(NEXT) | instid1(VALU_DEP_3)
	v_sub_co_ci_u32_e64 v17, null, v20, v19, vcc_lo
	v_subrev_co_ci_u32_e64 v5, null, s39, v5, vcc_lo
	s_delay_alu instid0(VALU_DEP_3) | instskip(SKIP_1) | instid1(VALU_DEP_3)
	v_sub_co_u32 v12, s0, v11, s38
	v_add_nc_u64_e32 v[18:19], 1, v[8:9]
	v_subrev_co_ci_u32_e64 v5, null, 0, v5, s0
	s_delay_alu instid0(VALU_DEP_3) | instskip(SKIP_1) | instid1(VALU_DEP_3)
	v_cmp_le_u32_e32 vcc_lo, s38, v12
	v_cndmask_b32_e64 v12, 0, -1, vcc_lo
	v_cmp_le_u32_e32 vcc_lo, s39, v5
	v_cndmask_b32_e64 v13, 0, -1, vcc_lo
	;; [unrolled: 2-line block ×4, first 2 shown]
	v_cmp_eq_u32_e32 vcc_lo, s39, v5
	v_cndmask_b32_e32 v5, v13, v12, vcc_lo
	v_cmp_eq_u32_e32 vcc_lo, s39, v17
	v_add_nc_u64_e32 v[12:13], 2, v[8:9]
	v_cndmask_b32_e32 v11, v20, v11, vcc_lo
	s_delay_alu instid0(VALU_DEP_4) | instskip(NEXT) | instid1(VALU_DEP_3)
	v_cmp_ne_u32_e32 vcc_lo, 0, v5
	v_cndmask_b32_e32 v5, v19, v13, vcc_lo
	s_delay_alu instid0(VALU_DEP_3) | instskip(SKIP_1) | instid1(VALU_DEP_1)
	v_cmp_ne_u32_e64 s0, 0, v11
	v_dual_cndmask_b32 v11, v18, v12, vcc_lo :: v_dual_bitop2_b32 v10, s36, v10 bitop3:0x14
	v_dual_cndmask_b32 v5, v9, v5, s0 :: v_dual_cndmask_b32 v8, v8, v11, s0
	s_delay_alu instid0(VALU_DEP_1) | instskip(NEXT) | instid1(VALU_DEP_2)
	v_dual_mov_b32 v11, v10 :: v_dual_bitop2_b32 v9, v5, v10 bitop3:0x14
	v_xor_b32_e32 v8, v8, v10
	s_delay_alu instid0(VALU_DEP_1)
	v_sub_nc_u64_e32 v[10:11], v[8:9], v[10:11]
                                        ; implicit-def: $vgpr8_vgpr9
.LBB32_20:                              ;   in Loop: Header=BB32_10 Depth=1
	s_and_not1_saveexec_b32 s0, s41
	s_cbranch_execz .LBB32_8
; %bb.21:                               ;   in Loop: Header=BB32_10 Depth=1
	v_cvt_f32_u32_e32 v5, s28
	s_sub_co_i32 s22, 0, s28
	s_delay_alu instid0(VALU_DEP_1) | instskip(SKIP_1) | instid1(TRANS32_DEP_1)
	v_rcp_iflag_f32_e32 v5, v5
	v_nop
	v_mul_f32_e32 v5, 0x4f7ffffe, v5
	s_delay_alu instid0(VALU_DEP_1) | instskip(NEXT) | instid1(VALU_DEP_1)
	v_cvt_u32_f32_e32 v5, v5
	v_mul_lo_u32 v9, s22, v5
	s_delay_alu instid0(VALU_DEP_1) | instskip(NEXT) | instid1(VALU_DEP_1)
	v_mul_hi_u32 v9, v5, v9
	v_add_nc_u32_e32 v5, v5, v9
	s_delay_alu instid0(VALU_DEP_1) | instskip(NEXT) | instid1(VALU_DEP_1)
	v_mul_hi_u32 v5, v8, v5
	v_mul_lo_u32 v9, v5, s28
	s_delay_alu instid0(VALU_DEP_1) | instskip(SKIP_1) | instid1(VALU_DEP_2)
	v_sub_nc_u32_e32 v8, v8, v9
	v_add_nc_u32_e32 v9, 1, v5
	v_subrev_nc_u32_e32 v10, s28, v8
	v_cmp_le_u32_e32 vcc_lo, s28, v8
	s_delay_alu instid0(VALU_DEP_2) | instskip(NEXT) | instid1(VALU_DEP_1)
	v_dual_cndmask_b32 v8, v8, v10 :: v_dual_cndmask_b32 v5, v5, v9
	v_cmp_le_u32_e32 vcc_lo, s28, v8
	s_delay_alu instid0(VALU_DEP_2) | instskip(NEXT) | instid1(VALU_DEP_1)
	v_add_nc_u32_e32 v9, 1, v5
	v_cndmask_b32_e32 v10, v5, v9, vcc_lo
	s_branch .LBB32_8
.LBB32_22:
	s_or_b32 exec_lo, exec_lo, s3
; %bb.23:
	s_wait_dscnt 0x0
	s_barrier_signal -1
	s_barrier_wait -1
	s_wait_xcnt 0x0
	s_and_saveexec_b32 s0, s2
	s_cbranch_execz .LBB32_26
; %bb.24:
	s_mov_b32 s0, 0
	v_and_b32_e32 v2, 0xffff, v16
	v_dual_mov_b32 v3, s0 :: v_dual_lshlrev_b32 v8, 3, v15
	s_wait_kmcnt 0x0
	v_mul_u64_e32 v[6:7], s[18:19], v[0:1]
	s_delay_alu instid0(VALU_DEP_2) | instskip(NEXT) | instid1(VALU_DEP_2)
	v_mul_u64_e32 v[4:5], s[18:19], v[2:3]
	v_lshl_add_u64 v[6:7], v[6:7], 3, s[12:13]
	s_delay_alu instid0(VALU_DEP_2)
	v_lshlrev_b64_e32 v[4:5], 3, v[4:5]
.LBB32_25:                              ; =>This Inner Loop Header: Depth=1
	ds_load_b64 v[10:11], v14
	v_add_nc_u64_e32 v[0:1], v[0:1], v[2:3]
	v_add_nc_u32_e32 v14, v14, v8
	s_delay_alu instid0(VALU_DEP_2)
	v_cmp_le_i64_e32 vcc_lo, s[14:15], v[0:1]
	s_or_b32 s0, vcc_lo, s0
	s_wait_dscnt 0x0
	global_atomic_add_f64 v[6:7], v[10:11], off scope:SCOPE_DEV
	s_wait_xcnt 0x0
	v_add_nc_u64_e32 v[6:7], v[6:7], v[4:5]
	s_and_not1_b32 exec_lo, exec_lo, s0
	s_cbranch_execnz .LBB32_25
.LBB32_26:
	s_endpgm
	.section	.rodata,"a",@progbits
	.p2align	6, 0x0
	.amdhsa_kernel _ZN2at4cuda17kernelHistogram1DIdilLi1ELi2ELin1ELNS0_23CUDAHistogramMemoryTypeE0EZNS0_21CUDA_tensor_histogramIdiLb1EEEbNS_6TensorES4_S4_lNS_14AccumulateTypeIT0_Lb1EE4typeES8_NS0_13TensorArgTypeES9_S9_EUllE_EEvNS0_6detail10TensorInfoIT_T1_EESF_NSC_IKS6_SE_EElS8_S8_SE_T6_
		.amdhsa_group_segment_fixed_size 0
		.amdhsa_private_segment_fixed_size 0
		.amdhsa_kernarg_size 1952
		.amdhsa_user_sgpr_count 2
		.amdhsa_user_sgpr_dispatch_ptr 0
		.amdhsa_user_sgpr_queue_ptr 0
		.amdhsa_user_sgpr_kernarg_segment_ptr 1
		.amdhsa_user_sgpr_dispatch_id 0
		.amdhsa_user_sgpr_kernarg_preload_length 0
		.amdhsa_user_sgpr_kernarg_preload_offset 0
		.amdhsa_user_sgpr_private_segment_size 0
		.amdhsa_wavefront_size32 1
		.amdhsa_uses_dynamic_stack 0
		.amdhsa_enable_private_segment 0
		.amdhsa_system_sgpr_workgroup_id_x 1
		.amdhsa_system_sgpr_workgroup_id_y 0
		.amdhsa_system_sgpr_workgroup_id_z 0
		.amdhsa_system_sgpr_workgroup_info 0
		.amdhsa_system_vgpr_workitem_id 0
		.amdhsa_next_free_vgpr 30
		.amdhsa_next_free_sgpr 57
		.amdhsa_named_barrier_count 0
		.amdhsa_reserve_vcc 1
		.amdhsa_float_round_mode_32 0
		.amdhsa_float_round_mode_16_64 0
		.amdhsa_float_denorm_mode_32 3
		.amdhsa_float_denorm_mode_16_64 3
		.amdhsa_fp16_overflow 0
		.amdhsa_memory_ordered 1
		.amdhsa_forward_progress 1
		.amdhsa_inst_pref_size 19
		.amdhsa_round_robin_scheduling 0
		.amdhsa_exception_fp_ieee_invalid_op 0
		.amdhsa_exception_fp_denorm_src 0
		.amdhsa_exception_fp_ieee_div_zero 0
		.amdhsa_exception_fp_ieee_overflow 0
		.amdhsa_exception_fp_ieee_underflow 0
		.amdhsa_exception_fp_ieee_inexact 0
		.amdhsa_exception_int_div_zero 0
	.end_amdhsa_kernel
	.section	.text._ZN2at4cuda17kernelHistogram1DIdilLi1ELi2ELin1ELNS0_23CUDAHistogramMemoryTypeE0EZNS0_21CUDA_tensor_histogramIdiLb1EEEbNS_6TensorES4_S4_lNS_14AccumulateTypeIT0_Lb1EE4typeES8_NS0_13TensorArgTypeES9_S9_EUllE_EEvNS0_6detail10TensorInfoIT_T1_EESF_NSC_IKS6_SE_EElS8_S8_SE_T6_,"axG",@progbits,_ZN2at4cuda17kernelHistogram1DIdilLi1ELi2ELin1ELNS0_23CUDAHistogramMemoryTypeE0EZNS0_21CUDA_tensor_histogramIdiLb1EEEbNS_6TensorES4_S4_lNS_14AccumulateTypeIT0_Lb1EE4typeES8_NS0_13TensorArgTypeES9_S9_EUllE_EEvNS0_6detail10TensorInfoIT_T1_EESF_NSC_IKS6_SE_EElS8_S8_SE_T6_,comdat
.Lfunc_end32:
	.size	_ZN2at4cuda17kernelHistogram1DIdilLi1ELi2ELin1ELNS0_23CUDAHistogramMemoryTypeE0EZNS0_21CUDA_tensor_histogramIdiLb1EEEbNS_6TensorES4_S4_lNS_14AccumulateTypeIT0_Lb1EE4typeES8_NS0_13TensorArgTypeES9_S9_EUllE_EEvNS0_6detail10TensorInfoIT_T1_EESF_NSC_IKS6_SE_EElS8_S8_SE_T6_, .Lfunc_end32-_ZN2at4cuda17kernelHistogram1DIdilLi1ELi2ELin1ELNS0_23CUDAHistogramMemoryTypeE0EZNS0_21CUDA_tensor_histogramIdiLb1EEEbNS_6TensorES4_S4_lNS_14AccumulateTypeIT0_Lb1EE4typeES8_NS0_13TensorArgTypeES9_S9_EUllE_EEvNS0_6detail10TensorInfoIT_T1_EESF_NSC_IKS6_SE_EElS8_S8_SE_T6_
                                        ; -- End function
	.set _ZN2at4cuda17kernelHistogram1DIdilLi1ELi2ELin1ELNS0_23CUDAHistogramMemoryTypeE0EZNS0_21CUDA_tensor_histogramIdiLb1EEEbNS_6TensorES4_S4_lNS_14AccumulateTypeIT0_Lb1EE4typeES8_NS0_13TensorArgTypeES9_S9_EUllE_EEvNS0_6detail10TensorInfoIT_T1_EESF_NSC_IKS6_SE_EElS8_S8_SE_T6_.num_vgpr, 30
	.set _ZN2at4cuda17kernelHistogram1DIdilLi1ELi2ELin1ELNS0_23CUDAHistogramMemoryTypeE0EZNS0_21CUDA_tensor_histogramIdiLb1EEEbNS_6TensorES4_S4_lNS_14AccumulateTypeIT0_Lb1EE4typeES8_NS0_13TensorArgTypeES9_S9_EUllE_EEvNS0_6detail10TensorInfoIT_T1_EESF_NSC_IKS6_SE_EElS8_S8_SE_T6_.num_agpr, 0
	.set _ZN2at4cuda17kernelHistogram1DIdilLi1ELi2ELin1ELNS0_23CUDAHistogramMemoryTypeE0EZNS0_21CUDA_tensor_histogramIdiLb1EEEbNS_6TensorES4_S4_lNS_14AccumulateTypeIT0_Lb1EE4typeES8_NS0_13TensorArgTypeES9_S9_EUllE_EEvNS0_6detail10TensorInfoIT_T1_EESF_NSC_IKS6_SE_EElS8_S8_SE_T6_.numbered_sgpr, 57
	.set _ZN2at4cuda17kernelHistogram1DIdilLi1ELi2ELin1ELNS0_23CUDAHistogramMemoryTypeE0EZNS0_21CUDA_tensor_histogramIdiLb1EEEbNS_6TensorES4_S4_lNS_14AccumulateTypeIT0_Lb1EE4typeES8_NS0_13TensorArgTypeES9_S9_EUllE_EEvNS0_6detail10TensorInfoIT_T1_EESF_NSC_IKS6_SE_EElS8_S8_SE_T6_.num_named_barrier, 0
	.set _ZN2at4cuda17kernelHistogram1DIdilLi1ELi2ELin1ELNS0_23CUDAHistogramMemoryTypeE0EZNS0_21CUDA_tensor_histogramIdiLb1EEEbNS_6TensorES4_S4_lNS_14AccumulateTypeIT0_Lb1EE4typeES8_NS0_13TensorArgTypeES9_S9_EUllE_EEvNS0_6detail10TensorInfoIT_T1_EESF_NSC_IKS6_SE_EElS8_S8_SE_T6_.private_seg_size, 0
	.set _ZN2at4cuda17kernelHistogram1DIdilLi1ELi2ELin1ELNS0_23CUDAHistogramMemoryTypeE0EZNS0_21CUDA_tensor_histogramIdiLb1EEEbNS_6TensorES4_S4_lNS_14AccumulateTypeIT0_Lb1EE4typeES8_NS0_13TensorArgTypeES9_S9_EUllE_EEvNS0_6detail10TensorInfoIT_T1_EESF_NSC_IKS6_SE_EElS8_S8_SE_T6_.uses_vcc, 1
	.set _ZN2at4cuda17kernelHistogram1DIdilLi1ELi2ELin1ELNS0_23CUDAHistogramMemoryTypeE0EZNS0_21CUDA_tensor_histogramIdiLb1EEEbNS_6TensorES4_S4_lNS_14AccumulateTypeIT0_Lb1EE4typeES8_NS0_13TensorArgTypeES9_S9_EUllE_EEvNS0_6detail10TensorInfoIT_T1_EESF_NSC_IKS6_SE_EElS8_S8_SE_T6_.uses_flat_scratch, 0
	.set _ZN2at4cuda17kernelHistogram1DIdilLi1ELi2ELin1ELNS0_23CUDAHistogramMemoryTypeE0EZNS0_21CUDA_tensor_histogramIdiLb1EEEbNS_6TensorES4_S4_lNS_14AccumulateTypeIT0_Lb1EE4typeES8_NS0_13TensorArgTypeES9_S9_EUllE_EEvNS0_6detail10TensorInfoIT_T1_EESF_NSC_IKS6_SE_EElS8_S8_SE_T6_.has_dyn_sized_stack, 0
	.set _ZN2at4cuda17kernelHistogram1DIdilLi1ELi2ELin1ELNS0_23CUDAHistogramMemoryTypeE0EZNS0_21CUDA_tensor_histogramIdiLb1EEEbNS_6TensorES4_S4_lNS_14AccumulateTypeIT0_Lb1EE4typeES8_NS0_13TensorArgTypeES9_S9_EUllE_EEvNS0_6detail10TensorInfoIT_T1_EESF_NSC_IKS6_SE_EElS8_S8_SE_T6_.has_recursion, 0
	.set _ZN2at4cuda17kernelHistogram1DIdilLi1ELi2ELin1ELNS0_23CUDAHistogramMemoryTypeE0EZNS0_21CUDA_tensor_histogramIdiLb1EEEbNS_6TensorES4_S4_lNS_14AccumulateTypeIT0_Lb1EE4typeES8_NS0_13TensorArgTypeES9_S9_EUllE_EEvNS0_6detail10TensorInfoIT_T1_EESF_NSC_IKS6_SE_EElS8_S8_SE_T6_.has_indirect_call, 0
	.section	.AMDGPU.csdata,"",@progbits
; Kernel info:
; codeLenInByte = 2384
; TotalNumSgprs: 59
; NumVgprs: 30
; ScratchSize: 0
; MemoryBound: 0
; FloatMode: 240
; IeeeMode: 1
; LDSByteSize: 0 bytes/workgroup (compile time only)
; SGPRBlocks: 0
; VGPRBlocks: 1
; NumSGPRsForWavesPerEU: 59
; NumVGPRsForWavesPerEU: 30
; NamedBarCnt: 0
; Occupancy: 16
; WaveLimiterHint : 1
; COMPUTE_PGM_RSRC2:SCRATCH_EN: 0
; COMPUTE_PGM_RSRC2:USER_SGPR: 2
; COMPUTE_PGM_RSRC2:TRAP_HANDLER: 0
; COMPUTE_PGM_RSRC2:TGID_X_EN: 1
; COMPUTE_PGM_RSRC2:TGID_Y_EN: 0
; COMPUTE_PGM_RSRC2:TGID_Z_EN: 0
; COMPUTE_PGM_RSRC2:TIDIG_COMP_CNT: 0
	.section	.text._ZN2at4cuda17kernelHistogram1DIdilLi1ELi2ELin1ELNS0_23CUDAHistogramMemoryTypeE1EZNS0_21CUDA_tensor_histogramIdiLb1EEEbNS_6TensorES4_S4_lNS_14AccumulateTypeIT0_Lb1EE4typeES8_NS0_13TensorArgTypeES9_S9_EUllE_EEvNS0_6detail10TensorInfoIT_T1_EESF_NSC_IKS6_SE_EElS8_S8_SE_T6_,"axG",@progbits,_ZN2at4cuda17kernelHistogram1DIdilLi1ELi2ELin1ELNS0_23CUDAHistogramMemoryTypeE1EZNS0_21CUDA_tensor_histogramIdiLb1EEEbNS_6TensorES4_S4_lNS_14AccumulateTypeIT0_Lb1EE4typeES8_NS0_13TensorArgTypeES9_S9_EUllE_EEvNS0_6detail10TensorInfoIT_T1_EESF_NSC_IKS6_SE_EElS8_S8_SE_T6_,comdat
	.protected	_ZN2at4cuda17kernelHistogram1DIdilLi1ELi2ELin1ELNS0_23CUDAHistogramMemoryTypeE1EZNS0_21CUDA_tensor_histogramIdiLb1EEEbNS_6TensorES4_S4_lNS_14AccumulateTypeIT0_Lb1EE4typeES8_NS0_13TensorArgTypeES9_S9_EUllE_EEvNS0_6detail10TensorInfoIT_T1_EESF_NSC_IKS6_SE_EElS8_S8_SE_T6_ ; -- Begin function _ZN2at4cuda17kernelHistogram1DIdilLi1ELi2ELin1ELNS0_23CUDAHistogramMemoryTypeE1EZNS0_21CUDA_tensor_histogramIdiLb1EEEbNS_6TensorES4_S4_lNS_14AccumulateTypeIT0_Lb1EE4typeES8_NS0_13TensorArgTypeES9_S9_EUllE_EEvNS0_6detail10TensorInfoIT_T1_EESF_NSC_IKS6_SE_EElS8_S8_SE_T6_
	.globl	_ZN2at4cuda17kernelHistogram1DIdilLi1ELi2ELin1ELNS0_23CUDAHistogramMemoryTypeE1EZNS0_21CUDA_tensor_histogramIdiLb1EEEbNS_6TensorES4_S4_lNS_14AccumulateTypeIT0_Lb1EE4typeES8_NS0_13TensorArgTypeES9_S9_EUllE_EEvNS0_6detail10TensorInfoIT_T1_EESF_NSC_IKS6_SE_EElS8_S8_SE_T6_
	.p2align	8
	.type	_ZN2at4cuda17kernelHistogram1DIdilLi1ELi2ELin1ELNS0_23CUDAHistogramMemoryTypeE1EZNS0_21CUDA_tensor_histogramIdiLb1EEEbNS_6TensorES4_S4_lNS_14AccumulateTypeIT0_Lb1EE4typeES8_NS0_13TensorArgTypeES9_S9_EUllE_EEvNS0_6detail10TensorInfoIT_T1_EESF_NSC_IKS6_SE_EElS8_S8_SE_T6_,@function
_ZN2at4cuda17kernelHistogram1DIdilLi1ELi2ELin1ELNS0_23CUDAHistogramMemoryTypeE1EZNS0_21CUDA_tensor_histogramIdiLb1EEEbNS_6TensorES4_S4_lNS_14AccumulateTypeIT0_Lb1EE4typeES8_NS0_13TensorArgTypeES9_S9_EUllE_EEvNS0_6detail10TensorInfoIT_T1_EESF_NSC_IKS6_SE_EElS8_S8_SE_T6_: ; @_ZN2at4cuda17kernelHistogram1DIdilLi1ELi2ELin1ELNS0_23CUDAHistogramMemoryTypeE1EZNS0_21CUDA_tensor_histogramIdiLb1EEEbNS_6TensorES4_S4_lNS_14AccumulateTypeIT0_Lb1EE4typeES8_NS0_13TensorArgTypeES9_S9_EUllE_EEvNS0_6detail10TensorInfoIT_T1_EESF_NSC_IKS6_SE_EElS8_S8_SE_T6_
; %bb.0:
	s_load_b32 s2, s[0:1], 0x6ac
	s_bfe_u32 s12, ttmp6, 0x4000c
	s_load_b256 s[4:11], s[0:1], 0x4e0
	s_add_co_i32 s12, s12, 1
	s_and_b32 s3, ttmp6, 15
	s_mul_i32 s12, ttmp9, s12
	s_getreg_b32 s13, hwreg(HW_REG_IB_STS2, 6, 4)
	s_add_co_i32 s3, s3, s12
	v_mov_b32_e32 v2, 0
	s_mov_b32 s12, exec_lo
	s_delay_alu instid0(VALU_DEP_1) | instskip(SKIP_4) | instid1(SALU_CYCLE_1)
	v_mov_b32_e32 v1, v2
	s_wait_kmcnt 0x0
	s_and_b32 s2, s2, 0xffff
	s_cmp_eq_u32 s13, 0
	s_cselect_b32 s3, ttmp9, s3
	v_mad_u32 v0, s3, s2, v0
	s_mov_b32 s3, 0
	s_delay_alu instid0(VALU_DEP_1)
	v_cmpx_gt_i64_e64 s[10:11], v[0:1]
	s_cbranch_execz .LBB33_16
; %bb.1:
	s_clause 0x1
	s_load_b64 s[12:13], s[0:1], 0x5d0
	s_load_b32 s33, s[0:1], 0x4d8
	s_add_nc_u64 s[24:25], s[0:1], 0x6a0
	s_load_b32 s26, s[24:25], 0x0
	s_clause 0x4
	s_load_b64 s[14:15], s[0:1], 0x500
	s_load_b64 s[16:17], s[0:1], 0x0
	;; [unrolled: 1-line block ×5, first 2 shown]
	s_add_nc_u64 s[30:31], s[0:1], 0x340
	s_wait_xcnt 0x0
	s_sub_nc_u64 s[24:25], s[8:9], s[6:7]
	s_mov_b32 s27, s3
	s_mov_b64 s[28:29], 0xffffffff
	s_mov_b32 s44, 0
	s_wait_kmcnt 0x0
	s_mul_i32 s26, s26, s2
	s_cmp_gt_i32 s33, 1
	s_cselect_b32 s1, -1, 0
	s_add_co_i32 s2, s33, -1
	s_add_co_i32 s33, s33, 1
	s_lshl_b64 s[34:35], s[2:3], 3
	s_delay_alu instid0(SALU_CYCLE_1)
	s_add_nc_u64 s[34:35], s[30:31], s[34:35]
	s_ashr_i32 s30, s25, 31
	s_add_nc_u64 s[34:35], s[34:35], 8
	s_branch .LBB33_4
.LBB33_2:                               ;   in Loop: Header=BB33_4 Depth=1
	s_or_b32 exec_lo, exec_lo, s0
	v_mul_u64_e32 v[4:5], s[12:13], v[0:1]
	s_delay_alu instid0(VALU_DEP_2) | instskip(NEXT) | instid1(VALU_DEP_1)
	v_dual_ashrrev_i32 v7, 31, v6 :: v_dual_mov_b32 v9, s3
	v_cmp_eq_u64_e32 vcc_lo, s[4:5], v[6:7]
	v_cndmask_b32_e64 v8, 0, 1, vcc_lo
	s_delay_alu instid0(VALU_DEP_1) | instskip(NEXT) | instid1(VALU_DEP_1)
	v_sub_nc_u64_e32 v[6:7], v[6:7], v[8:9]
	v_mul_u64_e32 v[6:7], s[18:19], v[6:7]
	v_lshl_add_u64 v[4:5], v[4:5], 3, s[14:15]
	global_load_b64 v[4:5], v[4:5], off
	v_lshl_add_u64 v[6:7], v[6:7], 3, s[16:17]
	s_wait_xcnt 0x0
	s_wait_loadcnt 0x0
	global_atomic_add_f64 v[6:7], v[4:5], off scope:SCOPE_DEV
.LBB33_3:                               ;   in Loop: Header=BB33_4 Depth=1
	s_wait_xcnt 0x0
	s_or_b32 exec_lo, exec_lo, s38
	v_add_nc_u64_e32 v[0:1], s[26:27], v[0:1]
	s_delay_alu instid0(VALU_DEP_1) | instskip(SKIP_1) | instid1(SALU_CYCLE_1)
	v_cmp_le_i64_e32 vcc_lo, s[10:11], v[0:1]
	s_or_b32 s44, vcc_lo, s44
	s_and_not1_b32 exec_lo, exec_lo, s44
	s_cbranch_execz .LBB33_16
.LBB33_4:                               ; =>This Loop Header: Depth=1
                                        ;     Child Loop BB33_5 Depth 2
	v_mov_b64_e32 v[4:5], 0
	v_mov_b64_e32 v[6:7], v[0:1]
	;; [unrolled: 1-line block ×3, first 2 shown]
	s_and_not1_b32 vcc_lo, exec_lo, s1
	s_mov_b64 s[36:37], s[34:35]
	s_mov_b32 s31, s33
	s_cbranch_vccnz .LBB33_11
.LBB33_5:                               ;   Parent Loop BB33_4 Depth=1
                                        ; =>  This Inner Loop Header: Depth=2
	s_load_b64 s[38:39], s[36:37], 0x0
                                        ; implicit-def: $vgpr8_vgpr9
	s_mov_b32 s0, exec_lo
	s_wait_kmcnt 0x0
	s_delay_alu instid0(VALU_DEP_1) | instskip(NEXT) | instid1(VALU_DEP_1)
	v_or_b32_e32 v3, s39, v7
	v_cmpx_ne_u64_e32 0, v[2:3]
	s_xor_b32 s45, exec_lo, s0
	s_cbranch_execz .LBB33_7
; %bb.6:                                ;   in Loop: Header=BB33_5 Depth=2
	s_ashr_i32 s40, s39, 31
	v_dual_mov_b32 v13, v2 :: v_dual_ashrrev_i32 v8, 31, v7
	s_mov_b32 s41, s40
	s_delay_alu instid0(SALU_CYCLE_1) | instskip(NEXT) | instid1(VALU_DEP_1)
	s_add_nc_u64 s[42:43], s[38:39], s[40:41]
	v_mov_b32_e32 v9, v8
	s_xor_b64 s[42:43], s[42:43], s[40:41]
	s_delay_alu instid0(SALU_CYCLE_1)
	s_cvt_f32_u32 s0, s42
	s_cvt_f32_u32 s2, s43
	s_sub_nc_u64 s[48:49], 0, s[42:43]
	v_add_nc_u64_e32 v[10:11], v[6:7], v[8:9]
	v_mov_b32_e32 v17, v2
	s_fmamk_f32 s0, s2, 0x4f800000, s0
	s_delay_alu instid0(SALU_CYCLE_3) | instskip(NEXT) | instid1(VALU_DEP_2)
	v_s_rcp_f32 s0, s0
	v_xor_b32_e32 v12, v10, v8
	s_delay_alu instid0(VALU_DEP_3) | instskip(SKIP_1) | instid1(TRANS32_DEP_1)
	v_dual_mov_b32 v21, v2 :: v_dual_bitop2_b32 v16, v11, v8 bitop3:0x14
	v_xor_b32_e32 v8, s40, v8
	s_mul_f32 s0, s0, 0x5f7ffffc
	s_delay_alu instid0(SALU_CYCLE_3) | instskip(NEXT) | instid1(SALU_CYCLE_3)
	s_mul_f32 s2, s0, 0x2f800000
	s_trunc_f32 s2, s2
	s_delay_alu instid0(SALU_CYCLE_3) | instskip(SKIP_1) | instid1(SALU_CYCLE_2)
	s_fmamk_f32 s0, s2, 0xcf800000, s0
	s_cvt_u32_f32 s47, s2
	s_cvt_u32_f32 s46, s0
	s_delay_alu instid0(SALU_CYCLE_3) | instskip(NEXT) | instid1(SALU_CYCLE_1)
	s_mul_u64 s[50:51], s[48:49], s[46:47]
	s_mul_hi_u32 s53, s46, s51
	s_mul_i32 s52, s46, s51
	s_mul_hi_u32 s2, s46, s50
	s_mul_i32 s41, s47, s50
	s_add_nc_u64 s[52:53], s[2:3], s[52:53]
	s_mul_hi_u32 s0, s47, s50
	s_mul_hi_u32 s54, s47, s51
	s_add_co_u32 s2, s52, s41
	s_add_co_ci_u32 s2, s53, s0
	s_mul_i32 s50, s47, s51
	s_add_co_ci_u32 s51, s54, 0
	s_delay_alu instid0(SALU_CYCLE_1) | instskip(NEXT) | instid1(SALU_CYCLE_1)
	s_add_nc_u64 s[50:51], s[2:3], s[50:51]
	s_add_co_u32 s46, s46, s50
	s_cselect_b32 s0, -1, 0
	s_delay_alu instid0(SALU_CYCLE_1) | instskip(SKIP_1) | instid1(SALU_CYCLE_1)
	s_cmp_lg_u32 s0, 0
	s_add_co_ci_u32 s47, s47, s51
	s_mul_u64 s[48:49], s[48:49], s[46:47]
	s_delay_alu instid0(SALU_CYCLE_1)
	s_mul_hi_u32 s51, s46, s49
	s_mul_i32 s50, s46, s49
	s_mul_hi_u32 s2, s46, s48
	s_mul_i32 s41, s47, s48
	s_add_nc_u64 s[50:51], s[2:3], s[50:51]
	s_mul_hi_u32 s0, s47, s48
	s_mul_hi_u32 s52, s47, s49
	s_add_co_u32 s2, s50, s41
	s_add_co_ci_u32 s2, s51, s0
	s_mul_i32 s48, s47, s49
	s_add_co_ci_u32 s49, s52, 0
	s_delay_alu instid0(SALU_CYCLE_1) | instskip(NEXT) | instid1(SALU_CYCLE_1)
	s_add_nc_u64 s[48:49], s[2:3], s[48:49]
	s_add_co_u32 s0, s46, s48
	s_cselect_b32 s2, -1, 0
	v_mul_hi_u32 v20, v12, s0
	s_cmp_lg_u32 s2, 0
	s_add_co_ci_u32 s2, s47, s49
	s_and_b64 s[46:47], s[0:1], s[28:29]
	v_mul_u64_e32 v[14:15], s[2:3], v[12:13]
	v_mul_u64_e32 v[10:11], s[46:47], v[16:17]
	;; [unrolled: 1-line block ×3, first 2 shown]
	s_delay_alu instid0(VALU_DEP_3) | instskip(NEXT) | instid1(VALU_DEP_1)
	v_add_nc_u64_e32 v[14:15], v[20:21], v[14:15]
	v_add_co_u32 v3, vcc_lo, v14, v10
	s_delay_alu instid0(VALU_DEP_2) | instskip(NEXT) | instid1(VALU_DEP_4)
	v_add_co_ci_u32_e32 v20, vcc_lo, v15, v11, vcc_lo
	v_add_co_ci_u32_e32 v19, vcc_lo, 0, v19, vcc_lo
	s_delay_alu instid0(VALU_DEP_1) | instskip(NEXT) | instid1(VALU_DEP_1)
	v_add_nc_u64_e32 v[10:11], v[20:21], v[18:19]
	v_mul_u64_e32 v[14:15], s[42:43], v[10:11]
	s_delay_alu instid0(VALU_DEP_1) | instskip(NEXT) | instid1(VALU_DEP_2)
	v_sub_nc_u32_e32 v3, v16, v15
	v_sub_co_u32 v9, vcc_lo, v12, v14
	s_delay_alu instid0(VALU_DEP_1) | instskip(NEXT) | instid1(VALU_DEP_3)
	v_sub_co_ci_u32_e64 v16, null, v16, v15, vcc_lo
	v_subrev_co_ci_u32_e64 v3, null, s43, v3, vcc_lo
	s_delay_alu instid0(VALU_DEP_3) | instskip(SKIP_1) | instid1(VALU_DEP_3)
	v_sub_co_u32 v12, s0, v9, s42
	v_add_nc_u64_e32 v[14:15], 1, v[10:11]
	v_subrev_co_ci_u32_e64 v3, null, 0, v3, s0
	s_delay_alu instid0(VALU_DEP_3) | instskip(SKIP_1) | instid1(VALU_DEP_3)
	v_cmp_le_u32_e32 vcc_lo, s42, v12
	v_cndmask_b32_e64 v12, 0, -1, vcc_lo
	v_cmp_le_u32_e32 vcc_lo, s43, v3
	v_cndmask_b32_e64 v13, 0, -1, vcc_lo
	;; [unrolled: 2-line block ×4, first 2 shown]
	v_cmp_eq_u32_e32 vcc_lo, s43, v3
	v_cndmask_b32_e32 v3, v13, v12, vcc_lo
	v_cmp_eq_u32_e32 vcc_lo, s43, v16
	v_add_nc_u64_e32 v[12:13], 2, v[10:11]
	v_cndmask_b32_e32 v9, v17, v9, vcc_lo
	s_delay_alu instid0(VALU_DEP_4) | instskip(NEXT) | instid1(VALU_DEP_2)
	v_cmp_ne_u32_e32 vcc_lo, 0, v3
	v_cmp_ne_u32_e64 s0, 0, v9
	s_delay_alu instid0(VALU_DEP_4) | instskip(NEXT) | instid1(VALU_DEP_1)
	v_dual_cndmask_b32 v3, v15, v13, vcc_lo :: v_dual_cndmask_b32 v9, v14, v12, vcc_lo
	v_dual_cndmask_b32 v10, v10, v9, s0 :: v_dual_mov_b32 v9, v8
	s_delay_alu instid0(VALU_DEP_1) | instskip(NEXT) | instid1(VALU_DEP_1)
	v_dual_cndmask_b32 v3, v11, v3, s0 :: v_dual_bitop2_b32 v10, v10, v8 bitop3:0x14
	v_xor_b32_e32 v11, v3, v8
	s_delay_alu instid0(VALU_DEP_1)
	v_sub_nc_u64_e32 v[8:9], v[10:11], v[8:9]
.LBB33_7:                               ;   in Loop: Header=BB33_5 Depth=2
	s_and_not1_saveexec_b32 s0, s45
	s_cbranch_execz .LBB33_9
; %bb.8:                                ;   in Loop: Header=BB33_5 Depth=2
	v_cvt_f32_u32_e32 v3, s38
	s_sub_co_i32 s2, 0, s38
	s_delay_alu instid0(VALU_DEP_1) | instskip(SKIP_1) | instid1(TRANS32_DEP_1)
	v_rcp_iflag_f32_e32 v3, v3
	v_nop
	v_mul_f32_e32 v3, 0x4f7ffffe, v3
	s_delay_alu instid0(VALU_DEP_1) | instskip(NEXT) | instid1(VALU_DEP_1)
	v_cvt_u32_f32_e32 v3, v3
	v_mul_lo_u32 v8, s2, v3
	s_delay_alu instid0(VALU_DEP_1) | instskip(NEXT) | instid1(VALU_DEP_1)
	v_mul_hi_u32 v8, v3, v8
	v_add_nc_u32_e32 v3, v3, v8
	s_delay_alu instid0(VALU_DEP_1) | instskip(NEXT) | instid1(VALU_DEP_1)
	v_mul_hi_u32 v3, v6, v3
	v_mul_lo_u32 v8, v3, s38
	s_delay_alu instid0(VALU_DEP_1) | instskip(NEXT) | instid1(VALU_DEP_1)
	v_dual_add_nc_u32 v9, 1, v3 :: v_dual_sub_nc_u32 v8, v6, v8
	v_subrev_nc_u32_e32 v10, s38, v8
	v_cmp_le_u32_e32 vcc_lo, s38, v8
	s_delay_alu instid0(VALU_DEP_2) | instskip(NEXT) | instid1(VALU_DEP_1)
	v_dual_cndmask_b32 v8, v8, v10 :: v_dual_cndmask_b32 v3, v3, v9
	v_cmp_le_u32_e32 vcc_lo, s38, v8
	s_delay_alu instid0(VALU_DEP_2) | instskip(NEXT) | instid1(VALU_DEP_1)
	v_add_nc_u32_e32 v9, 1, v3
	v_dual_cndmask_b32 v8, v3, v9 :: v_dual_mov_b32 v9, v2
.LBB33_9:                               ;   in Loop: Header=BB33_5 Depth=2
	s_or_b32 exec_lo, exec_lo, s0
	s_delay_alu instid0(VALU_DEP_1)
	v_mul_u64_e32 v[10:11], s[38:39], v[8:9]
	s_load_b64 s[38:39], s[36:37], 0xc8
	s_add_co_i32 s31, s31, -1
	s_wait_xcnt 0x0
	s_add_nc_u64 s[36:37], s[36:37], -8
	s_cmp_gt_u32 s31, 2
	s_delay_alu instid0(VALU_DEP_1) | instskip(SKIP_1) | instid1(VALU_DEP_1)
	v_sub_nc_u64_e32 v[6:7], v[6:7], v[10:11]
	s_wait_kmcnt 0x0
	v_mad_nc_u64_u32 v[4:5], s38, v6, v[4:5]
	s_delay_alu instid0(VALU_DEP_1) | instskip(NEXT) | instid1(VALU_DEP_1)
	v_mad_u32 v3, s39, v6, v5
	v_mad_u32 v5, s38, v7, v3
	s_cbranch_scc0 .LBB33_11
; %bb.10:                               ;   in Loop: Header=BB33_5 Depth=2
	v_mov_b64_e32 v[6:7], v[8:9]
	s_branch .LBB33_5
.LBB33_11:                              ;   in Loop: Header=BB33_4 Depth=1
	s_delay_alu instid0(VALU_DEP_1) | instskip(NEXT) | instid1(VALU_DEP_1)
	v_mul_u64_e32 v[6:7], s[20:21], v[8:9]
	v_lshl_add_u64 v[6:7], v[6:7], 2, s[22:23]
	s_delay_alu instid0(VALU_DEP_1) | instskip(SKIP_4) | instid1(VALU_DEP_1)
	v_lshl_add_u64 v[4:5], v[4:5], 2, v[6:7]
	global_load_b32 v4, v[4:5], off
	s_wait_loadcnt 0x0
	s_wait_xcnt 0x0
	v_ashrrev_i32_e32 v5, 31, v4
	v_cmp_le_i64_e32 vcc_lo, s[6:7], v[4:5]
	v_cmp_ge_i64_e64 s0, s[8:9], v[4:5]
	s_and_b32 s0, vcc_lo, s0
	s_delay_alu instid0(SALU_CYCLE_1)
	s_and_saveexec_b32 s38, s0
	s_cbranch_execz .LBB33_3
; %bb.12:                               ;   in Loop: Header=BB33_4 Depth=1
	v_sub_nc_u64_e64 v[4:5], v[4:5], s[6:7]
                                        ; implicit-def: $vgpr6_vgpr7
	s_mov_b32 s0, exec_lo
	s_delay_alu instid0(VALU_DEP_1) | instskip(NEXT) | instid1(VALU_DEP_1)
	v_mul_u64_e32 v[4:5], s[4:5], v[4:5]
	v_or_b32_e32 v3, s25, v5
	s_delay_alu instid0(VALU_DEP_1)
	v_cmpx_ne_u64_e32 0, v[2:3]
	s_xor_b32 s39, exec_lo, s0
	s_cbranch_execz .LBB33_14
; %bb.13:                               ;   in Loop: Header=BB33_4 Depth=1
	s_mov_b32 s31, s30
	v_dual_mov_b32 v9, v2 :: v_dual_ashrrev_i32 v6, 31, v5
	s_add_nc_u64 s[36:37], s[24:25], s[30:31]
	s_delay_alu instid0(SALU_CYCLE_1) | instskip(NEXT) | instid1(VALU_DEP_1)
	s_xor_b64 s[36:37], s[36:37], s[30:31]
	v_mov_b32_e32 v7, v6
	s_cvt_f32_u32 s0, s36
	s_cvt_f32_u32 s2, s37
	s_sub_nc_u64 s[42:43], 0, s[36:37]
	s_delay_alu instid0(VALU_DEP_1) | instskip(NEXT) | instid1(SALU_CYCLE_1)
	v_add_nc_u64_e32 v[4:5], v[4:5], v[6:7]
	s_fmamk_f32 s0, s2, 0x4f800000, s0
	v_mov_b32_e32 v13, v2
	s_delay_alu instid0(SALU_CYCLE_2) | instskip(NEXT) | instid1(VALU_DEP_2)
	v_s_rcp_f32 s0, s0
	v_xor_b32_e32 v8, v4, v6
	s_delay_alu instid0(VALU_DEP_3) | instskip(NEXT) | instid1(TRANS32_DEP_1)
	v_dual_mov_b32 v17, v2 :: v_dual_bitop2_b32 v12, v5, v6 bitop3:0x14
	s_mul_f32 s0, s0, 0x5f7ffffc
	s_delay_alu instid0(SALU_CYCLE_3) | instskip(NEXT) | instid1(SALU_CYCLE_3)
	s_mul_f32 s2, s0, 0x2f800000
	s_trunc_f32 s2, s2
	s_delay_alu instid0(SALU_CYCLE_3) | instskip(SKIP_1) | instid1(SALU_CYCLE_2)
	s_fmamk_f32 s0, s2, 0xcf800000, s0
	s_cvt_u32_f32 s41, s2
	s_cvt_u32_f32 s40, s0
	s_delay_alu instid0(SALU_CYCLE_3) | instskip(NEXT) | instid1(SALU_CYCLE_1)
	s_mul_u64 s[46:47], s[42:43], s[40:41]
	s_mul_hi_u32 s49, s40, s47
	s_mul_i32 s48, s40, s47
	s_mul_hi_u32 s2, s40, s46
	s_mul_i32 s31, s41, s46
	s_add_nc_u64 s[48:49], s[2:3], s[48:49]
	s_mul_hi_u32 s0, s41, s46
	s_mul_hi_u32 s45, s41, s47
	s_add_co_u32 s2, s48, s31
	s_add_co_ci_u32 s2, s49, s0
	s_mul_i32 s46, s41, s47
	s_add_co_ci_u32 s47, s45, 0
	s_delay_alu instid0(SALU_CYCLE_1) | instskip(NEXT) | instid1(SALU_CYCLE_1)
	s_add_nc_u64 s[46:47], s[2:3], s[46:47]
	s_add_co_u32 s40, s40, s46
	s_cselect_b32 s0, -1, 0
	s_delay_alu instid0(SALU_CYCLE_1) | instskip(SKIP_1) | instid1(SALU_CYCLE_1)
	s_cmp_lg_u32 s0, 0
	s_add_co_ci_u32 s41, s41, s47
	s_mul_u64 s[42:43], s[42:43], s[40:41]
	s_delay_alu instid0(SALU_CYCLE_1)
	s_mul_hi_u32 s47, s40, s43
	s_mul_i32 s46, s40, s43
	s_mul_hi_u32 s2, s40, s42
	s_mul_i32 s31, s41, s42
	s_add_nc_u64 s[46:47], s[2:3], s[46:47]
	s_mul_hi_u32 s0, s41, s42
	s_mul_hi_u32 s45, s41, s43
	s_add_co_u32 s2, s46, s31
	s_add_co_ci_u32 s2, s47, s0
	s_mul_i32 s42, s41, s43
	s_add_co_ci_u32 s43, s45, 0
	s_delay_alu instid0(SALU_CYCLE_1) | instskip(NEXT) | instid1(SALU_CYCLE_1)
	s_add_nc_u64 s[42:43], s[2:3], s[42:43]
	s_add_co_u32 s0, s40, s42
	s_cselect_b32 s2, -1, 0
	v_mul_hi_u32 v16, v8, s0
	s_cmp_lg_u32 s2, 0
	s_add_co_ci_u32 s2, s41, s43
	s_and_b64 s[40:41], s[0:1], s[28:29]
	v_mul_u64_e32 v[10:11], s[2:3], v[8:9]
	v_mul_u64_e32 v[4:5], s[40:41], v[12:13]
	;; [unrolled: 1-line block ×3, first 2 shown]
	s_delay_alu instid0(VALU_DEP_3) | instskip(NEXT) | instid1(VALU_DEP_1)
	v_add_nc_u64_e32 v[10:11], v[16:17], v[10:11]
	v_add_co_u32 v3, vcc_lo, v10, v4
	s_delay_alu instid0(VALU_DEP_2) | instskip(NEXT) | instid1(VALU_DEP_4)
	v_add_co_ci_u32_e32 v16, vcc_lo, v11, v5, vcc_lo
	v_add_co_ci_u32_e32 v15, vcc_lo, 0, v15, vcc_lo
	s_delay_alu instid0(VALU_DEP_1) | instskip(NEXT) | instid1(VALU_DEP_1)
	v_add_nc_u64_e32 v[4:5], v[16:17], v[14:15]
	v_mul_u64_e32 v[10:11], s[36:37], v[4:5]
	s_delay_alu instid0(VALU_DEP_1) | instskip(NEXT) | instid1(VALU_DEP_2)
	v_sub_nc_u32_e32 v3, v12, v11
	v_sub_co_u32 v7, vcc_lo, v8, v10
	s_delay_alu instid0(VALU_DEP_1) | instskip(NEXT) | instid1(VALU_DEP_3)
	v_sub_co_ci_u32_e64 v12, null, v12, v11, vcc_lo
	v_subrev_co_ci_u32_e64 v3, null, s37, v3, vcc_lo
	s_delay_alu instid0(VALU_DEP_3) | instskip(SKIP_1) | instid1(VALU_DEP_3)
	v_sub_co_u32 v8, s0, v7, s36
	v_add_nc_u64_e32 v[10:11], 1, v[4:5]
	v_subrev_co_ci_u32_e64 v3, null, 0, v3, s0
	s_delay_alu instid0(VALU_DEP_3) | instskip(SKIP_1) | instid1(VALU_DEP_3)
	v_cmp_le_u32_e32 vcc_lo, s36, v8
	v_cndmask_b32_e64 v8, 0, -1, vcc_lo
	v_cmp_le_u32_e32 vcc_lo, s37, v3
	v_cndmask_b32_e64 v9, 0, -1, vcc_lo
	;; [unrolled: 2-line block ×4, first 2 shown]
	v_cmp_eq_u32_e32 vcc_lo, s37, v3
	v_cndmask_b32_e32 v3, v9, v8, vcc_lo
	v_cmp_eq_u32_e32 vcc_lo, s37, v12
	v_add_nc_u64_e32 v[8:9], 2, v[4:5]
	v_cndmask_b32_e32 v7, v13, v7, vcc_lo
	s_delay_alu instid0(VALU_DEP_4) | instskip(NEXT) | instid1(VALU_DEP_3)
	v_cmp_ne_u32_e32 vcc_lo, 0, v3
	v_cndmask_b32_e32 v3, v11, v9, vcc_lo
	s_delay_alu instid0(VALU_DEP_3) | instskip(SKIP_1) | instid1(VALU_DEP_2)
	v_cmp_ne_u32_e64 s0, 0, v7
	v_dual_cndmask_b32 v7, v10, v8, vcc_lo :: v_dual_bitop2_b32 v6, s30, v6 bitop3:0x14
	v_cndmask_b32_e64 v3, v5, v3, s0
	s_delay_alu instid0(VALU_DEP_2) | instskip(NEXT) | instid1(VALU_DEP_2)
	v_dual_cndmask_b32 v4, v4, v7, s0 :: v_dual_mov_b32 v7, v6
	v_xor_b32_e32 v5, v3, v6
	s_delay_alu instid0(VALU_DEP_2) | instskip(NEXT) | instid1(VALU_DEP_1)
	v_xor_b32_e32 v4, v4, v6
	v_sub_nc_u64_e32 v[6:7], v[4:5], v[6:7]
                                        ; implicit-def: $vgpr4_vgpr5
.LBB33_14:                              ;   in Loop: Header=BB33_4 Depth=1
	s_and_not1_saveexec_b32 s0, s39
	s_cbranch_execz .LBB33_2
; %bb.15:                               ;   in Loop: Header=BB33_4 Depth=1
	v_cvt_f32_u32_e32 v3, s24
	s_sub_co_i32 s2, 0, s24
	s_delay_alu instid0(VALU_DEP_1) | instskip(SKIP_1) | instid1(TRANS32_DEP_1)
	v_rcp_iflag_f32_e32 v3, v3
	v_nop
	v_mul_f32_e32 v3, 0x4f7ffffe, v3
	s_delay_alu instid0(VALU_DEP_1) | instskip(NEXT) | instid1(VALU_DEP_1)
	v_cvt_u32_f32_e32 v3, v3
	v_mul_lo_u32 v5, s2, v3
	s_delay_alu instid0(VALU_DEP_1) | instskip(NEXT) | instid1(VALU_DEP_1)
	v_mul_hi_u32 v5, v3, v5
	v_add_nc_u32_e32 v3, v3, v5
	s_delay_alu instid0(VALU_DEP_1) | instskip(NEXT) | instid1(VALU_DEP_1)
	v_mul_hi_u32 v3, v4, v3
	v_mul_lo_u32 v5, v3, s24
	s_delay_alu instid0(VALU_DEP_1) | instskip(NEXT) | instid1(VALU_DEP_1)
	v_dual_sub_nc_u32 v4, v4, v5 :: v_dual_add_nc_u32 v5, 1, v3
	v_subrev_nc_u32_e32 v6, s24, v4
	v_cmp_le_u32_e32 vcc_lo, s24, v4
	s_delay_alu instid0(VALU_DEP_2) | instskip(NEXT) | instid1(VALU_DEP_1)
	v_dual_cndmask_b32 v4, v4, v6 :: v_dual_cndmask_b32 v3, v3, v5
	v_cmp_le_u32_e32 vcc_lo, s24, v4
	s_delay_alu instid0(VALU_DEP_2) | instskip(NEXT) | instid1(VALU_DEP_1)
	v_add_nc_u32_e32 v5, 1, v3
	v_cndmask_b32_e32 v6, v3, v5, vcc_lo
	s_branch .LBB33_2
.LBB33_16:
	s_endpgm
	.section	.rodata,"a",@progbits
	.p2align	6, 0x0
	.amdhsa_kernel _ZN2at4cuda17kernelHistogram1DIdilLi1ELi2ELin1ELNS0_23CUDAHistogramMemoryTypeE1EZNS0_21CUDA_tensor_histogramIdiLb1EEEbNS_6TensorES4_S4_lNS_14AccumulateTypeIT0_Lb1EE4typeES8_NS0_13TensorArgTypeES9_S9_EUllE_EEvNS0_6detail10TensorInfoIT_T1_EESF_NSC_IKS6_SE_EElS8_S8_SE_T6_
		.amdhsa_group_segment_fixed_size 0
		.amdhsa_private_segment_fixed_size 0
		.amdhsa_kernarg_size 1952
		.amdhsa_user_sgpr_count 2
		.amdhsa_user_sgpr_dispatch_ptr 0
		.amdhsa_user_sgpr_queue_ptr 0
		.amdhsa_user_sgpr_kernarg_segment_ptr 1
		.amdhsa_user_sgpr_dispatch_id 0
		.amdhsa_user_sgpr_kernarg_preload_length 0
		.amdhsa_user_sgpr_kernarg_preload_offset 0
		.amdhsa_user_sgpr_private_segment_size 0
		.amdhsa_wavefront_size32 1
		.amdhsa_uses_dynamic_stack 0
		.amdhsa_enable_private_segment 0
		.amdhsa_system_sgpr_workgroup_id_x 1
		.amdhsa_system_sgpr_workgroup_id_y 0
		.amdhsa_system_sgpr_workgroup_id_z 0
		.amdhsa_system_sgpr_workgroup_info 0
		.amdhsa_system_vgpr_workitem_id 0
		.amdhsa_next_free_vgpr 22
		.amdhsa_next_free_sgpr 55
		.amdhsa_named_barrier_count 0
		.amdhsa_reserve_vcc 1
		.amdhsa_float_round_mode_32 0
		.amdhsa_float_round_mode_16_64 0
		.amdhsa_float_denorm_mode_32 3
		.amdhsa_float_denorm_mode_16_64 3
		.amdhsa_fp16_overflow 0
		.amdhsa_memory_ordered 1
		.amdhsa_forward_progress 1
		.amdhsa_inst_pref_size 17
		.amdhsa_round_robin_scheduling 0
		.amdhsa_exception_fp_ieee_invalid_op 0
		.amdhsa_exception_fp_denorm_src 0
		.amdhsa_exception_fp_ieee_div_zero 0
		.amdhsa_exception_fp_ieee_overflow 0
		.amdhsa_exception_fp_ieee_underflow 0
		.amdhsa_exception_fp_ieee_inexact 0
		.amdhsa_exception_int_div_zero 0
	.end_amdhsa_kernel
	.section	.text._ZN2at4cuda17kernelHistogram1DIdilLi1ELi2ELin1ELNS0_23CUDAHistogramMemoryTypeE1EZNS0_21CUDA_tensor_histogramIdiLb1EEEbNS_6TensorES4_S4_lNS_14AccumulateTypeIT0_Lb1EE4typeES8_NS0_13TensorArgTypeES9_S9_EUllE_EEvNS0_6detail10TensorInfoIT_T1_EESF_NSC_IKS6_SE_EElS8_S8_SE_T6_,"axG",@progbits,_ZN2at4cuda17kernelHistogram1DIdilLi1ELi2ELin1ELNS0_23CUDAHistogramMemoryTypeE1EZNS0_21CUDA_tensor_histogramIdiLb1EEEbNS_6TensorES4_S4_lNS_14AccumulateTypeIT0_Lb1EE4typeES8_NS0_13TensorArgTypeES9_S9_EUllE_EEvNS0_6detail10TensorInfoIT_T1_EESF_NSC_IKS6_SE_EElS8_S8_SE_T6_,comdat
.Lfunc_end33:
	.size	_ZN2at4cuda17kernelHistogram1DIdilLi1ELi2ELin1ELNS0_23CUDAHistogramMemoryTypeE1EZNS0_21CUDA_tensor_histogramIdiLb1EEEbNS_6TensorES4_S4_lNS_14AccumulateTypeIT0_Lb1EE4typeES8_NS0_13TensorArgTypeES9_S9_EUllE_EEvNS0_6detail10TensorInfoIT_T1_EESF_NSC_IKS6_SE_EElS8_S8_SE_T6_, .Lfunc_end33-_ZN2at4cuda17kernelHistogram1DIdilLi1ELi2ELin1ELNS0_23CUDAHistogramMemoryTypeE1EZNS0_21CUDA_tensor_histogramIdiLb1EEEbNS_6TensorES4_S4_lNS_14AccumulateTypeIT0_Lb1EE4typeES8_NS0_13TensorArgTypeES9_S9_EUllE_EEvNS0_6detail10TensorInfoIT_T1_EESF_NSC_IKS6_SE_EElS8_S8_SE_T6_
                                        ; -- End function
	.set _ZN2at4cuda17kernelHistogram1DIdilLi1ELi2ELin1ELNS0_23CUDAHistogramMemoryTypeE1EZNS0_21CUDA_tensor_histogramIdiLb1EEEbNS_6TensorES4_S4_lNS_14AccumulateTypeIT0_Lb1EE4typeES8_NS0_13TensorArgTypeES9_S9_EUllE_EEvNS0_6detail10TensorInfoIT_T1_EESF_NSC_IKS6_SE_EElS8_S8_SE_T6_.num_vgpr, 22
	.set _ZN2at4cuda17kernelHistogram1DIdilLi1ELi2ELin1ELNS0_23CUDAHistogramMemoryTypeE1EZNS0_21CUDA_tensor_histogramIdiLb1EEEbNS_6TensorES4_S4_lNS_14AccumulateTypeIT0_Lb1EE4typeES8_NS0_13TensorArgTypeES9_S9_EUllE_EEvNS0_6detail10TensorInfoIT_T1_EESF_NSC_IKS6_SE_EElS8_S8_SE_T6_.num_agpr, 0
	.set _ZN2at4cuda17kernelHistogram1DIdilLi1ELi2ELin1ELNS0_23CUDAHistogramMemoryTypeE1EZNS0_21CUDA_tensor_histogramIdiLb1EEEbNS_6TensorES4_S4_lNS_14AccumulateTypeIT0_Lb1EE4typeES8_NS0_13TensorArgTypeES9_S9_EUllE_EEvNS0_6detail10TensorInfoIT_T1_EESF_NSC_IKS6_SE_EElS8_S8_SE_T6_.numbered_sgpr, 55
	.set _ZN2at4cuda17kernelHistogram1DIdilLi1ELi2ELin1ELNS0_23CUDAHistogramMemoryTypeE1EZNS0_21CUDA_tensor_histogramIdiLb1EEEbNS_6TensorES4_S4_lNS_14AccumulateTypeIT0_Lb1EE4typeES8_NS0_13TensorArgTypeES9_S9_EUllE_EEvNS0_6detail10TensorInfoIT_T1_EESF_NSC_IKS6_SE_EElS8_S8_SE_T6_.num_named_barrier, 0
	.set _ZN2at4cuda17kernelHistogram1DIdilLi1ELi2ELin1ELNS0_23CUDAHistogramMemoryTypeE1EZNS0_21CUDA_tensor_histogramIdiLb1EEEbNS_6TensorES4_S4_lNS_14AccumulateTypeIT0_Lb1EE4typeES8_NS0_13TensorArgTypeES9_S9_EUllE_EEvNS0_6detail10TensorInfoIT_T1_EESF_NSC_IKS6_SE_EElS8_S8_SE_T6_.private_seg_size, 0
	.set _ZN2at4cuda17kernelHistogram1DIdilLi1ELi2ELin1ELNS0_23CUDAHistogramMemoryTypeE1EZNS0_21CUDA_tensor_histogramIdiLb1EEEbNS_6TensorES4_S4_lNS_14AccumulateTypeIT0_Lb1EE4typeES8_NS0_13TensorArgTypeES9_S9_EUllE_EEvNS0_6detail10TensorInfoIT_T1_EESF_NSC_IKS6_SE_EElS8_S8_SE_T6_.uses_vcc, 1
	.set _ZN2at4cuda17kernelHistogram1DIdilLi1ELi2ELin1ELNS0_23CUDAHistogramMemoryTypeE1EZNS0_21CUDA_tensor_histogramIdiLb1EEEbNS_6TensorES4_S4_lNS_14AccumulateTypeIT0_Lb1EE4typeES8_NS0_13TensorArgTypeES9_S9_EUllE_EEvNS0_6detail10TensorInfoIT_T1_EESF_NSC_IKS6_SE_EElS8_S8_SE_T6_.uses_flat_scratch, 0
	.set _ZN2at4cuda17kernelHistogram1DIdilLi1ELi2ELin1ELNS0_23CUDAHistogramMemoryTypeE1EZNS0_21CUDA_tensor_histogramIdiLb1EEEbNS_6TensorES4_S4_lNS_14AccumulateTypeIT0_Lb1EE4typeES8_NS0_13TensorArgTypeES9_S9_EUllE_EEvNS0_6detail10TensorInfoIT_T1_EESF_NSC_IKS6_SE_EElS8_S8_SE_T6_.has_dyn_sized_stack, 0
	.set _ZN2at4cuda17kernelHistogram1DIdilLi1ELi2ELin1ELNS0_23CUDAHistogramMemoryTypeE1EZNS0_21CUDA_tensor_histogramIdiLb1EEEbNS_6TensorES4_S4_lNS_14AccumulateTypeIT0_Lb1EE4typeES8_NS0_13TensorArgTypeES9_S9_EUllE_EEvNS0_6detail10TensorInfoIT_T1_EESF_NSC_IKS6_SE_EElS8_S8_SE_T6_.has_recursion, 0
	.set _ZN2at4cuda17kernelHistogram1DIdilLi1ELi2ELin1ELNS0_23CUDAHistogramMemoryTypeE1EZNS0_21CUDA_tensor_histogramIdiLb1EEEbNS_6TensorES4_S4_lNS_14AccumulateTypeIT0_Lb1EE4typeES8_NS0_13TensorArgTypeES9_S9_EUllE_EEvNS0_6detail10TensorInfoIT_T1_EESF_NSC_IKS6_SE_EElS8_S8_SE_T6_.has_indirect_call, 0
	.section	.AMDGPU.csdata,"",@progbits
; Kernel info:
; codeLenInByte = 2092
; TotalNumSgprs: 57
; NumVgprs: 22
; ScratchSize: 0
; MemoryBound: 0
; FloatMode: 240
; IeeeMode: 1
; LDSByteSize: 0 bytes/workgroup (compile time only)
; SGPRBlocks: 0
; VGPRBlocks: 1
; NumSGPRsForWavesPerEU: 57
; NumVGPRsForWavesPerEU: 22
; NamedBarCnt: 0
; Occupancy: 16
; WaveLimiterHint : 1
; COMPUTE_PGM_RSRC2:SCRATCH_EN: 0
; COMPUTE_PGM_RSRC2:USER_SGPR: 2
; COMPUTE_PGM_RSRC2:TRAP_HANDLER: 0
; COMPUTE_PGM_RSRC2:TGID_X_EN: 1
; COMPUTE_PGM_RSRC2:TGID_Y_EN: 0
; COMPUTE_PGM_RSRC2:TGID_Z_EN: 0
; COMPUTE_PGM_RSRC2:TIDIG_COMP_CNT: 0
	.section	.text._ZN2at4cuda17kernelHistogram1DIdilLi1ELi2ELin1ELNS0_23CUDAHistogramMemoryTypeE0EZNS0_21CUDA_tensor_histogramIdiLb1EEEbNS_6TensorES4_S4_lNS_14AccumulateTypeIT0_Lb1EE4typeES8_NS0_13TensorArgTypeES9_S9_EUllE0_EEvNS0_6detail10TensorInfoIT_T1_EESF_NSC_IKS6_SE_EElS8_S8_SE_T6_,"axG",@progbits,_ZN2at4cuda17kernelHistogram1DIdilLi1ELi2ELin1ELNS0_23CUDAHistogramMemoryTypeE0EZNS0_21CUDA_tensor_histogramIdiLb1EEEbNS_6TensorES4_S4_lNS_14AccumulateTypeIT0_Lb1EE4typeES8_NS0_13TensorArgTypeES9_S9_EUllE0_EEvNS0_6detail10TensorInfoIT_T1_EESF_NSC_IKS6_SE_EElS8_S8_SE_T6_,comdat
	.protected	_ZN2at4cuda17kernelHistogram1DIdilLi1ELi2ELin1ELNS0_23CUDAHistogramMemoryTypeE0EZNS0_21CUDA_tensor_histogramIdiLb1EEEbNS_6TensorES4_S4_lNS_14AccumulateTypeIT0_Lb1EE4typeES8_NS0_13TensorArgTypeES9_S9_EUllE0_EEvNS0_6detail10TensorInfoIT_T1_EESF_NSC_IKS6_SE_EElS8_S8_SE_T6_ ; -- Begin function _ZN2at4cuda17kernelHistogram1DIdilLi1ELi2ELin1ELNS0_23CUDAHistogramMemoryTypeE0EZNS0_21CUDA_tensor_histogramIdiLb1EEEbNS_6TensorES4_S4_lNS_14AccumulateTypeIT0_Lb1EE4typeES8_NS0_13TensorArgTypeES9_S9_EUllE0_EEvNS0_6detail10TensorInfoIT_T1_EESF_NSC_IKS6_SE_EElS8_S8_SE_T6_
	.globl	_ZN2at4cuda17kernelHistogram1DIdilLi1ELi2ELin1ELNS0_23CUDAHistogramMemoryTypeE0EZNS0_21CUDA_tensor_histogramIdiLb1EEEbNS_6TensorES4_S4_lNS_14AccumulateTypeIT0_Lb1EE4typeES8_NS0_13TensorArgTypeES9_S9_EUllE0_EEvNS0_6detail10TensorInfoIT_T1_EESF_NSC_IKS6_SE_EElS8_S8_SE_T6_
	.p2align	8
	.type	_ZN2at4cuda17kernelHistogram1DIdilLi1ELi2ELin1ELNS0_23CUDAHistogramMemoryTypeE0EZNS0_21CUDA_tensor_histogramIdiLb1EEEbNS_6TensorES4_S4_lNS_14AccumulateTypeIT0_Lb1EE4typeES8_NS0_13TensorArgTypeES9_S9_EUllE0_EEvNS0_6detail10TensorInfoIT_T1_EESF_NSC_IKS6_SE_EElS8_S8_SE_T6_,@function
_ZN2at4cuda17kernelHistogram1DIdilLi1ELi2ELin1ELNS0_23CUDAHistogramMemoryTypeE0EZNS0_21CUDA_tensor_histogramIdiLb1EEEbNS_6TensorES4_S4_lNS_14AccumulateTypeIT0_Lb1EE4typeES8_NS0_13TensorArgTypeES9_S9_EUllE0_EEvNS0_6detail10TensorInfoIT_T1_EESF_NSC_IKS6_SE_EElS8_S8_SE_T6_: ; @_ZN2at4cuda17kernelHistogram1DIdilLi1ELi2ELin1ELNS0_23CUDAHistogramMemoryTypeE0EZNS0_21CUDA_tensor_histogramIdiLb1EEEbNS_6TensorES4_S4_lNS_14AccumulateTypeIT0_Lb1EE4typeES8_NS0_13TensorArgTypeES9_S9_EUllE0_EEvNS0_6detail10TensorInfoIT_T1_EESF_NSC_IKS6_SE_EElS8_S8_SE_T6_
; %bb.0:
	s_load_b128 s[12:15], s[0:1], 0x0
	v_mov_b32_e32 v1, 0
	s_add_nc_u64 s[24:25], s[0:1], 0x508
	s_mov_b32 s3, exec_lo
                                        ; implicit-def: $sgpr4
                                        ; implicit-def: $sgpr5
	s_wait_kmcnt 0x0
	s_delay_alu instid0(VALU_DEP_1)
	v_cmp_gt_i64_e64 s2, s[14:15], v[0:1]
	v_cmpx_le_i64_e64 s[14:15], v[0:1]
	s_xor_b32 s3, exec_lo, s3
	s_cbranch_execz .LBB34_2
; %bb.1:
	s_load_b32 s4, s[24:25], 0xc
	s_wait_kmcnt 0x0
	s_and_b32 s5, s4, 0xffff
.LBB34_2:
	s_or_saveexec_b32 s3, s3
	v_dual_mov_b32 v18, s4 :: v_dual_mov_b32 v17, s5
	v_lshl_add_u32 v16, v0, 3, 0
	s_xor_b32 exec_lo, exec_lo, s3
	s_cbranch_execz .LBB34_6
; %bb.3:
	s_load_b32 s6, s[24:25], 0xc
	v_mov_b64_e32 v[2:3], 0
	v_mov_b64_e32 v[4:5], v[0:1]
	v_lshl_add_u32 v6, v0, 3, 0
	s_mov_b32 s5, 0
	s_delay_alu instid0(SALU_CYCLE_1) | instskip(SKIP_2) | instid1(SALU_CYCLE_1)
	s_mov_b32 s7, s5
	s_wait_kmcnt 0x0
	s_and_b32 s4, s6, 0xffff
	s_lshl_b32 s8, s4, 3
.LBB34_4:                               ; =>This Inner Loop Header: Depth=1
	v_add_nc_u64_e32 v[4:5], s[4:5], v[4:5]
	ds_store_b64 v6, v[2:3]
	v_add_nc_u32_e32 v6, s8, v6
	v_cmp_le_i64_e32 vcc_lo, s[14:15], v[4:5]
	s_or_b32 s7, vcc_lo, s7
	s_delay_alu instid0(SALU_CYCLE_1)
	s_and_not1_b32 exec_lo, exec_lo, s7
	s_cbranch_execnz .LBB34_4
; %bb.5:
	s_or_b32 exec_lo, exec_lo, s7
	v_dual_mov_b32 v18, s6 :: v_dual_mov_b32 v17, s4
.LBB34_6:
	s_or_b32 exec_lo, exec_lo, s3
	s_bfe_u32 s3, ttmp6, 0x4000c
	s_clause 0x1
	s_load_b64 s[16:17], s[0:1], 0xd0
	s_load_b256 s[4:11], s[0:1], 0x4e0
	s_add_co_i32 s3, s3, 1
	s_and_b32 s18, ttmp6, 15
	s_mul_i32 s3, ttmp9, s3
	s_getreg_b32 s19, hwreg(HW_REG_IB_STS2, 6, 4)
	s_add_co_i32 s18, s18, s3
	s_cmp_eq_u32 s19, 0
	v_mov_b32_e32 v4, 0
	s_cselect_b32 s3, ttmp9, s18
	s_mov_b32 s19, 0
	v_mad_u32 v2, s3, v17, v0
	s_mov_b32 s3, exec_lo
	v_mov_b32_e32 v3, v4
	s_wait_dscnt 0x0
	s_barrier_signal -1
	s_barrier_wait -1
	s_wait_kmcnt 0x0
	s_delay_alu instid0(VALU_DEP_2)
	v_cmpx_gt_i64_e64 s[10:11], v[2:3]
	s_cbranch_execz .LBB34_22
; %bb.7:
	s_load_b32 s33, s[0:1], 0x4d8
	s_load_b32 s18, s[24:25], 0x0
	s_clause 0x1
	s_load_b64 s[20:21], s[0:1], 0x410
	s_load_b64 s[22:23], s[0:1], 0x340
	s_add_nc_u64 s[28:29], s[0:1], 0x340
	v_mov_b64_e32 v[8:9], 1.0
	v_mov_b32_e32 v7, v4
	s_wait_xcnt 0x0
	s_sub_nc_u64 s[24:25], s[8:9], s[6:7]
	s_mov_b64 s[26:27], 0xffffffff
	s_mov_b32 s42, 0
	s_wait_kmcnt 0x0
	s_cmp_gt_i32 s33, 1
	v_mul_lo_u32 v6, s18, v17
	s_cselect_b32 s1, -1, 0
	s_add_co_i32 s18, s33, -1
	s_add_co_i32 s33, s33, 1
	s_lshl_b64 s[30:31], s[18:19], 3
	s_delay_alu instid0(SALU_CYCLE_1)
	s_add_nc_u64 s[28:29], s[28:29], s[30:31]
	s_ashr_i32 s30, s25, 31
	s_add_nc_u64 s[28:29], s[28:29], 8
	s_branch .LBB34_10
.LBB34_8:                               ;   in Loop: Header=BB34_10 Depth=1
	s_or_b32 exec_lo, exec_lo, s0
	s_delay_alu instid0(VALU_DEP_1) | instskip(NEXT) | instid1(VALU_DEP_1)
	v_ashrrev_i32_e32 v13, 31, v12
	v_cmp_eq_u64_e32 vcc_lo, s[4:5], v[12:13]
	v_subrev_co_ci_u32_e64 v5, null, 0, v12, vcc_lo
	s_delay_alu instid0(VALU_DEP_1)
	v_lshl_add_u32 v5, v5, 3, 0
	ds_add_f64 v5, v[8:9]
.LBB34_9:                               ;   in Loop: Header=BB34_10 Depth=1
	s_or_b32 exec_lo, exec_lo, s36
	v_add_nc_u64_e32 v[2:3], v[2:3], v[6:7]
	s_delay_alu instid0(VALU_DEP_1) | instskip(SKIP_1) | instid1(SALU_CYCLE_1)
	v_cmp_le_i64_e32 vcc_lo, s[10:11], v[2:3]
	s_or_b32 s42, vcc_lo, s42
	s_and_not1_b32 exec_lo, exec_lo, s42
	s_cbranch_execz .LBB34_22
.LBB34_10:                              ; =>This Loop Header: Depth=1
                                        ;     Child Loop BB34_11 Depth 2
	v_mov_b64_e32 v[10:11], 0
	v_mov_b64_e32 v[12:13], v[2:3]
	;; [unrolled: 1-line block ×3, first 2 shown]
	s_and_not1_b32 vcc_lo, exec_lo, s1
	s_mov_b64 s[34:35], s[28:29]
	s_mov_b32 s31, s33
	s_cbranch_vccnz .LBB34_17
.LBB34_11:                              ;   Parent Loop BB34_10 Depth=1
                                        ; =>  This Inner Loop Header: Depth=2
	s_load_b64 s[36:37], s[34:35], 0x0
                                        ; implicit-def: $vgpr14_vgpr15
	s_mov_b32 s0, exec_lo
	s_wait_kmcnt 0x0
	s_delay_alu instid0(VALU_DEP_1) | instskip(NEXT) | instid1(VALU_DEP_1)
	v_or_b32_e32 v5, s37, v13
	v_cmpx_ne_u64_e32 0, v[4:5]
	s_xor_b32 s43, exec_lo, s0
	s_cbranch_execz .LBB34_13
; %bb.12:                               ;   in Loop: Header=BB34_11 Depth=2
	s_ashr_i32 s38, s37, 31
	v_dual_mov_b32 v23, v4 :: v_dual_ashrrev_i32 v14, 31, v13
	s_mov_b32 s39, s38
	s_delay_alu instid0(SALU_CYCLE_1) | instskip(NEXT) | instid1(VALU_DEP_1)
	s_add_nc_u64 s[40:41], s[36:37], s[38:39]
	v_mov_b32_e32 v15, v14
	s_xor_b64 s[40:41], s[40:41], s[38:39]
	s_delay_alu instid0(SALU_CYCLE_1)
	s_cvt_f32_u32 s0, s40
	s_cvt_f32_u32 s18, s41
	s_sub_nc_u64 s[46:47], 0, s[40:41]
	v_add_nc_u64_e32 v[20:21], v[12:13], v[14:15]
	v_mov_b32_e32 v27, v4
	s_fmamk_f32 s0, s18, 0x4f800000, s0
	s_delay_alu instid0(SALU_CYCLE_3) | instskip(NEXT) | instid1(VALU_DEP_2)
	v_s_rcp_f32 s0, s0
	v_xor_b32_e32 v22, v20, v14
	s_delay_alu instid0(VALU_DEP_3) | instskip(SKIP_1) | instid1(TRANS32_DEP_1)
	v_dual_mov_b32 v31, v4 :: v_dual_bitop2_b32 v26, v21, v14 bitop3:0x14
	v_xor_b32_e32 v14, s38, v14
	s_mul_f32 s0, s0, 0x5f7ffffc
	s_delay_alu instid0(SALU_CYCLE_3) | instskip(NEXT) | instid1(SALU_CYCLE_3)
	s_mul_f32 s18, s0, 0x2f800000
	s_trunc_f32 s18, s18
	s_delay_alu instid0(SALU_CYCLE_3) | instskip(SKIP_1) | instid1(SALU_CYCLE_2)
	s_fmamk_f32 s0, s18, 0xcf800000, s0
	s_cvt_u32_f32 s45, s18
	s_cvt_u32_f32 s44, s0
	s_delay_alu instid0(SALU_CYCLE_3) | instskip(NEXT) | instid1(SALU_CYCLE_1)
	s_mul_u64 s[48:49], s[46:47], s[44:45]
	s_mul_hi_u32 s51, s44, s49
	s_mul_i32 s50, s44, s49
	s_mul_hi_u32 s18, s44, s48
	s_mul_i32 s39, s45, s48
	s_add_nc_u64 s[50:51], s[18:19], s[50:51]
	s_mul_hi_u32 s0, s45, s48
	s_mul_hi_u32 s52, s45, s49
	s_add_co_u32 s18, s50, s39
	s_add_co_ci_u32 s18, s51, s0
	s_mul_i32 s48, s45, s49
	s_add_co_ci_u32 s49, s52, 0
	s_delay_alu instid0(SALU_CYCLE_1) | instskip(NEXT) | instid1(SALU_CYCLE_1)
	s_add_nc_u64 s[48:49], s[18:19], s[48:49]
	s_add_co_u32 s44, s44, s48
	s_cselect_b32 s0, -1, 0
	s_delay_alu instid0(SALU_CYCLE_1) | instskip(SKIP_1) | instid1(SALU_CYCLE_1)
	s_cmp_lg_u32 s0, 0
	s_add_co_ci_u32 s45, s45, s49
	s_mul_u64 s[46:47], s[46:47], s[44:45]
	s_delay_alu instid0(SALU_CYCLE_1)
	s_mul_hi_u32 s49, s44, s47
	s_mul_i32 s48, s44, s47
	s_mul_hi_u32 s18, s44, s46
	s_mul_i32 s39, s45, s46
	s_add_nc_u64 s[48:49], s[18:19], s[48:49]
	s_mul_hi_u32 s0, s45, s46
	s_mul_hi_u32 s50, s45, s47
	s_add_co_u32 s18, s48, s39
	s_add_co_ci_u32 s18, s49, s0
	s_mul_i32 s46, s45, s47
	s_add_co_ci_u32 s47, s50, 0
	s_delay_alu instid0(SALU_CYCLE_1) | instskip(NEXT) | instid1(SALU_CYCLE_1)
	s_add_nc_u64 s[46:47], s[18:19], s[46:47]
	s_add_co_u32 s0, s44, s46
	s_cselect_b32 s18, -1, 0
	v_mul_hi_u32 v30, v22, s0
	s_cmp_lg_u32 s18, 0
	s_add_co_ci_u32 s18, s45, s47
	s_and_b64 s[44:45], s[0:1], s[26:27]
	v_mul_u64_e32 v[24:25], s[18:19], v[22:23]
	v_mul_u64_e32 v[20:21], s[44:45], v[26:27]
	;; [unrolled: 1-line block ×3, first 2 shown]
	s_delay_alu instid0(VALU_DEP_3) | instskip(NEXT) | instid1(VALU_DEP_1)
	v_add_nc_u64_e32 v[24:25], v[30:31], v[24:25]
	v_add_co_u32 v5, vcc_lo, v24, v20
	s_delay_alu instid0(VALU_DEP_2) | instskip(NEXT) | instid1(VALU_DEP_4)
	v_add_co_ci_u32_e32 v30, vcc_lo, v25, v21, vcc_lo
	v_add_co_ci_u32_e32 v29, vcc_lo, 0, v29, vcc_lo
	s_delay_alu instid0(VALU_DEP_1) | instskip(NEXT) | instid1(VALU_DEP_1)
	v_add_nc_u64_e32 v[20:21], v[30:31], v[28:29]
	v_mul_u64_e32 v[24:25], s[40:41], v[20:21]
	s_delay_alu instid0(VALU_DEP_1) | instskip(NEXT) | instid1(VALU_DEP_2)
	v_sub_nc_u32_e32 v5, v26, v25
	v_sub_co_u32 v15, vcc_lo, v22, v24
	s_delay_alu instid0(VALU_DEP_1) | instskip(NEXT) | instid1(VALU_DEP_3)
	v_sub_co_ci_u32_e64 v26, null, v26, v25, vcc_lo
	v_subrev_co_ci_u32_e64 v5, null, s41, v5, vcc_lo
	s_delay_alu instid0(VALU_DEP_3) | instskip(SKIP_1) | instid1(VALU_DEP_3)
	v_sub_co_u32 v19, s0, v15, s40
	v_add_nc_u64_e32 v[24:25], 1, v[20:21]
	v_subrev_co_ci_u32_e64 v5, null, 0, v5, s0
	s_delay_alu instid0(VALU_DEP_3) | instskip(SKIP_1) | instid1(VALU_DEP_3)
	v_cmp_le_u32_e32 vcc_lo, s40, v19
	v_cndmask_b32_e64 v19, 0, -1, vcc_lo
	v_cmp_le_u32_e32 vcc_lo, s41, v5
	v_cndmask_b32_e64 v22, 0, -1, vcc_lo
	;; [unrolled: 2-line block ×4, first 2 shown]
	v_cmp_eq_u32_e32 vcc_lo, s41, v5
	v_cndmask_b32_e32 v5, v22, v19, vcc_lo
	v_cmp_eq_u32_e32 vcc_lo, s41, v26
	v_add_nc_u64_e32 v[22:23], 2, v[20:21]
	v_cndmask_b32_e32 v15, v27, v15, vcc_lo
	s_delay_alu instid0(VALU_DEP_4) | instskip(NEXT) | instid1(VALU_DEP_2)
	v_cmp_ne_u32_e32 vcc_lo, 0, v5
	v_cmp_ne_u32_e64 s0, 0, v15
	s_delay_alu instid0(VALU_DEP_4) | instskip(NEXT) | instid1(VALU_DEP_1)
	v_dual_cndmask_b32 v5, v25, v23, vcc_lo :: v_dual_cndmask_b32 v15, v24, v22, vcc_lo
	v_dual_cndmask_b32 v19, v20, v15, s0 :: v_dual_mov_b32 v15, v14
	s_delay_alu instid0(VALU_DEP_1) | instskip(NEXT) | instid1(VALU_DEP_1)
	v_dual_cndmask_b32 v5, v21, v5, s0 :: v_dual_bitop2_b32 v20, v19, v14 bitop3:0x14
	v_xor_b32_e32 v21, v5, v14
	s_delay_alu instid0(VALU_DEP_1)
	v_sub_nc_u64_e32 v[14:15], v[20:21], v[14:15]
.LBB34_13:                              ;   in Loop: Header=BB34_11 Depth=2
	s_and_not1_saveexec_b32 s0, s43
	s_cbranch_execz .LBB34_15
; %bb.14:                               ;   in Loop: Header=BB34_11 Depth=2
	v_cvt_f32_u32_e32 v5, s36
	s_sub_co_i32 s18, 0, s36
	s_delay_alu instid0(VALU_DEP_1) | instskip(SKIP_1) | instid1(TRANS32_DEP_1)
	v_rcp_iflag_f32_e32 v5, v5
	v_nop
	v_mul_f32_e32 v5, 0x4f7ffffe, v5
	s_delay_alu instid0(VALU_DEP_1) | instskip(NEXT) | instid1(VALU_DEP_1)
	v_cvt_u32_f32_e32 v5, v5
	v_mul_lo_u32 v14, s18, v5
	s_delay_alu instid0(VALU_DEP_1) | instskip(NEXT) | instid1(VALU_DEP_1)
	v_mul_hi_u32 v14, v5, v14
	v_add_nc_u32_e32 v5, v5, v14
	s_delay_alu instid0(VALU_DEP_1) | instskip(NEXT) | instid1(VALU_DEP_1)
	v_mul_hi_u32 v5, v12, v5
	v_mul_lo_u32 v14, v5, s36
	s_delay_alu instid0(VALU_DEP_1) | instskip(NEXT) | instid1(VALU_DEP_1)
	v_dual_add_nc_u32 v15, 1, v5 :: v_dual_sub_nc_u32 v14, v12, v14
	v_subrev_nc_u32_e32 v19, s36, v14
	v_cmp_le_u32_e32 vcc_lo, s36, v14
	s_delay_alu instid0(VALU_DEP_2) | instskip(NEXT) | instid1(VALU_DEP_4)
	v_cndmask_b32_e32 v14, v14, v19, vcc_lo
	v_cndmask_b32_e32 v5, v5, v15, vcc_lo
	s_delay_alu instid0(VALU_DEP_2) | instskip(NEXT) | instid1(VALU_DEP_2)
	v_cmp_le_u32_e32 vcc_lo, s36, v14
	v_add_nc_u32_e32 v15, 1, v5
	s_delay_alu instid0(VALU_DEP_1)
	v_dual_cndmask_b32 v14, v5, v15 :: v_dual_mov_b32 v15, v4
.LBB34_15:                              ;   in Loop: Header=BB34_11 Depth=2
	s_or_b32 exec_lo, exec_lo, s0
	s_delay_alu instid0(VALU_DEP_1)
	v_mul_u64_e32 v[20:21], s[36:37], v[14:15]
	s_load_b64 s[36:37], s[34:35], 0xc8
	s_add_co_i32 s31, s31, -1
	s_wait_xcnt 0x0
	s_add_nc_u64 s[34:35], s[34:35], -8
	s_cmp_gt_u32 s31, 2
	s_delay_alu instid0(VALU_DEP_1) | instskip(SKIP_1) | instid1(VALU_DEP_1)
	v_sub_nc_u64_e32 v[12:13], v[12:13], v[20:21]
	s_wait_kmcnt 0x0
	v_mad_nc_u64_u32 v[10:11], s36, v12, v[10:11]
	s_delay_alu instid0(VALU_DEP_1) | instskip(NEXT) | instid1(VALU_DEP_1)
	v_mad_u32 v5, s37, v12, v11
	v_mad_u32 v11, s36, v13, v5
	s_cbranch_scc0 .LBB34_17
; %bb.16:                               ;   in Loop: Header=BB34_11 Depth=2
	v_mov_b64_e32 v[12:13], v[14:15]
	s_branch .LBB34_11
.LBB34_17:                              ;   in Loop: Header=BB34_10 Depth=1
	s_delay_alu instid0(VALU_DEP_1) | instskip(NEXT) | instid1(VALU_DEP_1)
	v_mul_u64_e32 v[12:13], s[20:21], v[14:15]
	v_lshl_add_u64 v[12:13], v[12:13], 2, s[22:23]
	s_delay_alu instid0(VALU_DEP_1) | instskip(SKIP_4) | instid1(VALU_DEP_1)
	v_lshl_add_u64 v[10:11], v[10:11], 2, v[12:13]
	global_load_b32 v10, v[10:11], off
	s_wait_loadcnt 0x0
	s_wait_xcnt 0x0
	v_ashrrev_i32_e32 v11, 31, v10
	v_cmp_le_i64_e32 vcc_lo, s[6:7], v[10:11]
	v_cmp_ge_i64_e64 s0, s[8:9], v[10:11]
	s_and_b32 s0, vcc_lo, s0
	s_delay_alu instid0(SALU_CYCLE_1)
	s_and_saveexec_b32 s36, s0
	s_cbranch_execz .LBB34_9
; %bb.18:                               ;   in Loop: Header=BB34_10 Depth=1
	v_sub_nc_u64_e64 v[10:11], v[10:11], s[6:7]
                                        ; implicit-def: $vgpr12_vgpr13
	s_mov_b32 s0, exec_lo
	s_delay_alu instid0(VALU_DEP_1) | instskip(NEXT) | instid1(VALU_DEP_1)
	v_mul_u64_e32 v[10:11], s[4:5], v[10:11]
	v_or_b32_e32 v5, s25, v11
	s_delay_alu instid0(VALU_DEP_1)
	v_cmpx_ne_u64_e32 0, v[4:5]
	s_xor_b32 s37, exec_lo, s0
	s_cbranch_execz .LBB34_20
; %bb.19:                               ;   in Loop: Header=BB34_10 Depth=1
	s_mov_b32 s31, s30
	v_dual_mov_b32 v15, v4 :: v_dual_ashrrev_i32 v12, 31, v11
	s_add_nc_u64 s[34:35], s[24:25], s[30:31]
	s_delay_alu instid0(SALU_CYCLE_1) | instskip(NEXT) | instid1(VALU_DEP_1)
	s_xor_b64 s[34:35], s[34:35], s[30:31]
	v_mov_b32_e32 v13, v12
	s_cvt_f32_u32 s0, s34
	s_cvt_f32_u32 s18, s35
	s_sub_nc_u64 s[40:41], 0, s[34:35]
	s_delay_alu instid0(VALU_DEP_1) | instskip(NEXT) | instid1(SALU_CYCLE_1)
	v_add_nc_u64_e32 v[10:11], v[10:11], v[12:13]
	s_fmamk_f32 s0, s18, 0x4f800000, s0
	v_mov_b32_e32 v23, v4
	s_delay_alu instid0(SALU_CYCLE_2) | instskip(NEXT) | instid1(VALU_DEP_2)
	v_s_rcp_f32 s0, s0
	v_xor_b32_e32 v14, v10, v12
	s_delay_alu instid0(VALU_DEP_3) | instskip(NEXT) | instid1(TRANS32_DEP_1)
	v_dual_mov_b32 v27, v4 :: v_dual_bitop2_b32 v22, v11, v12 bitop3:0x14
	s_mul_f32 s0, s0, 0x5f7ffffc
	s_delay_alu instid0(SALU_CYCLE_3) | instskip(NEXT) | instid1(SALU_CYCLE_3)
	s_mul_f32 s18, s0, 0x2f800000
	s_trunc_f32 s18, s18
	s_delay_alu instid0(SALU_CYCLE_3) | instskip(SKIP_1) | instid1(SALU_CYCLE_2)
	s_fmamk_f32 s0, s18, 0xcf800000, s0
	s_cvt_u32_f32 s39, s18
	s_cvt_u32_f32 s38, s0
	s_delay_alu instid0(SALU_CYCLE_3) | instskip(NEXT) | instid1(SALU_CYCLE_1)
	s_mul_u64 s[44:45], s[40:41], s[38:39]
	s_mul_hi_u32 s47, s38, s45
	s_mul_i32 s46, s38, s45
	s_mul_hi_u32 s18, s38, s44
	s_mul_i32 s31, s39, s44
	s_add_nc_u64 s[46:47], s[18:19], s[46:47]
	s_mul_hi_u32 s0, s39, s44
	s_mul_hi_u32 s43, s39, s45
	s_add_co_u32 s18, s46, s31
	s_add_co_ci_u32 s18, s47, s0
	s_mul_i32 s44, s39, s45
	s_add_co_ci_u32 s45, s43, 0
	s_delay_alu instid0(SALU_CYCLE_1) | instskip(NEXT) | instid1(SALU_CYCLE_1)
	s_add_nc_u64 s[44:45], s[18:19], s[44:45]
	s_add_co_u32 s38, s38, s44
	s_cselect_b32 s0, -1, 0
	s_delay_alu instid0(SALU_CYCLE_1) | instskip(SKIP_1) | instid1(SALU_CYCLE_1)
	s_cmp_lg_u32 s0, 0
	s_add_co_ci_u32 s39, s39, s45
	s_mul_u64 s[40:41], s[40:41], s[38:39]
	s_delay_alu instid0(SALU_CYCLE_1)
	s_mul_hi_u32 s45, s38, s41
	s_mul_i32 s44, s38, s41
	s_mul_hi_u32 s18, s38, s40
	s_mul_i32 s31, s39, s40
	s_add_nc_u64 s[44:45], s[18:19], s[44:45]
	s_mul_hi_u32 s0, s39, s40
	s_mul_hi_u32 s43, s39, s41
	s_add_co_u32 s18, s44, s31
	s_add_co_ci_u32 s18, s45, s0
	s_mul_i32 s40, s39, s41
	s_add_co_ci_u32 s41, s43, 0
	s_delay_alu instid0(SALU_CYCLE_1) | instskip(NEXT) | instid1(SALU_CYCLE_1)
	s_add_nc_u64 s[40:41], s[18:19], s[40:41]
	s_add_co_u32 s0, s38, s40
	s_cselect_b32 s18, -1, 0
	v_mul_hi_u32 v26, v14, s0
	s_cmp_lg_u32 s18, 0
	s_add_co_ci_u32 s18, s39, s41
	s_and_b64 s[38:39], s[0:1], s[26:27]
	v_mul_u64_e32 v[20:21], s[18:19], v[14:15]
	v_mul_u64_e32 v[10:11], s[38:39], v[22:23]
	v_mul_u64_e32 v[24:25], s[18:19], v[22:23]
	s_delay_alu instid0(VALU_DEP_3) | instskip(NEXT) | instid1(VALU_DEP_1)
	v_add_nc_u64_e32 v[20:21], v[26:27], v[20:21]
	v_add_co_u32 v5, vcc_lo, v20, v10
	s_delay_alu instid0(VALU_DEP_2) | instskip(NEXT) | instid1(VALU_DEP_4)
	v_add_co_ci_u32_e32 v26, vcc_lo, v21, v11, vcc_lo
	v_add_co_ci_u32_e32 v25, vcc_lo, 0, v25, vcc_lo
	s_delay_alu instid0(VALU_DEP_1) | instskip(NEXT) | instid1(VALU_DEP_1)
	v_add_nc_u64_e32 v[10:11], v[26:27], v[24:25]
	v_mul_u64_e32 v[20:21], s[34:35], v[10:11]
	s_delay_alu instid0(VALU_DEP_1) | instskip(NEXT) | instid1(VALU_DEP_2)
	v_sub_nc_u32_e32 v5, v22, v21
	v_sub_co_u32 v13, vcc_lo, v14, v20
	s_delay_alu instid0(VALU_DEP_1) | instskip(NEXT) | instid1(VALU_DEP_3)
	v_sub_co_ci_u32_e64 v19, null, v22, v21, vcc_lo
	v_subrev_co_ci_u32_e64 v5, null, s35, v5, vcc_lo
	s_delay_alu instid0(VALU_DEP_3) | instskip(SKIP_1) | instid1(VALU_DEP_3)
	v_sub_co_u32 v14, s0, v13, s34
	v_add_nc_u64_e32 v[20:21], 1, v[10:11]
	v_subrev_co_ci_u32_e64 v5, null, 0, v5, s0
	s_delay_alu instid0(VALU_DEP_3) | instskip(SKIP_1) | instid1(VALU_DEP_3)
	v_cmp_le_u32_e32 vcc_lo, s34, v14
	v_cndmask_b32_e64 v14, 0, -1, vcc_lo
	v_cmp_le_u32_e32 vcc_lo, s35, v5
	v_cndmask_b32_e64 v15, 0, -1, vcc_lo
	;; [unrolled: 2-line block ×4, first 2 shown]
	v_cmp_eq_u32_e32 vcc_lo, s35, v5
	v_cndmask_b32_e32 v5, v15, v14, vcc_lo
	v_cmp_eq_u32_e32 vcc_lo, s35, v19
	v_add_nc_u64_e32 v[14:15], 2, v[10:11]
	v_cndmask_b32_e32 v13, v22, v13, vcc_lo
	s_delay_alu instid0(VALU_DEP_4) | instskip(NEXT) | instid1(VALU_DEP_2)
	v_cmp_ne_u32_e32 vcc_lo, 0, v5
	v_cmp_ne_u32_e64 s0, 0, v13
	s_delay_alu instid0(VALU_DEP_4) | instskip(NEXT) | instid1(VALU_DEP_1)
	v_dual_cndmask_b32 v5, v21, v15, vcc_lo :: v_dual_cndmask_b32 v13, v20, v14, vcc_lo
	v_dual_cndmask_b32 v5, v11, v5, s0 :: v_dual_bitop2_b32 v12, s30, v12 bitop3:0x14
	s_delay_alu instid0(VALU_DEP_1) | instskip(NEXT) | instid1(VALU_DEP_2)
	v_dual_cndmask_b32 v10, v10, v13, s0 :: v_dual_mov_b32 v13, v12
	v_xor_b32_e32 v11, v5, v12
	s_delay_alu instid0(VALU_DEP_2) | instskip(NEXT) | instid1(VALU_DEP_1)
	v_xor_b32_e32 v10, v10, v12
	v_sub_nc_u64_e32 v[12:13], v[10:11], v[12:13]
                                        ; implicit-def: $vgpr10_vgpr11
.LBB34_20:                              ;   in Loop: Header=BB34_10 Depth=1
	s_and_not1_saveexec_b32 s0, s37
	s_cbranch_execz .LBB34_8
; %bb.21:                               ;   in Loop: Header=BB34_10 Depth=1
	v_cvt_f32_u32_e32 v5, s24
	s_sub_co_i32 s18, 0, s24
	s_delay_alu instid0(VALU_DEP_1) | instskip(SKIP_1) | instid1(TRANS32_DEP_1)
	v_rcp_iflag_f32_e32 v5, v5
	v_nop
	v_mul_f32_e32 v5, 0x4f7ffffe, v5
	s_delay_alu instid0(VALU_DEP_1) | instskip(NEXT) | instid1(VALU_DEP_1)
	v_cvt_u32_f32_e32 v5, v5
	v_mul_lo_u32 v11, s18, v5
	s_delay_alu instid0(VALU_DEP_1) | instskip(NEXT) | instid1(VALU_DEP_1)
	v_mul_hi_u32 v11, v5, v11
	v_add_nc_u32_e32 v5, v5, v11
	s_delay_alu instid0(VALU_DEP_1) | instskip(NEXT) | instid1(VALU_DEP_1)
	v_mul_hi_u32 v5, v10, v5
	v_mul_lo_u32 v11, v5, s24
	s_delay_alu instid0(VALU_DEP_1) | instskip(NEXT) | instid1(VALU_DEP_1)
	v_dual_sub_nc_u32 v10, v10, v11 :: v_dual_add_nc_u32 v11, 1, v5
	v_subrev_nc_u32_e32 v12, s24, v10
	v_cmp_le_u32_e32 vcc_lo, s24, v10
	s_delay_alu instid0(VALU_DEP_2) | instskip(NEXT) | instid1(VALU_DEP_1)
	v_dual_cndmask_b32 v10, v10, v12 :: v_dual_cndmask_b32 v5, v5, v11
	v_cmp_le_u32_e32 vcc_lo, s24, v10
	s_delay_alu instid0(VALU_DEP_2) | instskip(NEXT) | instid1(VALU_DEP_1)
	v_add_nc_u32_e32 v11, 1, v5
	v_cndmask_b32_e32 v12, v5, v11, vcc_lo
	s_branch .LBB34_8
.LBB34_22:
	s_or_b32 exec_lo, exec_lo, s3
; %bb.23:
	s_wait_dscnt 0x0
	s_barrier_signal -1
	s_barrier_wait -1
	s_and_saveexec_b32 s0, s2
	s_cbranch_execz .LBB34_26
; %bb.24:
	s_mov_b32 s0, 0
	v_and_b32_e32 v2, 0xffff, v18
	v_dual_mov_b32 v3, s0 :: v_dual_lshlrev_b32 v8, 3, v17
	v_mul_u64_e32 v[6:7], s[16:17], v[0:1]
	s_delay_alu instid0(VALU_DEP_2) | instskip(NEXT) | instid1(VALU_DEP_2)
	v_mul_u64_e32 v[4:5], s[16:17], v[2:3]
	v_lshl_add_u64 v[6:7], v[6:7], 3, s[12:13]
	s_delay_alu instid0(VALU_DEP_2)
	v_lshlrev_b64_e32 v[4:5], 3, v[4:5]
.LBB34_25:                              ; =>This Inner Loop Header: Depth=1
	ds_load_b64 v[10:11], v16
	v_add_nc_u64_e32 v[0:1], v[0:1], v[2:3]
	v_add_nc_u32_e32 v16, v16, v8
	s_delay_alu instid0(VALU_DEP_2)
	v_cmp_le_i64_e32 vcc_lo, s[14:15], v[0:1]
	s_or_b32 s0, vcc_lo, s0
	s_wait_dscnt 0x0
	global_atomic_add_f64 v[6:7], v[10:11], off scope:SCOPE_DEV
	s_wait_xcnt 0x0
	v_add_nc_u64_e32 v[6:7], v[6:7], v[4:5]
	s_and_not1_b32 exec_lo, exec_lo, s0
	s_cbranch_execnz .LBB34_25
.LBB34_26:
	s_endpgm
	.section	.rodata,"a",@progbits
	.p2align	6, 0x0
	.amdhsa_kernel _ZN2at4cuda17kernelHistogram1DIdilLi1ELi2ELin1ELNS0_23CUDAHistogramMemoryTypeE0EZNS0_21CUDA_tensor_histogramIdiLb1EEEbNS_6TensorES4_S4_lNS_14AccumulateTypeIT0_Lb1EE4typeES8_NS0_13TensorArgTypeES9_S9_EUllE0_EEvNS0_6detail10TensorInfoIT_T1_EESF_NSC_IKS6_SE_EElS8_S8_SE_T6_
		.amdhsa_group_segment_fixed_size 0
		.amdhsa_private_segment_fixed_size 0
		.amdhsa_kernarg_size 1544
		.amdhsa_user_sgpr_count 2
		.amdhsa_user_sgpr_dispatch_ptr 0
		.amdhsa_user_sgpr_queue_ptr 0
		.amdhsa_user_sgpr_kernarg_segment_ptr 1
		.amdhsa_user_sgpr_dispatch_id 0
		.amdhsa_user_sgpr_kernarg_preload_length 0
		.amdhsa_user_sgpr_kernarg_preload_offset 0
		.amdhsa_user_sgpr_private_segment_size 0
		.amdhsa_wavefront_size32 1
		.amdhsa_uses_dynamic_stack 0
		.amdhsa_enable_private_segment 0
		.amdhsa_system_sgpr_workgroup_id_x 1
		.amdhsa_system_sgpr_workgroup_id_y 0
		.amdhsa_system_sgpr_workgroup_id_z 0
		.amdhsa_system_sgpr_workgroup_info 0
		.amdhsa_system_vgpr_workitem_id 0
		.amdhsa_next_free_vgpr 32
		.amdhsa_next_free_sgpr 53
		.amdhsa_named_barrier_count 0
		.amdhsa_reserve_vcc 1
		.amdhsa_float_round_mode_32 0
		.amdhsa_float_round_mode_16_64 0
		.amdhsa_float_denorm_mode_32 3
		.amdhsa_float_denorm_mode_16_64 3
		.amdhsa_fp16_overflow 0
		.amdhsa_memory_ordered 1
		.amdhsa_forward_progress 1
		.amdhsa_inst_pref_size 19
		.amdhsa_round_robin_scheduling 0
		.amdhsa_exception_fp_ieee_invalid_op 0
		.amdhsa_exception_fp_denorm_src 0
		.amdhsa_exception_fp_ieee_div_zero 0
		.amdhsa_exception_fp_ieee_overflow 0
		.amdhsa_exception_fp_ieee_underflow 0
		.amdhsa_exception_fp_ieee_inexact 0
		.amdhsa_exception_int_div_zero 0
	.end_amdhsa_kernel
	.section	.text._ZN2at4cuda17kernelHistogram1DIdilLi1ELi2ELin1ELNS0_23CUDAHistogramMemoryTypeE0EZNS0_21CUDA_tensor_histogramIdiLb1EEEbNS_6TensorES4_S4_lNS_14AccumulateTypeIT0_Lb1EE4typeES8_NS0_13TensorArgTypeES9_S9_EUllE0_EEvNS0_6detail10TensorInfoIT_T1_EESF_NSC_IKS6_SE_EElS8_S8_SE_T6_,"axG",@progbits,_ZN2at4cuda17kernelHistogram1DIdilLi1ELi2ELin1ELNS0_23CUDAHistogramMemoryTypeE0EZNS0_21CUDA_tensor_histogramIdiLb1EEEbNS_6TensorES4_S4_lNS_14AccumulateTypeIT0_Lb1EE4typeES8_NS0_13TensorArgTypeES9_S9_EUllE0_EEvNS0_6detail10TensorInfoIT_T1_EESF_NSC_IKS6_SE_EElS8_S8_SE_T6_,comdat
.Lfunc_end34:
	.size	_ZN2at4cuda17kernelHistogram1DIdilLi1ELi2ELin1ELNS0_23CUDAHistogramMemoryTypeE0EZNS0_21CUDA_tensor_histogramIdiLb1EEEbNS_6TensorES4_S4_lNS_14AccumulateTypeIT0_Lb1EE4typeES8_NS0_13TensorArgTypeES9_S9_EUllE0_EEvNS0_6detail10TensorInfoIT_T1_EESF_NSC_IKS6_SE_EElS8_S8_SE_T6_, .Lfunc_end34-_ZN2at4cuda17kernelHistogram1DIdilLi1ELi2ELin1ELNS0_23CUDAHistogramMemoryTypeE0EZNS0_21CUDA_tensor_histogramIdiLb1EEEbNS_6TensorES4_S4_lNS_14AccumulateTypeIT0_Lb1EE4typeES8_NS0_13TensorArgTypeES9_S9_EUllE0_EEvNS0_6detail10TensorInfoIT_T1_EESF_NSC_IKS6_SE_EElS8_S8_SE_T6_
                                        ; -- End function
	.set _ZN2at4cuda17kernelHistogram1DIdilLi1ELi2ELin1ELNS0_23CUDAHistogramMemoryTypeE0EZNS0_21CUDA_tensor_histogramIdiLb1EEEbNS_6TensorES4_S4_lNS_14AccumulateTypeIT0_Lb1EE4typeES8_NS0_13TensorArgTypeES9_S9_EUllE0_EEvNS0_6detail10TensorInfoIT_T1_EESF_NSC_IKS6_SE_EElS8_S8_SE_T6_.num_vgpr, 32
	.set _ZN2at4cuda17kernelHistogram1DIdilLi1ELi2ELin1ELNS0_23CUDAHistogramMemoryTypeE0EZNS0_21CUDA_tensor_histogramIdiLb1EEEbNS_6TensorES4_S4_lNS_14AccumulateTypeIT0_Lb1EE4typeES8_NS0_13TensorArgTypeES9_S9_EUllE0_EEvNS0_6detail10TensorInfoIT_T1_EESF_NSC_IKS6_SE_EElS8_S8_SE_T6_.num_agpr, 0
	.set _ZN2at4cuda17kernelHistogram1DIdilLi1ELi2ELin1ELNS0_23CUDAHistogramMemoryTypeE0EZNS0_21CUDA_tensor_histogramIdiLb1EEEbNS_6TensorES4_S4_lNS_14AccumulateTypeIT0_Lb1EE4typeES8_NS0_13TensorArgTypeES9_S9_EUllE0_EEvNS0_6detail10TensorInfoIT_T1_EESF_NSC_IKS6_SE_EElS8_S8_SE_T6_.numbered_sgpr, 53
	.set _ZN2at4cuda17kernelHistogram1DIdilLi1ELi2ELin1ELNS0_23CUDAHistogramMemoryTypeE0EZNS0_21CUDA_tensor_histogramIdiLb1EEEbNS_6TensorES4_S4_lNS_14AccumulateTypeIT0_Lb1EE4typeES8_NS0_13TensorArgTypeES9_S9_EUllE0_EEvNS0_6detail10TensorInfoIT_T1_EESF_NSC_IKS6_SE_EElS8_S8_SE_T6_.num_named_barrier, 0
	.set _ZN2at4cuda17kernelHistogram1DIdilLi1ELi2ELin1ELNS0_23CUDAHistogramMemoryTypeE0EZNS0_21CUDA_tensor_histogramIdiLb1EEEbNS_6TensorES4_S4_lNS_14AccumulateTypeIT0_Lb1EE4typeES8_NS0_13TensorArgTypeES9_S9_EUllE0_EEvNS0_6detail10TensorInfoIT_T1_EESF_NSC_IKS6_SE_EElS8_S8_SE_T6_.private_seg_size, 0
	.set _ZN2at4cuda17kernelHistogram1DIdilLi1ELi2ELin1ELNS0_23CUDAHistogramMemoryTypeE0EZNS0_21CUDA_tensor_histogramIdiLb1EEEbNS_6TensorES4_S4_lNS_14AccumulateTypeIT0_Lb1EE4typeES8_NS0_13TensorArgTypeES9_S9_EUllE0_EEvNS0_6detail10TensorInfoIT_T1_EESF_NSC_IKS6_SE_EElS8_S8_SE_T6_.uses_vcc, 1
	.set _ZN2at4cuda17kernelHistogram1DIdilLi1ELi2ELin1ELNS0_23CUDAHistogramMemoryTypeE0EZNS0_21CUDA_tensor_histogramIdiLb1EEEbNS_6TensorES4_S4_lNS_14AccumulateTypeIT0_Lb1EE4typeES8_NS0_13TensorArgTypeES9_S9_EUllE0_EEvNS0_6detail10TensorInfoIT_T1_EESF_NSC_IKS6_SE_EElS8_S8_SE_T6_.uses_flat_scratch, 0
	.set _ZN2at4cuda17kernelHistogram1DIdilLi1ELi2ELin1ELNS0_23CUDAHistogramMemoryTypeE0EZNS0_21CUDA_tensor_histogramIdiLb1EEEbNS_6TensorES4_S4_lNS_14AccumulateTypeIT0_Lb1EE4typeES8_NS0_13TensorArgTypeES9_S9_EUllE0_EEvNS0_6detail10TensorInfoIT_T1_EESF_NSC_IKS6_SE_EElS8_S8_SE_T6_.has_dyn_sized_stack, 0
	.set _ZN2at4cuda17kernelHistogram1DIdilLi1ELi2ELin1ELNS0_23CUDAHistogramMemoryTypeE0EZNS0_21CUDA_tensor_histogramIdiLb1EEEbNS_6TensorES4_S4_lNS_14AccumulateTypeIT0_Lb1EE4typeES8_NS0_13TensorArgTypeES9_S9_EUllE0_EEvNS0_6detail10TensorInfoIT_T1_EESF_NSC_IKS6_SE_EElS8_S8_SE_T6_.has_recursion, 0
	.set _ZN2at4cuda17kernelHistogram1DIdilLi1ELi2ELin1ELNS0_23CUDAHistogramMemoryTypeE0EZNS0_21CUDA_tensor_histogramIdiLb1EEEbNS_6TensorES4_S4_lNS_14AccumulateTypeIT0_Lb1EE4typeES8_NS0_13TensorArgTypeES9_S9_EUllE0_EEvNS0_6detail10TensorInfoIT_T1_EESF_NSC_IKS6_SE_EElS8_S8_SE_T6_.has_indirect_call, 0
	.section	.AMDGPU.csdata,"",@progbits
; Kernel info:
; codeLenInByte = 2348
; TotalNumSgprs: 55
; NumVgprs: 32
; ScratchSize: 0
; MemoryBound: 0
; FloatMode: 240
; IeeeMode: 1
; LDSByteSize: 0 bytes/workgroup (compile time only)
; SGPRBlocks: 0
; VGPRBlocks: 1
; NumSGPRsForWavesPerEU: 55
; NumVGPRsForWavesPerEU: 32
; NamedBarCnt: 0
; Occupancy: 16
; WaveLimiterHint : 1
; COMPUTE_PGM_RSRC2:SCRATCH_EN: 0
; COMPUTE_PGM_RSRC2:USER_SGPR: 2
; COMPUTE_PGM_RSRC2:TRAP_HANDLER: 0
; COMPUTE_PGM_RSRC2:TGID_X_EN: 1
; COMPUTE_PGM_RSRC2:TGID_Y_EN: 0
; COMPUTE_PGM_RSRC2:TGID_Z_EN: 0
; COMPUTE_PGM_RSRC2:TIDIG_COMP_CNT: 0
	.section	.text._ZN2at4cuda17kernelHistogram1DIdilLi1ELi2ELin1ELNS0_23CUDAHistogramMemoryTypeE1EZNS0_21CUDA_tensor_histogramIdiLb1EEEbNS_6TensorES4_S4_lNS_14AccumulateTypeIT0_Lb1EE4typeES8_NS0_13TensorArgTypeES9_S9_EUllE0_EEvNS0_6detail10TensorInfoIT_T1_EESF_NSC_IKS6_SE_EElS8_S8_SE_T6_,"axG",@progbits,_ZN2at4cuda17kernelHistogram1DIdilLi1ELi2ELin1ELNS0_23CUDAHistogramMemoryTypeE1EZNS0_21CUDA_tensor_histogramIdiLb1EEEbNS_6TensorES4_S4_lNS_14AccumulateTypeIT0_Lb1EE4typeES8_NS0_13TensorArgTypeES9_S9_EUllE0_EEvNS0_6detail10TensorInfoIT_T1_EESF_NSC_IKS6_SE_EElS8_S8_SE_T6_,comdat
	.protected	_ZN2at4cuda17kernelHistogram1DIdilLi1ELi2ELin1ELNS0_23CUDAHistogramMemoryTypeE1EZNS0_21CUDA_tensor_histogramIdiLb1EEEbNS_6TensorES4_S4_lNS_14AccumulateTypeIT0_Lb1EE4typeES8_NS0_13TensorArgTypeES9_S9_EUllE0_EEvNS0_6detail10TensorInfoIT_T1_EESF_NSC_IKS6_SE_EElS8_S8_SE_T6_ ; -- Begin function _ZN2at4cuda17kernelHistogram1DIdilLi1ELi2ELin1ELNS0_23CUDAHistogramMemoryTypeE1EZNS0_21CUDA_tensor_histogramIdiLb1EEEbNS_6TensorES4_S4_lNS_14AccumulateTypeIT0_Lb1EE4typeES8_NS0_13TensorArgTypeES9_S9_EUllE0_EEvNS0_6detail10TensorInfoIT_T1_EESF_NSC_IKS6_SE_EElS8_S8_SE_T6_
	.globl	_ZN2at4cuda17kernelHistogram1DIdilLi1ELi2ELin1ELNS0_23CUDAHistogramMemoryTypeE1EZNS0_21CUDA_tensor_histogramIdiLb1EEEbNS_6TensorES4_S4_lNS_14AccumulateTypeIT0_Lb1EE4typeES8_NS0_13TensorArgTypeES9_S9_EUllE0_EEvNS0_6detail10TensorInfoIT_T1_EESF_NSC_IKS6_SE_EElS8_S8_SE_T6_
	.p2align	8
	.type	_ZN2at4cuda17kernelHistogram1DIdilLi1ELi2ELin1ELNS0_23CUDAHistogramMemoryTypeE1EZNS0_21CUDA_tensor_histogramIdiLb1EEEbNS_6TensorES4_S4_lNS_14AccumulateTypeIT0_Lb1EE4typeES8_NS0_13TensorArgTypeES9_S9_EUllE0_EEvNS0_6detail10TensorInfoIT_T1_EESF_NSC_IKS6_SE_EElS8_S8_SE_T6_,@function
_ZN2at4cuda17kernelHistogram1DIdilLi1ELi2ELin1ELNS0_23CUDAHistogramMemoryTypeE1EZNS0_21CUDA_tensor_histogramIdiLb1EEEbNS_6TensorES4_S4_lNS_14AccumulateTypeIT0_Lb1EE4typeES8_NS0_13TensorArgTypeES9_S9_EUllE0_EEvNS0_6detail10TensorInfoIT_T1_EESF_NSC_IKS6_SE_EElS8_S8_SE_T6_: ; @_ZN2at4cuda17kernelHistogram1DIdilLi1ELi2ELin1ELNS0_23CUDAHistogramMemoryTypeE1EZNS0_21CUDA_tensor_histogramIdiLb1EEEbNS_6TensorES4_S4_lNS_14AccumulateTypeIT0_Lb1EE4typeES8_NS0_13TensorArgTypeES9_S9_EUllE0_EEvNS0_6detail10TensorInfoIT_T1_EESF_NSC_IKS6_SE_EElS8_S8_SE_T6_
; %bb.0:
	s_load_b32 s2, s[0:1], 0x514
	s_bfe_u32 s12, ttmp6, 0x4000c
	s_load_b256 s[4:11], s[0:1], 0x4e0
	s_add_co_i32 s12, s12, 1
	s_and_b32 s3, ttmp6, 15
	s_mul_i32 s12, ttmp9, s12
	s_getreg_b32 s13, hwreg(HW_REG_IB_STS2, 6, 4)
	s_add_co_i32 s3, s3, s12
	v_mov_b32_e32 v2, 0
	s_mov_b32 s12, exec_lo
	s_delay_alu instid0(VALU_DEP_1) | instskip(SKIP_4) | instid1(SALU_CYCLE_1)
	v_mov_b32_e32 v1, v2
	s_wait_kmcnt 0x0
	s_and_b32 s2, s2, 0xffff
	s_cmp_eq_u32 s13, 0
	s_cselect_b32 s3, ttmp9, s3
	v_mad_u32 v0, s3, s2, v0
	s_mov_b32 s3, 0
	s_delay_alu instid0(VALU_DEP_1)
	v_cmpx_gt_i64_e64 s[10:11], v[0:1]
	s_cbranch_execz .LBB35_16
; %bb.1:
	s_load_b32 s28, s[0:1], 0x4d8
	s_add_nc_u64 s[20:21], s[0:1], 0x508
	s_load_b32 s22, s[20:21], 0x0
	s_clause 0x3
	s_load_b64 s[12:13], s[0:1], 0x0
	s_load_b64 s[14:15], s[0:1], 0xd0
	;; [unrolled: 1-line block ×4, first 2 shown]
	s_add_nc_u64 s[26:27], s[0:1], 0x340
	v_mov_b64_e32 v[4:5], 1.0
	s_wait_xcnt 0x0
	s_sub_nc_u64 s[20:21], s[8:9], s[6:7]
	s_mov_b32 s23, s3
	s_mov_b64 s[24:25], 0xffffffff
	s_mov_b32 s40, 0
	s_wait_kmcnt 0x0
	s_mul_i32 s22, s22, s2
	s_cmp_gt_i32 s28, 1
	s_cselect_b32 s1, -1, 0
	s_add_co_i32 s2, s28, -1
	s_add_co_i32 s33, s28, 1
	s_lshl_b64 s[28:29], s[2:3], 3
	s_delay_alu instid0(SALU_CYCLE_1)
	s_add_nc_u64 s[28:29], s[26:27], s[28:29]
	s_ashr_i32 s26, s21, 31
	s_add_nc_u64 s[28:29], s[28:29], 8
	s_branch .LBB35_4
.LBB35_2:                               ;   in Loop: Header=BB35_4 Depth=1
	s_or_b32 exec_lo, exec_lo, s0
	s_delay_alu instid0(VALU_DEP_1) | instskip(NEXT) | instid1(VALU_DEP_1)
	v_dual_ashrrev_i32 v9, 31, v8 :: v_dual_mov_b32 v7, s3
	v_cmp_eq_u64_e32 vcc_lo, s[4:5], v[8:9]
	v_cndmask_b32_e64 v6, 0, 1, vcc_lo
	s_delay_alu instid0(VALU_DEP_1) | instskip(NEXT) | instid1(VALU_DEP_1)
	v_sub_nc_u64_e32 v[6:7], v[8:9], v[6:7]
	v_mul_u64_e32 v[6:7], s[14:15], v[6:7]
	s_delay_alu instid0(VALU_DEP_1)
	v_lshl_add_u64 v[6:7], v[6:7], 3, s[12:13]
	global_atomic_add_f64 v[6:7], v[4:5], off scope:SCOPE_DEV
.LBB35_3:                               ;   in Loop: Header=BB35_4 Depth=1
	s_wait_xcnt 0x0
	s_or_b32 exec_lo, exec_lo, s34
	v_add_nc_u64_e32 v[0:1], s[22:23], v[0:1]
	s_delay_alu instid0(VALU_DEP_1) | instskip(SKIP_1) | instid1(SALU_CYCLE_1)
	v_cmp_le_i64_e32 vcc_lo, s[10:11], v[0:1]
	s_or_b32 s40, vcc_lo, s40
	s_and_not1_b32 exec_lo, exec_lo, s40
	s_cbranch_execz .LBB35_16
.LBB35_4:                               ; =>This Loop Header: Depth=1
                                        ;     Child Loop BB35_5 Depth 2
	v_mov_b64_e32 v[6:7], 0
	v_mov_b64_e32 v[8:9], v[0:1]
	;; [unrolled: 1-line block ×3, first 2 shown]
	s_and_not1_b32 vcc_lo, exec_lo, s1
	s_mov_b64 s[30:31], s[28:29]
	s_mov_b32 s27, s33
	s_cbranch_vccnz .LBB35_11
.LBB35_5:                               ;   Parent Loop BB35_4 Depth=1
                                        ; =>  This Inner Loop Header: Depth=2
	s_load_b64 s[34:35], s[30:31], 0x0
                                        ; implicit-def: $vgpr10_vgpr11
	s_mov_b32 s0, exec_lo
	s_wait_kmcnt 0x0
	s_delay_alu instid0(VALU_DEP_1) | instskip(NEXT) | instid1(VALU_DEP_1)
	v_or_b32_e32 v3, s35, v9
	v_cmpx_ne_u64_e32 0, v[2:3]
	s_xor_b32 s41, exec_lo, s0
	s_cbranch_execz .LBB35_7
; %bb.6:                                ;   in Loop: Header=BB35_5 Depth=2
	s_ashr_i32 s36, s35, 31
	v_dual_mov_b32 v15, v2 :: v_dual_ashrrev_i32 v10, 31, v9
	s_mov_b32 s37, s36
	v_mov_b32_e32 v23, v2
	s_add_nc_u64 s[38:39], s[34:35], s[36:37]
	s_delay_alu instid0(VALU_DEP_2) | instskip(SKIP_1) | instid1(SALU_CYCLE_1)
	v_mov_b32_e32 v11, v10
	s_xor_b64 s[38:39], s[38:39], s[36:37]
	s_cvt_f32_u32 s0, s38
	s_cvt_f32_u32 s2, s39
	s_sub_nc_u64 s[44:45], 0, s[38:39]
	v_add_nc_u64_e32 v[12:13], v[8:9], v[10:11]
	v_mov_b32_e32 v19, v2
	s_fmamk_f32 s0, s2, 0x4f800000, s0
	s_delay_alu instid0(SALU_CYCLE_3) | instskip(NEXT) | instid1(VALU_DEP_2)
	v_s_rcp_f32 s0, s0
	v_xor_b32_e32 v14, v12, v10
	s_delay_alu instid0(VALU_DEP_3) | instskip(NEXT) | instid1(TRANS32_DEP_1)
	v_xor_b32_e32 v18, v13, v10
	s_mul_f32 s0, s0, 0x5f7ffffc
	s_delay_alu instid0(SALU_CYCLE_3) | instskip(NEXT) | instid1(SALU_CYCLE_3)
	s_mul_f32 s2, s0, 0x2f800000
	s_trunc_f32 s2, s2
	s_delay_alu instid0(SALU_CYCLE_3) | instskip(SKIP_1) | instid1(SALU_CYCLE_2)
	s_fmamk_f32 s0, s2, 0xcf800000, s0
	s_cvt_u32_f32 s43, s2
	s_cvt_u32_f32 s42, s0
	s_delay_alu instid0(SALU_CYCLE_3) | instskip(NEXT) | instid1(SALU_CYCLE_1)
	s_mul_u64 s[46:47], s[44:45], s[42:43]
	s_mul_hi_u32 s49, s42, s47
	s_mul_i32 s48, s42, s47
	s_mul_hi_u32 s2, s42, s46
	s_mul_i32 s37, s43, s46
	s_add_nc_u64 s[48:49], s[2:3], s[48:49]
	s_mul_hi_u32 s0, s43, s46
	s_mul_hi_u32 s50, s43, s47
	s_add_co_u32 s2, s48, s37
	s_add_co_ci_u32 s2, s49, s0
	s_mul_i32 s46, s43, s47
	s_add_co_ci_u32 s47, s50, 0
	s_delay_alu instid0(SALU_CYCLE_1) | instskip(NEXT) | instid1(SALU_CYCLE_1)
	s_add_nc_u64 s[46:47], s[2:3], s[46:47]
	s_add_co_u32 s42, s42, s46
	s_cselect_b32 s0, -1, 0
	s_delay_alu instid0(SALU_CYCLE_1) | instskip(SKIP_1) | instid1(SALU_CYCLE_1)
	s_cmp_lg_u32 s0, 0
	s_add_co_ci_u32 s43, s43, s47
	s_mul_u64 s[44:45], s[44:45], s[42:43]
	s_delay_alu instid0(SALU_CYCLE_1)
	s_mul_hi_u32 s47, s42, s45
	s_mul_i32 s46, s42, s45
	s_mul_hi_u32 s2, s42, s44
	s_mul_i32 s37, s43, s44
	s_add_nc_u64 s[46:47], s[2:3], s[46:47]
	s_mul_hi_u32 s0, s43, s44
	s_mul_hi_u32 s48, s43, s45
	s_add_co_u32 s2, s46, s37
	s_add_co_ci_u32 s2, s47, s0
	s_mul_i32 s44, s43, s45
	s_add_co_ci_u32 s45, s48, 0
	s_delay_alu instid0(SALU_CYCLE_1) | instskip(NEXT) | instid1(SALU_CYCLE_1)
	s_add_nc_u64 s[44:45], s[2:3], s[44:45]
	s_add_co_u32 s0, s42, s44
	s_cselect_b32 s2, -1, 0
	v_mul_hi_u32 v22, v14, s0
	s_cmp_lg_u32 s2, 0
	s_add_co_ci_u32 s2, s43, s45
	s_and_b64 s[42:43], s[0:1], s[24:25]
	v_mul_u64_e32 v[16:17], s[2:3], v[14:15]
	v_mul_u64_e32 v[12:13], s[42:43], v[18:19]
	;; [unrolled: 1-line block ×3, first 2 shown]
	s_delay_alu instid0(VALU_DEP_3) | instskip(NEXT) | instid1(VALU_DEP_1)
	v_add_nc_u64_e32 v[16:17], v[22:23], v[16:17]
	v_add_co_u32 v3, vcc_lo, v16, v12
	s_delay_alu instid0(VALU_DEP_2) | instskip(NEXT) | instid1(VALU_DEP_4)
	v_add_co_ci_u32_e32 v22, vcc_lo, v17, v13, vcc_lo
	v_add_co_ci_u32_e32 v21, vcc_lo, 0, v21, vcc_lo
	s_delay_alu instid0(VALU_DEP_1) | instskip(NEXT) | instid1(VALU_DEP_1)
	v_add_nc_u64_e32 v[12:13], v[22:23], v[20:21]
	v_mul_u64_e32 v[16:17], s[38:39], v[12:13]
	s_delay_alu instid0(VALU_DEP_1) | instskip(NEXT) | instid1(VALU_DEP_2)
	v_sub_nc_u32_e32 v3, v18, v17
	v_sub_co_u32 v11, vcc_lo, v14, v16
	s_delay_alu instid0(VALU_DEP_1) | instskip(NEXT) | instid1(VALU_DEP_3)
	v_sub_co_ci_u32_e64 v18, null, v18, v17, vcc_lo
	v_subrev_co_ci_u32_e64 v3, null, s39, v3, vcc_lo
	s_delay_alu instid0(VALU_DEP_3) | instskip(SKIP_1) | instid1(VALU_DEP_3)
	v_sub_co_u32 v14, s0, v11, s38
	v_add_nc_u64_e32 v[16:17], 1, v[12:13]
	v_subrev_co_ci_u32_e64 v3, null, 0, v3, s0
	s_delay_alu instid0(VALU_DEP_3) | instskip(SKIP_1) | instid1(VALU_DEP_3)
	v_cmp_le_u32_e32 vcc_lo, s38, v14
	v_cndmask_b32_e64 v14, 0, -1, vcc_lo
	v_cmp_le_u32_e32 vcc_lo, s39, v3
	v_cndmask_b32_e64 v15, 0, -1, vcc_lo
	;; [unrolled: 2-line block ×4, first 2 shown]
	v_cmp_eq_u32_e32 vcc_lo, s39, v3
	v_cndmask_b32_e32 v3, v15, v14, vcc_lo
	v_cmp_eq_u32_e32 vcc_lo, s39, v18
	v_add_nc_u64_e32 v[14:15], 2, v[12:13]
	v_cndmask_b32_e32 v11, v19, v11, vcc_lo
	s_delay_alu instid0(VALU_DEP_4) | instskip(NEXT) | instid1(VALU_DEP_2)
	v_cmp_ne_u32_e32 vcc_lo, 0, v3
	v_cmp_ne_u32_e64 s0, 0, v11
	s_delay_alu instid0(VALU_DEP_4) | instskip(NEXT) | instid1(VALU_DEP_1)
	v_dual_cndmask_b32 v3, v17, v15, vcc_lo :: v_dual_cndmask_b32 v11, v16, v14, vcc_lo
	v_dual_cndmask_b32 v3, v13, v3, s0 :: v_dual_bitop2_b32 v10, s36, v10 bitop3:0x14
	s_delay_alu instid0(VALU_DEP_1) | instskip(NEXT) | instid1(VALU_DEP_2)
	v_dual_cndmask_b32 v12, v12, v11, s0 :: v_dual_mov_b32 v11, v10
	v_xor_b32_e32 v13, v3, v10
	s_delay_alu instid0(VALU_DEP_2) | instskip(NEXT) | instid1(VALU_DEP_1)
	v_xor_b32_e32 v12, v12, v10
	v_sub_nc_u64_e32 v[10:11], v[12:13], v[10:11]
.LBB35_7:                               ;   in Loop: Header=BB35_5 Depth=2
	s_and_not1_saveexec_b32 s0, s41
	s_cbranch_execz .LBB35_9
; %bb.8:                                ;   in Loop: Header=BB35_5 Depth=2
	v_cvt_f32_u32_e32 v3, s34
	s_sub_co_i32 s2, 0, s34
	s_delay_alu instid0(VALU_DEP_1) | instskip(SKIP_1) | instid1(TRANS32_DEP_1)
	v_rcp_iflag_f32_e32 v3, v3
	v_nop
	v_mul_f32_e32 v3, 0x4f7ffffe, v3
	s_delay_alu instid0(VALU_DEP_1) | instskip(NEXT) | instid1(VALU_DEP_1)
	v_cvt_u32_f32_e32 v3, v3
	v_mul_lo_u32 v10, s2, v3
	s_delay_alu instid0(VALU_DEP_1) | instskip(NEXT) | instid1(VALU_DEP_1)
	v_mul_hi_u32 v10, v3, v10
	v_add_nc_u32_e32 v3, v3, v10
	s_delay_alu instid0(VALU_DEP_1) | instskip(NEXT) | instid1(VALU_DEP_1)
	v_mul_hi_u32 v3, v8, v3
	v_mul_lo_u32 v10, v3, s34
	s_delay_alu instid0(VALU_DEP_1) | instskip(NEXT) | instid1(VALU_DEP_1)
	v_dual_add_nc_u32 v11, 1, v3 :: v_dual_sub_nc_u32 v10, v8, v10
	v_subrev_nc_u32_e32 v12, s34, v10
	v_cmp_le_u32_e32 vcc_lo, s34, v10
	s_delay_alu instid0(VALU_DEP_2) | instskip(NEXT) | instid1(VALU_DEP_1)
	v_dual_cndmask_b32 v10, v10, v12 :: v_dual_cndmask_b32 v3, v3, v11
	v_cmp_le_u32_e32 vcc_lo, s34, v10
	s_delay_alu instid0(VALU_DEP_2) | instskip(NEXT) | instid1(VALU_DEP_1)
	v_add_nc_u32_e32 v11, 1, v3
	v_dual_cndmask_b32 v10, v3, v11 :: v_dual_mov_b32 v11, v2
.LBB35_9:                               ;   in Loop: Header=BB35_5 Depth=2
	s_or_b32 exec_lo, exec_lo, s0
	s_delay_alu instid0(VALU_DEP_1)
	v_mul_u64_e32 v[12:13], s[34:35], v[10:11]
	s_load_b64 s[34:35], s[30:31], 0xc8
	s_add_co_i32 s27, s27, -1
	s_wait_xcnt 0x0
	s_add_nc_u64 s[30:31], s[30:31], -8
	s_cmp_gt_u32 s27, 2
	s_delay_alu instid0(VALU_DEP_1) | instskip(SKIP_1) | instid1(VALU_DEP_1)
	v_sub_nc_u64_e32 v[8:9], v[8:9], v[12:13]
	s_wait_kmcnt 0x0
	v_mad_nc_u64_u32 v[6:7], s34, v8, v[6:7]
	s_delay_alu instid0(VALU_DEP_1) | instskip(NEXT) | instid1(VALU_DEP_1)
	v_mad_u32 v3, s35, v8, v7
	v_mad_u32 v7, s34, v9, v3
	s_cbranch_scc0 .LBB35_11
; %bb.10:                               ;   in Loop: Header=BB35_5 Depth=2
	v_mov_b64_e32 v[8:9], v[10:11]
	s_branch .LBB35_5
.LBB35_11:                              ;   in Loop: Header=BB35_4 Depth=1
	s_delay_alu instid0(VALU_DEP_1) | instskip(NEXT) | instid1(VALU_DEP_1)
	v_mul_u64_e32 v[8:9], s[16:17], v[10:11]
	v_lshl_add_u64 v[8:9], v[8:9], 2, s[18:19]
	s_delay_alu instid0(VALU_DEP_1) | instskip(SKIP_4) | instid1(VALU_DEP_1)
	v_lshl_add_u64 v[6:7], v[6:7], 2, v[8:9]
	global_load_b32 v6, v[6:7], off
	s_wait_loadcnt 0x0
	s_wait_xcnt 0x0
	v_ashrrev_i32_e32 v7, 31, v6
	v_cmp_le_i64_e32 vcc_lo, s[6:7], v[6:7]
	v_cmp_ge_i64_e64 s0, s[8:9], v[6:7]
	s_and_b32 s0, vcc_lo, s0
	s_delay_alu instid0(SALU_CYCLE_1)
	s_and_saveexec_b32 s34, s0
	s_cbranch_execz .LBB35_3
; %bb.12:                               ;   in Loop: Header=BB35_4 Depth=1
	v_sub_nc_u64_e64 v[6:7], v[6:7], s[6:7]
                                        ; implicit-def: $vgpr8_vgpr9
	s_mov_b32 s0, exec_lo
	s_delay_alu instid0(VALU_DEP_1) | instskip(NEXT) | instid1(VALU_DEP_1)
	v_mul_u64_e32 v[6:7], s[4:5], v[6:7]
	v_or_b32_e32 v3, s21, v7
	s_delay_alu instid0(VALU_DEP_1)
	v_cmpx_ne_u64_e32 0, v[2:3]
	s_xor_b32 s35, exec_lo, s0
	s_cbranch_execz .LBB35_14
; %bb.13:                               ;   in Loop: Header=BB35_4 Depth=1
	s_mov_b32 s27, s26
	v_dual_mov_b32 v11, v2 :: v_dual_ashrrev_i32 v8, 31, v7
	s_add_nc_u64 s[30:31], s[20:21], s[26:27]
	v_mov_b32_e32 v19, v2
	s_xor_b64 s[30:31], s[30:31], s[26:27]
	s_delay_alu instid0(VALU_DEP_2) | instskip(SKIP_3) | instid1(VALU_DEP_1)
	v_mov_b32_e32 v9, v8
	s_cvt_f32_u32 s0, s30
	s_cvt_f32_u32 s2, s31
	s_sub_nc_u64 s[38:39], 0, s[30:31]
	v_add_nc_u64_e32 v[6:7], v[6:7], v[8:9]
	s_delay_alu instid0(SALU_CYCLE_1) | instskip(SKIP_1) | instid1(SALU_CYCLE_2)
	s_fmamk_f32 s0, s2, 0x4f800000, s0
	v_mov_b32_e32 v15, v2
	v_s_rcp_f32 s0, s0
	s_delay_alu instid0(VALU_DEP_2) | instskip(NEXT) | instid1(VALU_DEP_3)
	v_xor_b32_e32 v10, v6, v8
	v_xor_b32_e32 v14, v7, v8
	s_delay_alu instid0(TRANS32_DEP_1) | instskip(NEXT) | instid1(SALU_CYCLE_3)
	s_mul_f32 s0, s0, 0x5f7ffffc
	s_mul_f32 s2, s0, 0x2f800000
	s_delay_alu instid0(SALU_CYCLE_3) | instskip(NEXT) | instid1(SALU_CYCLE_3)
	s_trunc_f32 s2, s2
	s_fmamk_f32 s0, s2, 0xcf800000, s0
	s_cvt_u32_f32 s37, s2
	s_delay_alu instid0(SALU_CYCLE_2) | instskip(NEXT) | instid1(SALU_CYCLE_3)
	s_cvt_u32_f32 s36, s0
	s_mul_u64 s[42:43], s[38:39], s[36:37]
	s_delay_alu instid0(SALU_CYCLE_1)
	s_mul_hi_u32 s45, s36, s43
	s_mul_i32 s44, s36, s43
	s_mul_hi_u32 s2, s36, s42
	s_mul_i32 s27, s37, s42
	s_add_nc_u64 s[44:45], s[2:3], s[44:45]
	s_mul_hi_u32 s0, s37, s42
	s_mul_hi_u32 s41, s37, s43
	s_add_co_u32 s2, s44, s27
	s_add_co_ci_u32 s2, s45, s0
	s_mul_i32 s42, s37, s43
	s_add_co_ci_u32 s43, s41, 0
	s_delay_alu instid0(SALU_CYCLE_1) | instskip(NEXT) | instid1(SALU_CYCLE_1)
	s_add_nc_u64 s[42:43], s[2:3], s[42:43]
	s_add_co_u32 s36, s36, s42
	s_cselect_b32 s0, -1, 0
	s_delay_alu instid0(SALU_CYCLE_1) | instskip(SKIP_1) | instid1(SALU_CYCLE_1)
	s_cmp_lg_u32 s0, 0
	s_add_co_ci_u32 s37, s37, s43
	s_mul_u64 s[38:39], s[38:39], s[36:37]
	s_delay_alu instid0(SALU_CYCLE_1)
	s_mul_hi_u32 s43, s36, s39
	s_mul_i32 s42, s36, s39
	s_mul_hi_u32 s2, s36, s38
	s_mul_i32 s27, s37, s38
	s_add_nc_u64 s[42:43], s[2:3], s[42:43]
	s_mul_hi_u32 s0, s37, s38
	s_mul_hi_u32 s41, s37, s39
	s_add_co_u32 s2, s42, s27
	s_add_co_ci_u32 s2, s43, s0
	s_mul_i32 s38, s37, s39
	s_add_co_ci_u32 s39, s41, 0
	s_delay_alu instid0(SALU_CYCLE_1) | instskip(NEXT) | instid1(SALU_CYCLE_1)
	s_add_nc_u64 s[38:39], s[2:3], s[38:39]
	s_add_co_u32 s0, s36, s38
	s_cselect_b32 s2, -1, 0
	v_mul_hi_u32 v18, v10, s0
	s_cmp_lg_u32 s2, 0
	s_add_co_ci_u32 s2, s37, s39
	s_and_b64 s[36:37], s[0:1], s[24:25]
	v_mul_u64_e32 v[12:13], s[2:3], v[10:11]
	v_mul_u64_e32 v[6:7], s[36:37], v[14:15]
	;; [unrolled: 1-line block ×3, first 2 shown]
	s_delay_alu instid0(VALU_DEP_3) | instskip(NEXT) | instid1(VALU_DEP_1)
	v_add_nc_u64_e32 v[12:13], v[18:19], v[12:13]
	v_add_co_u32 v3, vcc_lo, v12, v6
	s_delay_alu instid0(VALU_DEP_2) | instskip(NEXT) | instid1(VALU_DEP_4)
	v_add_co_ci_u32_e32 v18, vcc_lo, v13, v7, vcc_lo
	v_add_co_ci_u32_e32 v17, vcc_lo, 0, v17, vcc_lo
	s_delay_alu instid0(VALU_DEP_1) | instskip(NEXT) | instid1(VALU_DEP_1)
	v_add_nc_u64_e32 v[6:7], v[18:19], v[16:17]
	v_mul_u64_e32 v[12:13], s[30:31], v[6:7]
	s_delay_alu instid0(VALU_DEP_1) | instskip(NEXT) | instid1(VALU_DEP_2)
	v_sub_nc_u32_e32 v3, v14, v13
	v_sub_co_u32 v9, vcc_lo, v10, v12
	s_delay_alu instid0(VALU_DEP_1) | instskip(NEXT) | instid1(VALU_DEP_3)
	v_sub_co_ci_u32_e64 v14, null, v14, v13, vcc_lo
	v_subrev_co_ci_u32_e64 v3, null, s31, v3, vcc_lo
	s_delay_alu instid0(VALU_DEP_3) | instskip(SKIP_1) | instid1(VALU_DEP_3)
	v_sub_co_u32 v10, s0, v9, s30
	v_add_nc_u64_e32 v[12:13], 1, v[6:7]
	v_subrev_co_ci_u32_e64 v3, null, 0, v3, s0
	s_delay_alu instid0(VALU_DEP_3) | instskip(SKIP_1) | instid1(VALU_DEP_3)
	v_cmp_le_u32_e32 vcc_lo, s30, v10
	v_cndmask_b32_e64 v10, 0, -1, vcc_lo
	v_cmp_le_u32_e32 vcc_lo, s31, v3
	v_cndmask_b32_e64 v11, 0, -1, vcc_lo
	v_cmp_le_u32_e32 vcc_lo, s30, v9
	v_cndmask_b32_e64 v9, 0, -1, vcc_lo
	v_cmp_le_u32_e32 vcc_lo, s31, v14
	v_cndmask_b32_e64 v15, 0, -1, vcc_lo
	v_cmp_eq_u32_e32 vcc_lo, s31, v3
	v_cndmask_b32_e32 v3, v11, v10, vcc_lo
	v_cmp_eq_u32_e32 vcc_lo, s31, v14
	v_add_nc_u64_e32 v[10:11], 2, v[6:7]
	v_cndmask_b32_e32 v9, v15, v9, vcc_lo
	s_delay_alu instid0(VALU_DEP_4) | instskip(NEXT) | instid1(VALU_DEP_3)
	v_cmp_ne_u32_e32 vcc_lo, 0, v3
	v_cndmask_b32_e32 v3, v13, v11, vcc_lo
	s_delay_alu instid0(VALU_DEP_3) | instskip(SKIP_1) | instid1(VALU_DEP_1)
	v_cmp_ne_u32_e64 s0, 0, v9
	v_dual_cndmask_b32 v9, v12, v10, vcc_lo :: v_dual_bitop2_b32 v8, s26, v8 bitop3:0x14
	v_dual_cndmask_b32 v3, v7, v3, s0 :: v_dual_cndmask_b32 v6, v6, v9, s0
	s_delay_alu instid0(VALU_DEP_1) | instskip(NEXT) | instid1(VALU_DEP_2)
	v_dual_mov_b32 v9, v8 :: v_dual_bitop2_b32 v7, v3, v8 bitop3:0x14
	v_xor_b32_e32 v6, v6, v8
	s_delay_alu instid0(VALU_DEP_1)
	v_sub_nc_u64_e32 v[8:9], v[6:7], v[8:9]
                                        ; implicit-def: $vgpr6_vgpr7
.LBB35_14:                              ;   in Loop: Header=BB35_4 Depth=1
	s_and_not1_saveexec_b32 s0, s35
	s_cbranch_execz .LBB35_2
; %bb.15:                               ;   in Loop: Header=BB35_4 Depth=1
	v_cvt_f32_u32_e32 v3, s20
	s_sub_co_i32 s2, 0, s20
	s_delay_alu instid0(VALU_DEP_1) | instskip(SKIP_1) | instid1(TRANS32_DEP_1)
	v_rcp_iflag_f32_e32 v3, v3
	v_nop
	v_mul_f32_e32 v3, 0x4f7ffffe, v3
	s_delay_alu instid0(VALU_DEP_1) | instskip(NEXT) | instid1(VALU_DEP_1)
	v_cvt_u32_f32_e32 v3, v3
	v_mul_lo_u32 v7, s2, v3
	s_delay_alu instid0(VALU_DEP_1) | instskip(NEXT) | instid1(VALU_DEP_1)
	v_mul_hi_u32 v7, v3, v7
	v_add_nc_u32_e32 v3, v3, v7
	s_delay_alu instid0(VALU_DEP_1) | instskip(NEXT) | instid1(VALU_DEP_1)
	v_mul_hi_u32 v3, v6, v3
	v_mul_lo_u32 v7, v3, s20
	s_delay_alu instid0(VALU_DEP_1) | instskip(SKIP_1) | instid1(VALU_DEP_2)
	v_sub_nc_u32_e32 v6, v6, v7
	v_add_nc_u32_e32 v7, 1, v3
	v_subrev_nc_u32_e32 v8, s20, v6
	v_cmp_le_u32_e32 vcc_lo, s20, v6
	s_delay_alu instid0(VALU_DEP_2) | instskip(NEXT) | instid1(VALU_DEP_1)
	v_dual_cndmask_b32 v6, v6, v8 :: v_dual_cndmask_b32 v3, v3, v7
	v_cmp_le_u32_e32 vcc_lo, s20, v6
	s_delay_alu instid0(VALU_DEP_2) | instskip(NEXT) | instid1(VALU_DEP_1)
	v_add_nc_u32_e32 v7, 1, v3
	v_cndmask_b32_e32 v8, v3, v7, vcc_lo
	s_branch .LBB35_2
.LBB35_16:
	s_endpgm
	.section	.rodata,"a",@progbits
	.p2align	6, 0x0
	.amdhsa_kernel _ZN2at4cuda17kernelHistogram1DIdilLi1ELi2ELin1ELNS0_23CUDAHistogramMemoryTypeE1EZNS0_21CUDA_tensor_histogramIdiLb1EEEbNS_6TensorES4_S4_lNS_14AccumulateTypeIT0_Lb1EE4typeES8_NS0_13TensorArgTypeES9_S9_EUllE0_EEvNS0_6detail10TensorInfoIT_T1_EESF_NSC_IKS6_SE_EElS8_S8_SE_T6_
		.amdhsa_group_segment_fixed_size 0
		.amdhsa_private_segment_fixed_size 0
		.amdhsa_kernarg_size 1544
		.amdhsa_user_sgpr_count 2
		.amdhsa_user_sgpr_dispatch_ptr 0
		.amdhsa_user_sgpr_queue_ptr 0
		.amdhsa_user_sgpr_kernarg_segment_ptr 1
		.amdhsa_user_sgpr_dispatch_id 0
		.amdhsa_user_sgpr_kernarg_preload_length 0
		.amdhsa_user_sgpr_kernarg_preload_offset 0
		.amdhsa_user_sgpr_private_segment_size 0
		.amdhsa_wavefront_size32 1
		.amdhsa_uses_dynamic_stack 0
		.amdhsa_enable_private_segment 0
		.amdhsa_system_sgpr_workgroup_id_x 1
		.amdhsa_system_sgpr_workgroup_id_y 0
		.amdhsa_system_sgpr_workgroup_id_z 0
		.amdhsa_system_sgpr_workgroup_info 0
		.amdhsa_system_vgpr_workitem_id 0
		.amdhsa_next_free_vgpr 24
		.amdhsa_next_free_sgpr 51
		.amdhsa_named_barrier_count 0
		.amdhsa_reserve_vcc 1
		.amdhsa_float_round_mode_32 0
		.amdhsa_float_round_mode_16_64 0
		.amdhsa_float_denorm_mode_32 3
		.amdhsa_float_denorm_mode_16_64 3
		.amdhsa_fp16_overflow 0
		.amdhsa_memory_ordered 1
		.amdhsa_forward_progress 1
		.amdhsa_inst_pref_size 16
		.amdhsa_round_robin_scheduling 0
		.amdhsa_exception_fp_ieee_invalid_op 0
		.amdhsa_exception_fp_denorm_src 0
		.amdhsa_exception_fp_ieee_div_zero 0
		.amdhsa_exception_fp_ieee_overflow 0
		.amdhsa_exception_fp_ieee_underflow 0
		.amdhsa_exception_fp_ieee_inexact 0
		.amdhsa_exception_int_div_zero 0
	.end_amdhsa_kernel
	.section	.text._ZN2at4cuda17kernelHistogram1DIdilLi1ELi2ELin1ELNS0_23CUDAHistogramMemoryTypeE1EZNS0_21CUDA_tensor_histogramIdiLb1EEEbNS_6TensorES4_S4_lNS_14AccumulateTypeIT0_Lb1EE4typeES8_NS0_13TensorArgTypeES9_S9_EUllE0_EEvNS0_6detail10TensorInfoIT_T1_EESF_NSC_IKS6_SE_EElS8_S8_SE_T6_,"axG",@progbits,_ZN2at4cuda17kernelHistogram1DIdilLi1ELi2ELin1ELNS0_23CUDAHistogramMemoryTypeE1EZNS0_21CUDA_tensor_histogramIdiLb1EEEbNS_6TensorES4_S4_lNS_14AccumulateTypeIT0_Lb1EE4typeES8_NS0_13TensorArgTypeES9_S9_EUllE0_EEvNS0_6detail10TensorInfoIT_T1_EESF_NSC_IKS6_SE_EElS8_S8_SE_T6_,comdat
.Lfunc_end35:
	.size	_ZN2at4cuda17kernelHistogram1DIdilLi1ELi2ELin1ELNS0_23CUDAHistogramMemoryTypeE1EZNS0_21CUDA_tensor_histogramIdiLb1EEEbNS_6TensorES4_S4_lNS_14AccumulateTypeIT0_Lb1EE4typeES8_NS0_13TensorArgTypeES9_S9_EUllE0_EEvNS0_6detail10TensorInfoIT_T1_EESF_NSC_IKS6_SE_EElS8_S8_SE_T6_, .Lfunc_end35-_ZN2at4cuda17kernelHistogram1DIdilLi1ELi2ELin1ELNS0_23CUDAHistogramMemoryTypeE1EZNS0_21CUDA_tensor_histogramIdiLb1EEEbNS_6TensorES4_S4_lNS_14AccumulateTypeIT0_Lb1EE4typeES8_NS0_13TensorArgTypeES9_S9_EUllE0_EEvNS0_6detail10TensorInfoIT_T1_EESF_NSC_IKS6_SE_EElS8_S8_SE_T6_
                                        ; -- End function
	.set _ZN2at4cuda17kernelHistogram1DIdilLi1ELi2ELin1ELNS0_23CUDAHistogramMemoryTypeE1EZNS0_21CUDA_tensor_histogramIdiLb1EEEbNS_6TensorES4_S4_lNS_14AccumulateTypeIT0_Lb1EE4typeES8_NS0_13TensorArgTypeES9_S9_EUllE0_EEvNS0_6detail10TensorInfoIT_T1_EESF_NSC_IKS6_SE_EElS8_S8_SE_T6_.num_vgpr, 24
	.set _ZN2at4cuda17kernelHistogram1DIdilLi1ELi2ELin1ELNS0_23CUDAHistogramMemoryTypeE1EZNS0_21CUDA_tensor_histogramIdiLb1EEEbNS_6TensorES4_S4_lNS_14AccumulateTypeIT0_Lb1EE4typeES8_NS0_13TensorArgTypeES9_S9_EUllE0_EEvNS0_6detail10TensorInfoIT_T1_EESF_NSC_IKS6_SE_EElS8_S8_SE_T6_.num_agpr, 0
	.set _ZN2at4cuda17kernelHistogram1DIdilLi1ELi2ELin1ELNS0_23CUDAHistogramMemoryTypeE1EZNS0_21CUDA_tensor_histogramIdiLb1EEEbNS_6TensorES4_S4_lNS_14AccumulateTypeIT0_Lb1EE4typeES8_NS0_13TensorArgTypeES9_S9_EUllE0_EEvNS0_6detail10TensorInfoIT_T1_EESF_NSC_IKS6_SE_EElS8_S8_SE_T6_.numbered_sgpr, 51
	.set _ZN2at4cuda17kernelHistogram1DIdilLi1ELi2ELin1ELNS0_23CUDAHistogramMemoryTypeE1EZNS0_21CUDA_tensor_histogramIdiLb1EEEbNS_6TensorES4_S4_lNS_14AccumulateTypeIT0_Lb1EE4typeES8_NS0_13TensorArgTypeES9_S9_EUllE0_EEvNS0_6detail10TensorInfoIT_T1_EESF_NSC_IKS6_SE_EElS8_S8_SE_T6_.num_named_barrier, 0
	.set _ZN2at4cuda17kernelHistogram1DIdilLi1ELi2ELin1ELNS0_23CUDAHistogramMemoryTypeE1EZNS0_21CUDA_tensor_histogramIdiLb1EEEbNS_6TensorES4_S4_lNS_14AccumulateTypeIT0_Lb1EE4typeES8_NS0_13TensorArgTypeES9_S9_EUllE0_EEvNS0_6detail10TensorInfoIT_T1_EESF_NSC_IKS6_SE_EElS8_S8_SE_T6_.private_seg_size, 0
	.set _ZN2at4cuda17kernelHistogram1DIdilLi1ELi2ELin1ELNS0_23CUDAHistogramMemoryTypeE1EZNS0_21CUDA_tensor_histogramIdiLb1EEEbNS_6TensorES4_S4_lNS_14AccumulateTypeIT0_Lb1EE4typeES8_NS0_13TensorArgTypeES9_S9_EUllE0_EEvNS0_6detail10TensorInfoIT_T1_EESF_NSC_IKS6_SE_EElS8_S8_SE_T6_.uses_vcc, 1
	.set _ZN2at4cuda17kernelHistogram1DIdilLi1ELi2ELin1ELNS0_23CUDAHistogramMemoryTypeE1EZNS0_21CUDA_tensor_histogramIdiLb1EEEbNS_6TensorES4_S4_lNS_14AccumulateTypeIT0_Lb1EE4typeES8_NS0_13TensorArgTypeES9_S9_EUllE0_EEvNS0_6detail10TensorInfoIT_T1_EESF_NSC_IKS6_SE_EElS8_S8_SE_T6_.uses_flat_scratch, 0
	.set _ZN2at4cuda17kernelHistogram1DIdilLi1ELi2ELin1ELNS0_23CUDAHistogramMemoryTypeE1EZNS0_21CUDA_tensor_histogramIdiLb1EEEbNS_6TensorES4_S4_lNS_14AccumulateTypeIT0_Lb1EE4typeES8_NS0_13TensorArgTypeES9_S9_EUllE0_EEvNS0_6detail10TensorInfoIT_T1_EESF_NSC_IKS6_SE_EElS8_S8_SE_T6_.has_dyn_sized_stack, 0
	.set _ZN2at4cuda17kernelHistogram1DIdilLi1ELi2ELin1ELNS0_23CUDAHistogramMemoryTypeE1EZNS0_21CUDA_tensor_histogramIdiLb1EEEbNS_6TensorES4_S4_lNS_14AccumulateTypeIT0_Lb1EE4typeES8_NS0_13TensorArgTypeES9_S9_EUllE0_EEvNS0_6detail10TensorInfoIT_T1_EESF_NSC_IKS6_SE_EElS8_S8_SE_T6_.has_recursion, 0
	.set _ZN2at4cuda17kernelHistogram1DIdilLi1ELi2ELin1ELNS0_23CUDAHistogramMemoryTypeE1EZNS0_21CUDA_tensor_histogramIdiLb1EEEbNS_6TensorES4_S4_lNS_14AccumulateTypeIT0_Lb1EE4typeES8_NS0_13TensorArgTypeES9_S9_EUllE0_EEvNS0_6detail10TensorInfoIT_T1_EESF_NSC_IKS6_SE_EElS8_S8_SE_T6_.has_indirect_call, 0
	.section	.AMDGPU.csdata,"",@progbits
; Kernel info:
; codeLenInByte = 2032
; TotalNumSgprs: 53
; NumVgprs: 24
; ScratchSize: 0
; MemoryBound: 0
; FloatMode: 240
; IeeeMode: 1
; LDSByteSize: 0 bytes/workgroup (compile time only)
; SGPRBlocks: 0
; VGPRBlocks: 1
; NumSGPRsForWavesPerEU: 53
; NumVGPRsForWavesPerEU: 24
; NamedBarCnt: 0
; Occupancy: 16
; WaveLimiterHint : 1
; COMPUTE_PGM_RSRC2:SCRATCH_EN: 0
; COMPUTE_PGM_RSRC2:USER_SGPR: 2
; COMPUTE_PGM_RSRC2:TRAP_HANDLER: 0
; COMPUTE_PGM_RSRC2:TGID_X_EN: 1
; COMPUTE_PGM_RSRC2:TGID_Y_EN: 0
; COMPUTE_PGM_RSRC2:TGID_Z_EN: 0
; COMPUTE_PGM_RSRC2:TIDIG_COMP_CNT: 0
	.section	.text._ZN2at4cuda17kernelHistogram1DIfllLi1ELi2ELin1ELNS0_23CUDAHistogramMemoryTypeE0EZNS0_21CUDA_tensor_histogramIflLb1EEEbNS_6TensorES4_S4_lNS_14AccumulateTypeIT0_Lb1EE4typeES8_NS0_13TensorArgTypeES9_S9_EUllE_EEvNS0_6detail10TensorInfoIT_T1_EESF_NSC_IKS6_SE_EElS8_S8_SE_T6_,"axG",@progbits,_ZN2at4cuda17kernelHistogram1DIfllLi1ELi2ELin1ELNS0_23CUDAHistogramMemoryTypeE0EZNS0_21CUDA_tensor_histogramIflLb1EEEbNS_6TensorES4_S4_lNS_14AccumulateTypeIT0_Lb1EE4typeES8_NS0_13TensorArgTypeES9_S9_EUllE_EEvNS0_6detail10TensorInfoIT_T1_EESF_NSC_IKS6_SE_EElS8_S8_SE_T6_,comdat
	.protected	_ZN2at4cuda17kernelHistogram1DIfllLi1ELi2ELin1ELNS0_23CUDAHistogramMemoryTypeE0EZNS0_21CUDA_tensor_histogramIflLb1EEEbNS_6TensorES4_S4_lNS_14AccumulateTypeIT0_Lb1EE4typeES8_NS0_13TensorArgTypeES9_S9_EUllE_EEvNS0_6detail10TensorInfoIT_T1_EESF_NSC_IKS6_SE_EElS8_S8_SE_T6_ ; -- Begin function _ZN2at4cuda17kernelHistogram1DIfllLi1ELi2ELin1ELNS0_23CUDAHistogramMemoryTypeE0EZNS0_21CUDA_tensor_histogramIflLb1EEEbNS_6TensorES4_S4_lNS_14AccumulateTypeIT0_Lb1EE4typeES8_NS0_13TensorArgTypeES9_S9_EUllE_EEvNS0_6detail10TensorInfoIT_T1_EESF_NSC_IKS6_SE_EElS8_S8_SE_T6_
	.globl	_ZN2at4cuda17kernelHistogram1DIfllLi1ELi2ELin1ELNS0_23CUDAHistogramMemoryTypeE0EZNS0_21CUDA_tensor_histogramIflLb1EEEbNS_6TensorES4_S4_lNS_14AccumulateTypeIT0_Lb1EE4typeES8_NS0_13TensorArgTypeES9_S9_EUllE_EEvNS0_6detail10TensorInfoIT_T1_EESF_NSC_IKS6_SE_EElS8_S8_SE_T6_
	.p2align	8
	.type	_ZN2at4cuda17kernelHistogram1DIfllLi1ELi2ELin1ELNS0_23CUDAHistogramMemoryTypeE0EZNS0_21CUDA_tensor_histogramIflLb1EEEbNS_6TensorES4_S4_lNS_14AccumulateTypeIT0_Lb1EE4typeES8_NS0_13TensorArgTypeES9_S9_EUllE_EEvNS0_6detail10TensorInfoIT_T1_EESF_NSC_IKS6_SE_EElS8_S8_SE_T6_,@function
_ZN2at4cuda17kernelHistogram1DIfllLi1ELi2ELin1ELNS0_23CUDAHistogramMemoryTypeE0EZNS0_21CUDA_tensor_histogramIflLb1EEEbNS_6TensorES4_S4_lNS_14AccumulateTypeIT0_Lb1EE4typeES8_NS0_13TensorArgTypeES9_S9_EUllE_EEvNS0_6detail10TensorInfoIT_T1_EESF_NSC_IKS6_SE_EElS8_S8_SE_T6_: ; @_ZN2at4cuda17kernelHistogram1DIfllLi1ELi2ELin1ELNS0_23CUDAHistogramMemoryTypeE0EZNS0_21CUDA_tensor_histogramIflLb1EEEbNS_6TensorES4_S4_lNS_14AccumulateTypeIT0_Lb1EE4typeES8_NS0_13TensorArgTypeES9_S9_EUllE_EEvNS0_6detail10TensorInfoIT_T1_EESF_NSC_IKS6_SE_EElS8_S8_SE_T6_
; %bb.0:
	s_clause 0x2
	s_load_b128 s[12:15], s[0:1], 0x0
	s_load_b64 s[16:17], s[0:1], 0x500
	s_load_b256 s[4:11], s[0:1], 0x4e0
	v_mov_b32_e32 v1, 0
	s_add_nc_u64 s[26:27], s[0:1], 0x6a0
	s_mov_b32 s3, exec_lo
                                        ; implicit-def: $sgpr18
	s_wait_kmcnt 0x0
	s_delay_alu instid0(VALU_DEP_1)
	v_cmp_gt_i64_e64 s2, s[14:15], v[0:1]
	v_cmpx_le_i64_e64 s[14:15], v[0:1]
	s_xor_b32 s3, exec_lo, s3
; %bb.1:
	s_load_b32 s18, s[26:27], 0xc
; %bb.2:
	s_or_saveexec_b32 s3, s3
	s_wait_kmcnt 0x0
	v_mov_b32_e32 v4, s18
	s_xor_b32 exec_lo, exec_lo, s3
	s_cbranch_execz .LBB36_12
; %bb.3:
	v_dual_mov_b32 v5, 0 :: v_dual_add_nc_u32 v4, 1, v0
	s_load_b32 s20, s[26:27], 0xc
	s_mov_b32 s22, -1
	s_delay_alu instid0(VALU_DEP_1) | instskip(SKIP_2) | instid1(SALU_CYCLE_1)
	v_max_i64 v[2:3], s[14:15], v[4:5]
	s_wait_kmcnt 0x0
	s_and_b32 s18, s20, 0xffff
	s_cmp_eq_u32 s18, 1
	s_cselect_b32 s19, -1, 0
	s_delay_alu instid0(VALU_DEP_1) | instskip(SKIP_1) | instid1(VALU_DEP_2)
	v_sub_nc_u64_e32 v[6:7], v[2:3], v[0:1]
	v_mov_b64_e32 v[2:3], v[0:1]
	v_cmp_lt_u64_e32 vcc_lo, 1, v[6:7]
	s_and_b32 s21, vcc_lo, s19
	s_delay_alu instid0(SALU_CYCLE_1)
	s_and_saveexec_b32 s19, s21
	s_cbranch_execz .LBB36_7
; %bb.4:
	v_dual_mov_b32 v3, v7 :: v_dual_bitop2_b32 v2, -2, v6 bitop3:0x40
	v_lshl_add_u32 v4, v0, 2, 0
	s_mov_b32 s21, 0
	s_delay_alu instid0(VALU_DEP_2)
	v_mov_b64_e32 v[8:9], v[2:3]
.LBB36_5:                               ; =>This Inner Loop Header: Depth=1
	s_delay_alu instid0(VALU_DEP_1) | instskip(SKIP_4) | instid1(SALU_CYCLE_1)
	v_add_nc_u64_e32 v[8:9], -2, v[8:9]
	ds_store_2addr_b32 v4, v5, v5 offset1:1
	v_add_nc_u32_e32 v4, 8, v4
	v_cmp_eq_u64_e32 vcc_lo, 0, v[8:9]
	s_or_b32 s21, vcc_lo, s21
	s_and_not1_b32 exec_lo, exec_lo, s21
	s_cbranch_execnz .LBB36_5
; %bb.6:
	s_or_b32 exec_lo, exec_lo, s21
	v_cmp_ne_u64_e32 vcc_lo, v[6:7], v[2:3]
	v_add_nc_u64_e32 v[2:3], v[2:3], v[0:1]
	s_or_not1_b32 s22, vcc_lo, exec_lo
.LBB36_7:
	s_or_b32 exec_lo, exec_lo, s19
	v_mov_b32_e32 v4, 1
	s_and_saveexec_b32 s21, s22
	s_cbranch_execz .LBB36_11
; %bb.8:
	s_delay_alu instid0(VALU_DEP_2)
	v_lshl_add_u32 v4, v2, 2, 0
	v_mov_b32_e32 v5, 0
	s_mov_b32 s19, 0
	s_lshl_b32 s23, s18, 2
	s_mov_b32 s22, s19
.LBB36_9:                               ; =>This Inner Loop Header: Depth=1
	v_add_nc_u64_e32 v[2:3], s[18:19], v[2:3]
	ds_store_b32 v4, v5
	v_add_nc_u32_e32 v4, s23, v4
	v_cmp_le_i64_e32 vcc_lo, s[14:15], v[2:3]
	s_or_b32 s22, vcc_lo, s22
	s_delay_alu instid0(SALU_CYCLE_1)
	s_and_not1_b32 exec_lo, exec_lo, s22
	s_cbranch_execnz .LBB36_9
; %bb.10:
	s_or_b32 exec_lo, exec_lo, s22
	v_mov_b32_e32 v4, s20
.LBB36_11:
	s_or_b32 exec_lo, exec_lo, s21
.LBB36_12:
	s_delay_alu instid0(SALU_CYCLE_1)
	s_or_b32 exec_lo, exec_lo, s3
	s_bfe_u32 s3, ttmp6, 0x4000c
	s_and_b32 s18, ttmp6, 15
	s_add_co_i32 s3, s3, 1
	s_getreg_b32 s19, hwreg(HW_REG_IB_STS2, 6, 4)
	s_mul_i32 s3, ttmp9, s3
	v_and_b32_e32 v2, 0xffff, v4
	s_add_co_i32 s18, s18, s3
	s_cmp_eq_u32 s19, 0
	v_mov_b32_e32 v6, 0
	s_cselect_b32 s3, ttmp9, s18
	s_mov_b32 s19, 0
	v_mad_u32 v4, s3, v2, v0
	s_mov_b32 s33, exec_lo
	v_mov_b32_e32 v5, v6
	s_wait_dscnt 0x0
	s_barrier_signal -1
	s_barrier_wait -1
	s_delay_alu instid0(VALU_DEP_1)
	v_cmpx_gt_i64_e64 s[10:11], v[4:5]
	s_cbranch_execz .LBB36_28
; %bb.13:
	s_load_b32 s3, s[0:1], 0x4d8
	s_load_b32 s18, s[26:27], 0x0
	s_clause 0x2
	s_load_b64 s[20:21], s[0:1], 0x5d0
	s_load_b64 s[22:23], s[0:1], 0x410
	;; [unrolled: 1-line block ×3, first 2 shown]
	s_add_nc_u64 s[30:31], s[0:1], 0x340
	v_mov_b32_e32 v9, v6
	s_wait_xcnt 0x0
	s_sub_nc_u64 s[26:27], s[8:9], s[6:7]
	s_mov_b64 s[28:29], 0xffffffff
	s_mov_b32 s46, 0
	s_wait_kmcnt 0x0
	s_cmp_gt_i32 s3, 1
	v_mul_lo_u32 v8, s18, v2
	s_cselect_b32 s44, -1, 0
	s_add_co_i32 s18, s3, -1
	s_add_co_i32 s45, s3, 1
	s_lshl_b64 s[34:35], s[18:19], 3
	s_delay_alu instid0(SALU_CYCLE_1)
	s_add_nc_u64 s[30:31], s[30:31], s[34:35]
	s_ashr_i32 s34, s27, 31
	s_add_nc_u64 s[30:31], s[30:31], 8
	s_branch .LBB36_16
.LBB36_14:                              ;   in Loop: Header=BB36_16 Depth=1
	s_or_b32 exec_lo, exec_lo, s3
	v_mul_u64_e32 v[10:11], s[20:21], v[4:5]
	s_delay_alu instid0(VALU_DEP_2) | instskip(NEXT) | instid1(VALU_DEP_1)
	v_ashrrev_i32_e32 v13, 31, v12
	v_cmp_eq_u64_e32 vcc_lo, s[4:5], v[12:13]
	v_subrev_co_ci_u32_e64 v7, null, 0, v12, vcc_lo
	s_delay_alu instid0(VALU_DEP_1)
	v_lshl_add_u32 v7, v7, 2, 0
	v_lshl_add_u64 v[10:11], v[10:11], 2, s[16:17]
	global_load_b32 v3, v[10:11], off
	s_wait_loadcnt 0x0
	ds_add_f32 v7, v3
.LBB36_15:                              ;   in Loop: Header=BB36_16 Depth=1
	s_wait_xcnt 0x0
	s_or_b32 exec_lo, exec_lo, s38
	v_add_nc_u64_e32 v[4:5], v[4:5], v[8:9]
	s_delay_alu instid0(VALU_DEP_1) | instskip(SKIP_1) | instid1(SALU_CYCLE_1)
	v_cmp_le_i64_e32 vcc_lo, s[10:11], v[4:5]
	s_or_b32 s46, vcc_lo, s46
	s_and_not1_b32 exec_lo, exec_lo, s46
	s_cbranch_execz .LBB36_28
.LBB36_16:                              ; =>This Loop Header: Depth=1
                                        ;     Child Loop BB36_17 Depth 2
	v_mov_b64_e32 v[10:11], 0
	v_mov_b64_e32 v[12:13], v[4:5]
	;; [unrolled: 1-line block ×3, first 2 shown]
	s_and_not1_b32 vcc_lo, exec_lo, s44
	s_mov_b64 s[36:37], s[30:31]
	s_mov_b32 s35, s45
	s_cbranch_vccnz .LBB36_23
.LBB36_17:                              ;   Parent Loop BB36_16 Depth=1
                                        ; =>  This Inner Loop Header: Depth=2
	s_load_b64 s[38:39], s[36:37], 0x0
                                        ; implicit-def: $vgpr14_vgpr15
	s_mov_b32 s3, exec_lo
	s_wait_kmcnt 0x0
	s_delay_alu instid0(VALU_DEP_1) | instskip(NEXT) | instid1(VALU_DEP_1)
	v_or_b32_e32 v7, s39, v13
	v_cmpx_ne_u64_e32 0, v[6:7]
	s_xor_b32 s47, exec_lo, s3
	s_cbranch_execz .LBB36_19
; %bb.18:                               ;   in Loop: Header=BB36_17 Depth=2
	s_ashr_i32 s40, s39, 31
	v_dual_mov_b32 v19, v6 :: v_dual_ashrrev_i32 v14, 31, v13
	s_mov_b32 s41, s40
	v_mov_b32_e32 v27, v6
	s_add_nc_u64 s[42:43], s[38:39], s[40:41]
	s_delay_alu instid0(VALU_DEP_2) | instskip(SKIP_1) | instid1(SALU_CYCLE_1)
	v_mov_b32_e32 v15, v14
	s_xor_b64 s[42:43], s[42:43], s[40:41]
	s_cvt_f32_u32 s3, s42
	s_cvt_f32_u32 s18, s43
	s_sub_nc_u64 s[50:51], 0, s[42:43]
	v_add_nc_u64_e32 v[16:17], v[12:13], v[14:15]
	v_mov_b32_e32 v23, v6
	s_fmamk_f32 s3, s18, 0x4f800000, s3
	s_delay_alu instid0(SALU_CYCLE_3) | instskip(NEXT) | instid1(VALU_DEP_2)
	v_s_rcp_f32 s3, s3
	v_xor_b32_e32 v18, v16, v14
	s_delay_alu instid0(VALU_DEP_3) | instskip(SKIP_1) | instid1(TRANS32_DEP_1)
	v_xor_b32_e32 v22, v17, v14
	v_xor_b32_e32 v14, s40, v14
	s_mul_f32 s3, s3, 0x5f7ffffc
	s_delay_alu instid0(SALU_CYCLE_3) | instskip(NEXT) | instid1(SALU_CYCLE_3)
	s_mul_f32 s18, s3, 0x2f800000
	s_trunc_f32 s18, s18
	s_delay_alu instid0(SALU_CYCLE_3) | instskip(SKIP_1) | instid1(SALU_CYCLE_2)
	s_fmamk_f32 s3, s18, 0xcf800000, s3
	s_cvt_u32_f32 s49, s18
	s_cvt_u32_f32 s48, s3
	s_delay_alu instid0(SALU_CYCLE_3) | instskip(NEXT) | instid1(SALU_CYCLE_1)
	s_mul_u64 s[52:53], s[50:51], s[48:49]
	s_mul_hi_u32 s55, s48, s53
	s_mul_i32 s54, s48, s53
	s_mul_hi_u32 s18, s48, s52
	s_mul_i32 s41, s49, s52
	s_add_nc_u64 s[54:55], s[18:19], s[54:55]
	s_mul_hi_u32 s3, s49, s52
	s_mul_hi_u32 s56, s49, s53
	s_add_co_u32 s18, s54, s41
	s_add_co_ci_u32 s18, s55, s3
	s_mul_i32 s52, s49, s53
	s_add_co_ci_u32 s53, s56, 0
	s_delay_alu instid0(SALU_CYCLE_1) | instskip(NEXT) | instid1(SALU_CYCLE_1)
	s_add_nc_u64 s[52:53], s[18:19], s[52:53]
	s_add_co_u32 s48, s48, s52
	s_cselect_b32 s3, -1, 0
	s_delay_alu instid0(SALU_CYCLE_1) | instskip(SKIP_1) | instid1(SALU_CYCLE_1)
	s_cmp_lg_u32 s3, 0
	s_add_co_ci_u32 s49, s49, s53
	s_mul_u64 s[50:51], s[50:51], s[48:49]
	s_delay_alu instid0(SALU_CYCLE_1)
	s_mul_hi_u32 s53, s48, s51
	s_mul_i32 s52, s48, s51
	s_mul_hi_u32 s18, s48, s50
	s_mul_i32 s41, s49, s50
	s_add_nc_u64 s[52:53], s[18:19], s[52:53]
	s_mul_hi_u32 s3, s49, s50
	s_mul_hi_u32 s54, s49, s51
	s_add_co_u32 s18, s52, s41
	s_add_co_ci_u32 s18, s53, s3
	s_mul_i32 s50, s49, s51
	s_add_co_ci_u32 s51, s54, 0
	s_delay_alu instid0(SALU_CYCLE_1) | instskip(NEXT) | instid1(SALU_CYCLE_1)
	s_add_nc_u64 s[50:51], s[18:19], s[50:51]
	s_add_co_u32 s48, s48, s50
	s_cselect_b32 s3, -1, 0
	v_mul_hi_u32 v26, v18, s48
	s_cmp_lg_u32 s3, 0
	s_add_co_ci_u32 s18, s49, s51
	s_and_b64 s[50:51], s[48:49], s[28:29]
	v_mul_u64_e32 v[20:21], s[18:19], v[18:19]
	v_mul_u64_e32 v[16:17], s[50:51], v[22:23]
	;; [unrolled: 1-line block ×3, first 2 shown]
	s_delay_alu instid0(VALU_DEP_3) | instskip(NEXT) | instid1(VALU_DEP_1)
	v_add_nc_u64_e32 v[20:21], v[26:27], v[20:21]
	v_add_co_u32 v3, vcc_lo, v20, v16
	s_delay_alu instid0(VALU_DEP_2) | instskip(NEXT) | instid1(VALU_DEP_4)
	v_add_co_ci_u32_e32 v26, vcc_lo, v21, v17, vcc_lo
	v_add_co_ci_u32_e32 v25, vcc_lo, 0, v25, vcc_lo
	s_delay_alu instid0(VALU_DEP_1) | instskip(NEXT) | instid1(VALU_DEP_1)
	v_add_nc_u64_e32 v[16:17], v[26:27], v[24:25]
	v_mul_u64_e32 v[20:21], s[42:43], v[16:17]
	s_delay_alu instid0(VALU_DEP_1) | instskip(NEXT) | instid1(VALU_DEP_2)
	v_sub_nc_u32_e32 v3, v22, v21
	v_sub_co_u32 v7, vcc_lo, v18, v20
	s_delay_alu instid0(VALU_DEP_1) | instskip(NEXT) | instid1(VALU_DEP_3)
	v_sub_co_ci_u32_e64 v22, null, v22, v21, vcc_lo
	v_subrev_co_ci_u32_e64 v3, null, s43, v3, vcc_lo
	s_delay_alu instid0(VALU_DEP_3) | instskip(SKIP_1) | instid1(VALU_DEP_3)
	v_sub_co_u32 v15, s3, v7, s42
	v_add_nc_u64_e32 v[20:21], 1, v[16:17]
	v_subrev_co_ci_u32_e64 v3, null, 0, v3, s3
	s_delay_alu instid0(VALU_DEP_3) | instskip(SKIP_1) | instid1(VALU_DEP_3)
	v_cmp_le_u32_e32 vcc_lo, s42, v15
	v_cndmask_b32_e64 v15, 0, -1, vcc_lo
	v_cmp_le_u32_e32 vcc_lo, s43, v3
	v_cndmask_b32_e64 v18, 0, -1, vcc_lo
	;; [unrolled: 2-line block ×4, first 2 shown]
	v_cmp_eq_u32_e32 vcc_lo, s43, v3
	v_cndmask_b32_e32 v3, v18, v15, vcc_lo
	v_cmp_eq_u32_e32 vcc_lo, s43, v22
	v_add_nc_u64_e32 v[18:19], 2, v[16:17]
	v_dual_mov_b32 v15, v14 :: v_dual_cndmask_b32 v7, v23, v7, vcc_lo
	s_delay_alu instid0(VALU_DEP_4) | instskip(NEXT) | instid1(VALU_DEP_2)
	v_cmp_ne_u32_e32 vcc_lo, 0, v3
	v_cmp_ne_u32_e64 s3, 0, v7
	s_delay_alu instid0(VALU_DEP_4) | instskip(NEXT) | instid1(VALU_DEP_1)
	v_dual_cndmask_b32 v3, v21, v19, vcc_lo :: v_dual_cndmask_b32 v7, v20, v18, vcc_lo
	v_cndmask_b32_e64 v7, v16, v7, s3
	s_delay_alu instid0(VALU_DEP_1) | instskip(NEXT) | instid1(VALU_DEP_1)
	v_dual_cndmask_b32 v3, v17, v3, s3 :: v_dual_bitop2_b32 v16, v7, v14 bitop3:0x14
	v_xor_b32_e32 v17, v3, v14
	s_delay_alu instid0(VALU_DEP_1)
	v_sub_nc_u64_e32 v[14:15], v[16:17], v[14:15]
.LBB36_19:                              ;   in Loop: Header=BB36_17 Depth=2
	s_and_not1_saveexec_b32 s3, s47
	s_cbranch_execz .LBB36_21
; %bb.20:                               ;   in Loop: Header=BB36_17 Depth=2
	v_cvt_f32_u32_e32 v3, s38
	s_sub_co_i32 s18, 0, s38
	s_delay_alu instid0(VALU_DEP_1) | instskip(SKIP_1) | instid1(TRANS32_DEP_1)
	v_rcp_iflag_f32_e32 v3, v3
	v_nop
	v_mul_f32_e32 v3, 0x4f7ffffe, v3
	s_delay_alu instid0(VALU_DEP_1) | instskip(NEXT) | instid1(VALU_DEP_1)
	v_cvt_u32_f32_e32 v3, v3
	v_mul_lo_u32 v7, s18, v3
	s_delay_alu instid0(VALU_DEP_1) | instskip(NEXT) | instid1(VALU_DEP_1)
	v_mul_hi_u32 v7, v3, v7
	v_add_nc_u32_e32 v3, v3, v7
	s_delay_alu instid0(VALU_DEP_1) | instskip(NEXT) | instid1(VALU_DEP_1)
	v_mul_hi_u32 v3, v12, v3
	v_mul_lo_u32 v7, v3, s38
	v_add_nc_u32_e32 v14, 1, v3
	s_delay_alu instid0(VALU_DEP_2) | instskip(NEXT) | instid1(VALU_DEP_1)
	v_sub_nc_u32_e32 v7, v12, v7
	v_subrev_nc_u32_e32 v15, s38, v7
	v_cmp_le_u32_e32 vcc_lo, s38, v7
	s_delay_alu instid0(VALU_DEP_2) | instskip(SKIP_1) | instid1(VALU_DEP_2)
	v_dual_cndmask_b32 v7, v7, v15, vcc_lo :: v_dual_mov_b32 v15, v6
	v_cndmask_b32_e32 v3, v3, v14, vcc_lo
	v_cmp_le_u32_e32 vcc_lo, s38, v7
	s_delay_alu instid0(VALU_DEP_2) | instskip(NEXT) | instid1(VALU_DEP_1)
	v_add_nc_u32_e32 v14, 1, v3
	v_cndmask_b32_e32 v14, v3, v14, vcc_lo
.LBB36_21:                              ;   in Loop: Header=BB36_17 Depth=2
	s_or_b32 exec_lo, exec_lo, s3
	s_delay_alu instid0(VALU_DEP_1)
	v_mul_u64_e32 v[16:17], s[38:39], v[14:15]
	s_load_b64 s[38:39], s[36:37], 0xc8
	s_add_co_i32 s35, s35, -1
	s_wait_xcnt 0x0
	s_add_nc_u64 s[36:37], s[36:37], -8
	s_cmp_gt_u32 s35, 2
	s_delay_alu instid0(VALU_DEP_1) | instskip(SKIP_1) | instid1(VALU_DEP_1)
	v_sub_nc_u64_e32 v[12:13], v[12:13], v[16:17]
	s_wait_kmcnt 0x0
	v_mad_nc_u64_u32 v[10:11], s38, v12, v[10:11]
	s_delay_alu instid0(VALU_DEP_1) | instskip(NEXT) | instid1(VALU_DEP_1)
	v_mad_u32 v3, s39, v12, v11
	v_mad_u32 v11, s38, v13, v3
	s_cbranch_scc0 .LBB36_23
; %bb.22:                               ;   in Loop: Header=BB36_17 Depth=2
	v_mov_b64_e32 v[12:13], v[14:15]
	s_branch .LBB36_17
.LBB36_23:                              ;   in Loop: Header=BB36_16 Depth=1
	s_delay_alu instid0(VALU_DEP_1) | instskip(NEXT) | instid1(VALU_DEP_1)
	v_mul_u64_e32 v[12:13], s[22:23], v[14:15]
	v_lshl_add_u64 v[12:13], v[12:13], 3, s[24:25]
	s_delay_alu instid0(VALU_DEP_1)
	v_lshl_add_u64 v[10:11], v[10:11], 3, v[12:13]
	global_load_b64 v[10:11], v[10:11], off
	s_wait_loadcnt 0x0
	v_cmp_le_i64_e32 vcc_lo, s[6:7], v[10:11]
	v_cmp_ge_i64_e64 s3, s[8:9], v[10:11]
	s_and_b32 s3, vcc_lo, s3
	s_wait_xcnt 0x0
	s_and_saveexec_b32 s38, s3
	s_cbranch_execz .LBB36_15
; %bb.24:                               ;   in Loop: Header=BB36_16 Depth=1
	v_sub_nc_u64_e64 v[10:11], v[10:11], s[6:7]
                                        ; implicit-def: $vgpr12_vgpr13
	s_mov_b32 s3, exec_lo
	s_delay_alu instid0(VALU_DEP_1) | instskip(NEXT) | instid1(VALU_DEP_1)
	v_mul_u64_e32 v[10:11], s[4:5], v[10:11]
	v_or_b32_e32 v7, s27, v11
	s_delay_alu instid0(VALU_DEP_1)
	v_cmpx_ne_u64_e32 0, v[6:7]
	s_xor_b32 s39, exec_lo, s3
	s_cbranch_execz .LBB36_26
; %bb.25:                               ;   in Loop: Header=BB36_16 Depth=1
	s_mov_b32 s35, s34
	v_dual_mov_b32 v15, v6 :: v_dual_ashrrev_i32 v12, 31, v11
	s_add_nc_u64 s[36:37], s[26:27], s[34:35]
	v_mov_b32_e32 v23, v6
	s_xor_b64 s[36:37], s[36:37], s[34:35]
	s_delay_alu instid0(VALU_DEP_2) | instskip(SKIP_3) | instid1(VALU_DEP_1)
	v_mov_b32_e32 v13, v12
	s_cvt_f32_u32 s3, s36
	s_cvt_f32_u32 s18, s37
	s_sub_nc_u64 s[42:43], 0, s[36:37]
	v_add_nc_u64_e32 v[10:11], v[10:11], v[12:13]
	s_delay_alu instid0(SALU_CYCLE_1) | instskip(SKIP_1) | instid1(SALU_CYCLE_2)
	s_fmamk_f32 s3, s18, 0x4f800000, s3
	v_mov_b32_e32 v19, v6
	v_s_rcp_f32 s3, s3
	s_delay_alu instid0(VALU_DEP_2) | instskip(NEXT) | instid1(VALU_DEP_3)
	v_xor_b32_e32 v14, v10, v12
	v_xor_b32_e32 v18, v11, v12
	;; [unrolled: 1-line block ×3, first 2 shown]
	s_delay_alu instid0(TRANS32_DEP_1) | instskip(NEXT) | instid1(SALU_CYCLE_3)
	s_mul_f32 s3, s3, 0x5f7ffffc
	s_mul_f32 s18, s3, 0x2f800000
	s_delay_alu instid0(SALU_CYCLE_3) | instskip(NEXT) | instid1(SALU_CYCLE_3)
	s_trunc_f32 s18, s18
	s_fmamk_f32 s3, s18, 0xcf800000, s3
	s_cvt_u32_f32 s41, s18
	s_delay_alu instid0(SALU_CYCLE_2) | instskip(NEXT) | instid1(SALU_CYCLE_3)
	s_cvt_u32_f32 s40, s3
	s_mul_u64 s[48:49], s[42:43], s[40:41]
	s_delay_alu instid0(SALU_CYCLE_1)
	s_mul_hi_u32 s51, s40, s49
	s_mul_i32 s50, s40, s49
	s_mul_hi_u32 s18, s40, s48
	s_mul_i32 s35, s41, s48
	s_add_nc_u64 s[50:51], s[18:19], s[50:51]
	s_mul_hi_u32 s3, s41, s48
	s_mul_hi_u32 s47, s41, s49
	s_add_co_u32 s18, s50, s35
	s_add_co_ci_u32 s18, s51, s3
	s_mul_i32 s48, s41, s49
	s_add_co_ci_u32 s49, s47, 0
	s_delay_alu instid0(SALU_CYCLE_1) | instskip(NEXT) | instid1(SALU_CYCLE_1)
	s_add_nc_u64 s[48:49], s[18:19], s[48:49]
	s_add_co_u32 s40, s40, s48
	s_cselect_b32 s3, -1, 0
	s_delay_alu instid0(SALU_CYCLE_1) | instskip(SKIP_1) | instid1(SALU_CYCLE_1)
	s_cmp_lg_u32 s3, 0
	s_add_co_ci_u32 s41, s41, s49
	s_mul_u64 s[42:43], s[42:43], s[40:41]
	s_delay_alu instid0(SALU_CYCLE_1)
	s_mul_hi_u32 s49, s40, s43
	s_mul_i32 s48, s40, s43
	s_mul_hi_u32 s18, s40, s42
	s_mul_i32 s35, s41, s42
	s_add_nc_u64 s[48:49], s[18:19], s[48:49]
	s_mul_hi_u32 s3, s41, s42
	s_mul_hi_u32 s47, s41, s43
	s_add_co_u32 s18, s48, s35
	s_add_co_ci_u32 s18, s49, s3
	s_mul_i32 s42, s41, s43
	s_add_co_ci_u32 s43, s47, 0
	s_delay_alu instid0(SALU_CYCLE_1) | instskip(NEXT) | instid1(SALU_CYCLE_1)
	s_add_nc_u64 s[42:43], s[18:19], s[42:43]
	s_add_co_u32 s40, s40, s42
	s_cselect_b32 s3, -1, 0
	v_mul_hi_u32 v22, v14, s40
	s_cmp_lg_u32 s3, 0
	s_add_co_ci_u32 s18, s41, s43
	s_and_b64 s[42:43], s[40:41], s[28:29]
	v_mul_u64_e32 v[16:17], s[18:19], v[14:15]
	v_mul_u64_e32 v[10:11], s[42:43], v[18:19]
	;; [unrolled: 1-line block ×3, first 2 shown]
	s_delay_alu instid0(VALU_DEP_3) | instskip(NEXT) | instid1(VALU_DEP_1)
	v_add_nc_u64_e32 v[16:17], v[22:23], v[16:17]
	v_add_co_u32 v3, vcc_lo, v16, v10
	s_delay_alu instid0(VALU_DEP_2) | instskip(NEXT) | instid1(VALU_DEP_4)
	v_add_co_ci_u32_e32 v22, vcc_lo, v17, v11, vcc_lo
	v_add_co_ci_u32_e32 v21, vcc_lo, 0, v21, vcc_lo
	s_delay_alu instid0(VALU_DEP_1) | instskip(NEXT) | instid1(VALU_DEP_1)
	v_add_nc_u64_e32 v[10:11], v[22:23], v[20:21]
	v_mul_u64_e32 v[16:17], s[36:37], v[10:11]
	s_delay_alu instid0(VALU_DEP_1) | instskip(NEXT) | instid1(VALU_DEP_2)
	v_sub_nc_u32_e32 v3, v18, v17
	v_sub_co_u32 v7, vcc_lo, v14, v16
	s_delay_alu instid0(VALU_DEP_1) | instskip(NEXT) | instid1(VALU_DEP_3)
	v_sub_co_ci_u32_e64 v18, null, v18, v17, vcc_lo
	v_subrev_co_ci_u32_e64 v3, null, s37, v3, vcc_lo
	s_delay_alu instid0(VALU_DEP_3) | instskip(SKIP_1) | instid1(VALU_DEP_3)
	v_sub_co_u32 v13, s3, v7, s36
	v_add_nc_u64_e32 v[16:17], 1, v[10:11]
	v_subrev_co_ci_u32_e64 v3, null, 0, v3, s3
	s_delay_alu instid0(VALU_DEP_3) | instskip(SKIP_1) | instid1(VALU_DEP_3)
	v_cmp_le_u32_e32 vcc_lo, s36, v13
	v_cndmask_b32_e64 v13, 0, -1, vcc_lo
	v_cmp_le_u32_e32 vcc_lo, s37, v3
	v_cndmask_b32_e64 v14, 0, -1, vcc_lo
	;; [unrolled: 2-line block ×4, first 2 shown]
	v_cmp_eq_u32_e32 vcc_lo, s37, v3
	v_cndmask_b32_e32 v3, v14, v13, vcc_lo
	v_cmp_eq_u32_e32 vcc_lo, s37, v18
	v_add_nc_u64_e32 v[14:15], 2, v[10:11]
	v_dual_mov_b32 v13, v12 :: v_dual_cndmask_b32 v7, v19, v7, vcc_lo
	s_delay_alu instid0(VALU_DEP_4) | instskip(NEXT) | instid1(VALU_DEP_2)
	v_cmp_ne_u32_e32 vcc_lo, 0, v3
	v_cmp_ne_u32_e64 s3, 0, v7
	s_delay_alu instid0(VALU_DEP_4) | instskip(NEXT) | instid1(VALU_DEP_1)
	v_dual_cndmask_b32 v3, v17, v15, vcc_lo :: v_dual_cndmask_b32 v7, v16, v14, vcc_lo
	v_cndmask_b32_e64 v3, v11, v3, s3
	s_delay_alu instid0(VALU_DEP_1) | instskip(NEXT) | instid1(VALU_DEP_1)
	v_dual_cndmask_b32 v7, v10, v7, s3 :: v_dual_bitop2_b32 v11, v3, v12 bitop3:0x14
	v_xor_b32_e32 v10, v7, v12
	s_delay_alu instid0(VALU_DEP_1)
	v_sub_nc_u64_e32 v[12:13], v[10:11], v[12:13]
                                        ; implicit-def: $vgpr10_vgpr11
.LBB36_26:                              ;   in Loop: Header=BB36_16 Depth=1
	s_and_not1_saveexec_b32 s3, s39
	s_cbranch_execz .LBB36_14
; %bb.27:                               ;   in Loop: Header=BB36_16 Depth=1
	v_cvt_f32_u32_e32 v3, s26
	s_sub_co_i32 s18, 0, s26
	s_delay_alu instid0(VALU_DEP_1) | instskip(SKIP_1) | instid1(TRANS32_DEP_1)
	v_rcp_iflag_f32_e32 v3, v3
	v_nop
	v_mul_f32_e32 v3, 0x4f7ffffe, v3
	s_delay_alu instid0(VALU_DEP_1) | instskip(NEXT) | instid1(VALU_DEP_1)
	v_cvt_u32_f32_e32 v3, v3
	v_mul_lo_u32 v7, s18, v3
	s_delay_alu instid0(VALU_DEP_1) | instskip(NEXT) | instid1(VALU_DEP_1)
	v_mul_hi_u32 v7, v3, v7
	v_add_nc_u32_e32 v3, v3, v7
	s_delay_alu instid0(VALU_DEP_1) | instskip(NEXT) | instid1(VALU_DEP_1)
	v_mul_hi_u32 v3, v10, v3
	v_mul_lo_u32 v7, v3, s26
	s_delay_alu instid0(VALU_DEP_1) | instskip(SKIP_1) | instid1(VALU_DEP_2)
	v_sub_nc_u32_e32 v7, v10, v7
	v_add_nc_u32_e32 v10, 1, v3
	v_subrev_nc_u32_e32 v11, s26, v7
	v_cmp_le_u32_e32 vcc_lo, s26, v7
	s_delay_alu instid0(VALU_DEP_2) | instskip(NEXT) | instid1(VALU_DEP_4)
	v_cndmask_b32_e32 v7, v7, v11, vcc_lo
	v_cndmask_b32_e32 v3, v3, v10, vcc_lo
	s_delay_alu instid0(VALU_DEP_2) | instskip(NEXT) | instid1(VALU_DEP_2)
	v_cmp_le_u32_e32 vcc_lo, s26, v7
	v_add_nc_u32_e32 v10, 1, v3
	s_delay_alu instid0(VALU_DEP_1)
	v_cndmask_b32_e32 v12, v3, v10, vcc_lo
	s_branch .LBB36_14
.LBB36_28:
	s_or_b32 exec_lo, exec_lo, s33
	s_load_b64 s[0:1], s[0:1], 0xd0
; %bb.29:
	s_wait_dscnt 0x0
	s_barrier_signal -1
	s_barrier_wait -1
	s_and_saveexec_b32 s3, s2
	s_cbranch_execz .LBB36_32
; %bb.30:
	v_dual_mov_b32 v3, 0 :: v_dual_lshlrev_b32 v9, 2, v2
	s_wait_kmcnt 0x0
	v_mul_u64_e32 v[4:5], s[0:1], v[0:1]
	v_lshl_add_u32 v8, v0, 2, 0
	s_delay_alu instid0(VALU_DEP_3) | instskip(SKIP_1) | instid1(VALU_DEP_3)
	v_mul_u64_e32 v[6:7], s[0:1], v[2:3]
	s_mov_b32 s0, 0
	v_lshl_add_u64 v[4:5], v[4:5], 2, s[12:13]
	s_delay_alu instid0(VALU_DEP_2)
	v_lshlrev_b64_e32 v[6:7], 2, v[6:7]
.LBB36_31:                              ; =>This Inner Loop Header: Depth=1
	ds_load_b32 v10, v8
	v_add_nc_u64_e32 v[0:1], v[0:1], v[2:3]
	v_add_nc_u32_e32 v8, v8, v9
	s_delay_alu instid0(VALU_DEP_2)
	v_cmp_le_i64_e32 vcc_lo, s[14:15], v[0:1]
	s_or_b32 s0, vcc_lo, s0
	s_wait_dscnt 0x0
	global_atomic_add_f32 v[4:5], v10, off scope:SCOPE_DEV
	s_wait_xcnt 0x0
	v_add_nc_u64_e32 v[4:5], v[4:5], v[6:7]
	s_and_not1_b32 exec_lo, exec_lo, s0
	s_cbranch_execnz .LBB36_31
.LBB36_32:
	s_endpgm
	.section	.rodata,"a",@progbits
	.p2align	6, 0x0
	.amdhsa_kernel _ZN2at4cuda17kernelHistogram1DIfllLi1ELi2ELin1ELNS0_23CUDAHistogramMemoryTypeE0EZNS0_21CUDA_tensor_histogramIflLb1EEEbNS_6TensorES4_S4_lNS_14AccumulateTypeIT0_Lb1EE4typeES8_NS0_13TensorArgTypeES9_S9_EUllE_EEvNS0_6detail10TensorInfoIT_T1_EESF_NSC_IKS6_SE_EElS8_S8_SE_T6_
		.amdhsa_group_segment_fixed_size 0
		.amdhsa_private_segment_fixed_size 0
		.amdhsa_kernarg_size 1952
		.amdhsa_user_sgpr_count 2
		.amdhsa_user_sgpr_dispatch_ptr 0
		.amdhsa_user_sgpr_queue_ptr 0
		.amdhsa_user_sgpr_kernarg_segment_ptr 1
		.amdhsa_user_sgpr_dispatch_id 0
		.amdhsa_user_sgpr_kernarg_preload_length 0
		.amdhsa_user_sgpr_kernarg_preload_offset 0
		.amdhsa_user_sgpr_private_segment_size 0
		.amdhsa_wavefront_size32 1
		.amdhsa_uses_dynamic_stack 0
		.amdhsa_enable_private_segment 0
		.amdhsa_system_sgpr_workgroup_id_x 1
		.amdhsa_system_sgpr_workgroup_id_y 0
		.amdhsa_system_sgpr_workgroup_id_z 0
		.amdhsa_system_sgpr_workgroup_info 0
		.amdhsa_system_vgpr_workitem_id 0
		.amdhsa_next_free_vgpr 28
		.amdhsa_next_free_sgpr 57
		.amdhsa_named_barrier_count 0
		.amdhsa_reserve_vcc 1
		.amdhsa_float_round_mode_32 0
		.amdhsa_float_round_mode_16_64 0
		.amdhsa_float_denorm_mode_32 3
		.amdhsa_float_denorm_mode_16_64 3
		.amdhsa_fp16_overflow 0
		.amdhsa_memory_ordered 1
		.amdhsa_forward_progress 1
		.amdhsa_inst_pref_size 20
		.amdhsa_round_robin_scheduling 0
		.amdhsa_exception_fp_ieee_invalid_op 0
		.amdhsa_exception_fp_denorm_src 0
		.amdhsa_exception_fp_ieee_div_zero 0
		.amdhsa_exception_fp_ieee_overflow 0
		.amdhsa_exception_fp_ieee_underflow 0
		.amdhsa_exception_fp_ieee_inexact 0
		.amdhsa_exception_int_div_zero 0
	.end_amdhsa_kernel
	.section	.text._ZN2at4cuda17kernelHistogram1DIfllLi1ELi2ELin1ELNS0_23CUDAHistogramMemoryTypeE0EZNS0_21CUDA_tensor_histogramIflLb1EEEbNS_6TensorES4_S4_lNS_14AccumulateTypeIT0_Lb1EE4typeES8_NS0_13TensorArgTypeES9_S9_EUllE_EEvNS0_6detail10TensorInfoIT_T1_EESF_NSC_IKS6_SE_EElS8_S8_SE_T6_,"axG",@progbits,_ZN2at4cuda17kernelHistogram1DIfllLi1ELi2ELin1ELNS0_23CUDAHistogramMemoryTypeE0EZNS0_21CUDA_tensor_histogramIflLb1EEEbNS_6TensorES4_S4_lNS_14AccumulateTypeIT0_Lb1EE4typeES8_NS0_13TensorArgTypeES9_S9_EUllE_EEvNS0_6detail10TensorInfoIT_T1_EESF_NSC_IKS6_SE_EElS8_S8_SE_T6_,comdat
.Lfunc_end36:
	.size	_ZN2at4cuda17kernelHistogram1DIfllLi1ELi2ELin1ELNS0_23CUDAHistogramMemoryTypeE0EZNS0_21CUDA_tensor_histogramIflLb1EEEbNS_6TensorES4_S4_lNS_14AccumulateTypeIT0_Lb1EE4typeES8_NS0_13TensorArgTypeES9_S9_EUllE_EEvNS0_6detail10TensorInfoIT_T1_EESF_NSC_IKS6_SE_EElS8_S8_SE_T6_, .Lfunc_end36-_ZN2at4cuda17kernelHistogram1DIfllLi1ELi2ELin1ELNS0_23CUDAHistogramMemoryTypeE0EZNS0_21CUDA_tensor_histogramIflLb1EEEbNS_6TensorES4_S4_lNS_14AccumulateTypeIT0_Lb1EE4typeES8_NS0_13TensorArgTypeES9_S9_EUllE_EEvNS0_6detail10TensorInfoIT_T1_EESF_NSC_IKS6_SE_EElS8_S8_SE_T6_
                                        ; -- End function
	.set _ZN2at4cuda17kernelHistogram1DIfllLi1ELi2ELin1ELNS0_23CUDAHistogramMemoryTypeE0EZNS0_21CUDA_tensor_histogramIflLb1EEEbNS_6TensorES4_S4_lNS_14AccumulateTypeIT0_Lb1EE4typeES8_NS0_13TensorArgTypeES9_S9_EUllE_EEvNS0_6detail10TensorInfoIT_T1_EESF_NSC_IKS6_SE_EElS8_S8_SE_T6_.num_vgpr, 28
	.set _ZN2at4cuda17kernelHistogram1DIfllLi1ELi2ELin1ELNS0_23CUDAHistogramMemoryTypeE0EZNS0_21CUDA_tensor_histogramIflLb1EEEbNS_6TensorES4_S4_lNS_14AccumulateTypeIT0_Lb1EE4typeES8_NS0_13TensorArgTypeES9_S9_EUllE_EEvNS0_6detail10TensorInfoIT_T1_EESF_NSC_IKS6_SE_EElS8_S8_SE_T6_.num_agpr, 0
	.set _ZN2at4cuda17kernelHistogram1DIfllLi1ELi2ELin1ELNS0_23CUDAHistogramMemoryTypeE0EZNS0_21CUDA_tensor_histogramIflLb1EEEbNS_6TensorES4_S4_lNS_14AccumulateTypeIT0_Lb1EE4typeES8_NS0_13TensorArgTypeES9_S9_EUllE_EEvNS0_6detail10TensorInfoIT_T1_EESF_NSC_IKS6_SE_EElS8_S8_SE_T6_.numbered_sgpr, 57
	.set _ZN2at4cuda17kernelHistogram1DIfllLi1ELi2ELin1ELNS0_23CUDAHistogramMemoryTypeE0EZNS0_21CUDA_tensor_histogramIflLb1EEEbNS_6TensorES4_S4_lNS_14AccumulateTypeIT0_Lb1EE4typeES8_NS0_13TensorArgTypeES9_S9_EUllE_EEvNS0_6detail10TensorInfoIT_T1_EESF_NSC_IKS6_SE_EElS8_S8_SE_T6_.num_named_barrier, 0
	.set _ZN2at4cuda17kernelHistogram1DIfllLi1ELi2ELin1ELNS0_23CUDAHistogramMemoryTypeE0EZNS0_21CUDA_tensor_histogramIflLb1EEEbNS_6TensorES4_S4_lNS_14AccumulateTypeIT0_Lb1EE4typeES8_NS0_13TensorArgTypeES9_S9_EUllE_EEvNS0_6detail10TensorInfoIT_T1_EESF_NSC_IKS6_SE_EElS8_S8_SE_T6_.private_seg_size, 0
	.set _ZN2at4cuda17kernelHistogram1DIfllLi1ELi2ELin1ELNS0_23CUDAHistogramMemoryTypeE0EZNS0_21CUDA_tensor_histogramIflLb1EEEbNS_6TensorES4_S4_lNS_14AccumulateTypeIT0_Lb1EE4typeES8_NS0_13TensorArgTypeES9_S9_EUllE_EEvNS0_6detail10TensorInfoIT_T1_EESF_NSC_IKS6_SE_EElS8_S8_SE_T6_.uses_vcc, 1
	.set _ZN2at4cuda17kernelHistogram1DIfllLi1ELi2ELin1ELNS0_23CUDAHistogramMemoryTypeE0EZNS0_21CUDA_tensor_histogramIflLb1EEEbNS_6TensorES4_S4_lNS_14AccumulateTypeIT0_Lb1EE4typeES8_NS0_13TensorArgTypeES9_S9_EUllE_EEvNS0_6detail10TensorInfoIT_T1_EESF_NSC_IKS6_SE_EElS8_S8_SE_T6_.uses_flat_scratch, 0
	.set _ZN2at4cuda17kernelHistogram1DIfllLi1ELi2ELin1ELNS0_23CUDAHistogramMemoryTypeE0EZNS0_21CUDA_tensor_histogramIflLb1EEEbNS_6TensorES4_S4_lNS_14AccumulateTypeIT0_Lb1EE4typeES8_NS0_13TensorArgTypeES9_S9_EUllE_EEvNS0_6detail10TensorInfoIT_T1_EESF_NSC_IKS6_SE_EElS8_S8_SE_T6_.has_dyn_sized_stack, 0
	.set _ZN2at4cuda17kernelHistogram1DIfllLi1ELi2ELin1ELNS0_23CUDAHistogramMemoryTypeE0EZNS0_21CUDA_tensor_histogramIflLb1EEEbNS_6TensorES4_S4_lNS_14AccumulateTypeIT0_Lb1EE4typeES8_NS0_13TensorArgTypeES9_S9_EUllE_EEvNS0_6detail10TensorInfoIT_T1_EESF_NSC_IKS6_SE_EElS8_S8_SE_T6_.has_recursion, 0
	.set _ZN2at4cuda17kernelHistogram1DIfllLi1ELi2ELin1ELNS0_23CUDAHistogramMemoryTypeE0EZNS0_21CUDA_tensor_histogramIflLb1EEEbNS_6TensorES4_S4_lNS_14AccumulateTypeIT0_Lb1EE4typeES8_NS0_13TensorArgTypeES9_S9_EUllE_EEvNS0_6detail10TensorInfoIT_T1_EESF_NSC_IKS6_SE_EElS8_S8_SE_T6_.has_indirect_call, 0
	.section	.AMDGPU.csdata,"",@progbits
; Kernel info:
; codeLenInByte = 2528
; TotalNumSgprs: 59
; NumVgprs: 28
; ScratchSize: 0
; MemoryBound: 0
; FloatMode: 240
; IeeeMode: 1
; LDSByteSize: 0 bytes/workgroup (compile time only)
; SGPRBlocks: 0
; VGPRBlocks: 1
; NumSGPRsForWavesPerEU: 59
; NumVGPRsForWavesPerEU: 28
; NamedBarCnt: 0
; Occupancy: 16
; WaveLimiterHint : 1
; COMPUTE_PGM_RSRC2:SCRATCH_EN: 0
; COMPUTE_PGM_RSRC2:USER_SGPR: 2
; COMPUTE_PGM_RSRC2:TRAP_HANDLER: 0
; COMPUTE_PGM_RSRC2:TGID_X_EN: 1
; COMPUTE_PGM_RSRC2:TGID_Y_EN: 0
; COMPUTE_PGM_RSRC2:TGID_Z_EN: 0
; COMPUTE_PGM_RSRC2:TIDIG_COMP_CNT: 0
	.section	.text._ZN2at4cuda17kernelHistogram1DIfllLi1ELi2ELin1ELNS0_23CUDAHistogramMemoryTypeE1EZNS0_21CUDA_tensor_histogramIflLb1EEEbNS_6TensorES4_S4_lNS_14AccumulateTypeIT0_Lb1EE4typeES8_NS0_13TensorArgTypeES9_S9_EUllE_EEvNS0_6detail10TensorInfoIT_T1_EESF_NSC_IKS6_SE_EElS8_S8_SE_T6_,"axG",@progbits,_ZN2at4cuda17kernelHistogram1DIfllLi1ELi2ELin1ELNS0_23CUDAHistogramMemoryTypeE1EZNS0_21CUDA_tensor_histogramIflLb1EEEbNS_6TensorES4_S4_lNS_14AccumulateTypeIT0_Lb1EE4typeES8_NS0_13TensorArgTypeES9_S9_EUllE_EEvNS0_6detail10TensorInfoIT_T1_EESF_NSC_IKS6_SE_EElS8_S8_SE_T6_,comdat
	.protected	_ZN2at4cuda17kernelHistogram1DIfllLi1ELi2ELin1ELNS0_23CUDAHistogramMemoryTypeE1EZNS0_21CUDA_tensor_histogramIflLb1EEEbNS_6TensorES4_S4_lNS_14AccumulateTypeIT0_Lb1EE4typeES8_NS0_13TensorArgTypeES9_S9_EUllE_EEvNS0_6detail10TensorInfoIT_T1_EESF_NSC_IKS6_SE_EElS8_S8_SE_T6_ ; -- Begin function _ZN2at4cuda17kernelHistogram1DIfllLi1ELi2ELin1ELNS0_23CUDAHistogramMemoryTypeE1EZNS0_21CUDA_tensor_histogramIflLb1EEEbNS_6TensorES4_S4_lNS_14AccumulateTypeIT0_Lb1EE4typeES8_NS0_13TensorArgTypeES9_S9_EUllE_EEvNS0_6detail10TensorInfoIT_T1_EESF_NSC_IKS6_SE_EElS8_S8_SE_T6_
	.globl	_ZN2at4cuda17kernelHistogram1DIfllLi1ELi2ELin1ELNS0_23CUDAHistogramMemoryTypeE1EZNS0_21CUDA_tensor_histogramIflLb1EEEbNS_6TensorES4_S4_lNS_14AccumulateTypeIT0_Lb1EE4typeES8_NS0_13TensorArgTypeES9_S9_EUllE_EEvNS0_6detail10TensorInfoIT_T1_EESF_NSC_IKS6_SE_EElS8_S8_SE_T6_
	.p2align	8
	.type	_ZN2at4cuda17kernelHistogram1DIfllLi1ELi2ELin1ELNS0_23CUDAHistogramMemoryTypeE1EZNS0_21CUDA_tensor_histogramIflLb1EEEbNS_6TensorES4_S4_lNS_14AccumulateTypeIT0_Lb1EE4typeES8_NS0_13TensorArgTypeES9_S9_EUllE_EEvNS0_6detail10TensorInfoIT_T1_EESF_NSC_IKS6_SE_EElS8_S8_SE_T6_,@function
_ZN2at4cuda17kernelHistogram1DIfllLi1ELi2ELin1ELNS0_23CUDAHistogramMemoryTypeE1EZNS0_21CUDA_tensor_histogramIflLb1EEEbNS_6TensorES4_S4_lNS_14AccumulateTypeIT0_Lb1EE4typeES8_NS0_13TensorArgTypeES9_S9_EUllE_EEvNS0_6detail10TensorInfoIT_T1_EESF_NSC_IKS6_SE_EElS8_S8_SE_T6_: ; @_ZN2at4cuda17kernelHistogram1DIfllLi1ELi2ELin1ELNS0_23CUDAHistogramMemoryTypeE1EZNS0_21CUDA_tensor_histogramIflLb1EEEbNS_6TensorES4_S4_lNS_14AccumulateTypeIT0_Lb1EE4typeES8_NS0_13TensorArgTypeES9_S9_EUllE_EEvNS0_6detail10TensorInfoIT_T1_EESF_NSC_IKS6_SE_EElS8_S8_SE_T6_
; %bb.0:
	s_load_b32 s2, s[0:1], 0x6ac
	s_bfe_u32 s12, ttmp6, 0x4000c
	s_load_b256 s[4:11], s[0:1], 0x4e0
	s_add_co_i32 s12, s12, 1
	s_and_b32 s3, ttmp6, 15
	s_mul_i32 s12, ttmp9, s12
	s_getreg_b32 s13, hwreg(HW_REG_IB_STS2, 6, 4)
	s_add_co_i32 s3, s3, s12
	v_mov_b32_e32 v2, 0
	s_mov_b32 s12, exec_lo
	s_delay_alu instid0(VALU_DEP_1) | instskip(SKIP_4) | instid1(SALU_CYCLE_1)
	v_mov_b32_e32 v1, v2
	s_wait_kmcnt 0x0
	s_and_b32 s2, s2, 0xffff
	s_cmp_eq_u32 s13, 0
	s_cselect_b32 s3, ttmp9, s3
	v_mad_u32 v0, s3, s2, v0
	s_mov_b32 s3, 0
	s_delay_alu instid0(VALU_DEP_1)
	v_cmpx_gt_i64_e64 s[10:11], v[0:1]
	s_cbranch_execz .LBB37_16
; %bb.1:
	s_clause 0x1
	s_load_b64 s[12:13], s[0:1], 0x5d0
	s_load_b32 s33, s[0:1], 0x4d8
	s_add_nc_u64 s[24:25], s[0:1], 0x6a0
	s_load_b32 s26, s[24:25], 0x0
	s_clause 0x4
	s_load_b64 s[14:15], s[0:1], 0x500
	s_load_b64 s[16:17], s[0:1], 0x0
	;; [unrolled: 1-line block ×5, first 2 shown]
	s_add_nc_u64 s[30:31], s[0:1], 0x340
	s_wait_xcnt 0x0
	s_sub_nc_u64 s[24:25], s[8:9], s[6:7]
	s_mov_b32 s27, s3
	s_mov_b64 s[28:29], 0xffffffff
	s_mov_b32 s44, 0
	s_wait_kmcnt 0x0
	s_mul_i32 s26, s26, s2
	s_cmp_gt_i32 s33, 1
	s_cselect_b32 s1, -1, 0
	s_add_co_i32 s2, s33, -1
	s_add_co_i32 s33, s33, 1
	s_lshl_b64 s[34:35], s[2:3], 3
	s_delay_alu instid0(SALU_CYCLE_1)
	s_add_nc_u64 s[34:35], s[30:31], s[34:35]
	s_ashr_i32 s30, s25, 31
	s_add_nc_u64 s[34:35], s[34:35], 8
	s_branch .LBB37_4
.LBB37_2:                               ;   in Loop: Header=BB37_4 Depth=1
	s_or_b32 exec_lo, exec_lo, s0
	v_mul_u64_e32 v[4:5], s[12:13], v[0:1]
	s_delay_alu instid0(VALU_DEP_2) | instskip(NEXT) | instid1(VALU_DEP_2)
	v_ashrrev_i32_e32 v7, 31, v6
	v_lshl_add_u64 v[4:5], v[4:5], 2, s[14:15]
	global_load_b32 v3, v[4:5], off
	s_wait_xcnt 0x0
	v_mov_b32_e32 v5, s3
	v_cmp_eq_u64_e32 vcc_lo, s[4:5], v[6:7]
	v_cndmask_b32_e64 v4, 0, 1, vcc_lo
	s_delay_alu instid0(VALU_DEP_1) | instskip(NEXT) | instid1(VALU_DEP_1)
	v_sub_nc_u64_e32 v[4:5], v[6:7], v[4:5]
	v_mul_u64_e32 v[4:5], s[18:19], v[4:5]
	s_delay_alu instid0(VALU_DEP_1)
	v_lshl_add_u64 v[4:5], v[4:5], 2, s[16:17]
	s_wait_loadcnt 0x0
	global_atomic_add_f32 v[4:5], v3, off scope:SCOPE_DEV
.LBB37_3:                               ;   in Loop: Header=BB37_4 Depth=1
	s_wait_xcnt 0x0
	s_or_b32 exec_lo, exec_lo, s38
	v_add_nc_u64_e32 v[0:1], s[26:27], v[0:1]
	s_delay_alu instid0(VALU_DEP_1) | instskip(SKIP_1) | instid1(SALU_CYCLE_1)
	v_cmp_le_i64_e32 vcc_lo, s[10:11], v[0:1]
	s_or_b32 s44, vcc_lo, s44
	s_and_not1_b32 exec_lo, exec_lo, s44
	s_cbranch_execz .LBB37_16
.LBB37_4:                               ; =>This Loop Header: Depth=1
                                        ;     Child Loop BB37_5 Depth 2
	v_mov_b64_e32 v[4:5], 0
	v_mov_b64_e32 v[6:7], v[0:1]
	;; [unrolled: 1-line block ×3, first 2 shown]
	s_and_not1_b32 vcc_lo, exec_lo, s1
	s_mov_b64 s[36:37], s[34:35]
	s_mov_b32 s31, s33
	s_cbranch_vccnz .LBB37_11
.LBB37_5:                               ;   Parent Loop BB37_4 Depth=1
                                        ; =>  This Inner Loop Header: Depth=2
	s_load_b64 s[38:39], s[36:37], 0x0
                                        ; implicit-def: $vgpr8_vgpr9
	s_mov_b32 s0, exec_lo
	s_wait_kmcnt 0x0
	s_delay_alu instid0(VALU_DEP_1) | instskip(NEXT) | instid1(VALU_DEP_1)
	v_or_b32_e32 v3, s39, v7
	v_cmpx_ne_u64_e32 0, v[2:3]
	s_xor_b32 s45, exec_lo, s0
	s_cbranch_execz .LBB37_7
; %bb.6:                                ;   in Loop: Header=BB37_5 Depth=2
	s_ashr_i32 s40, s39, 31
	v_dual_mov_b32 v13, v2 :: v_dual_ashrrev_i32 v8, 31, v7
	s_mov_b32 s41, s40
	s_delay_alu instid0(SALU_CYCLE_1) | instskip(NEXT) | instid1(VALU_DEP_1)
	s_add_nc_u64 s[42:43], s[38:39], s[40:41]
	v_mov_b32_e32 v9, v8
	s_xor_b64 s[42:43], s[42:43], s[40:41]
	s_delay_alu instid0(SALU_CYCLE_1)
	s_cvt_f32_u32 s0, s42
	s_cvt_f32_u32 s2, s43
	s_sub_nc_u64 s[48:49], 0, s[42:43]
	v_add_nc_u64_e32 v[10:11], v[6:7], v[8:9]
	v_mov_b32_e32 v17, v2
	s_fmamk_f32 s0, s2, 0x4f800000, s0
	s_delay_alu instid0(SALU_CYCLE_3) | instskip(NEXT) | instid1(VALU_DEP_2)
	v_s_rcp_f32 s0, s0
	v_xor_b32_e32 v12, v10, v8
	s_delay_alu instid0(VALU_DEP_3) | instskip(SKIP_1) | instid1(TRANS32_DEP_1)
	v_dual_mov_b32 v21, v2 :: v_dual_bitop2_b32 v16, v11, v8 bitop3:0x14
	v_xor_b32_e32 v8, s40, v8
	s_mul_f32 s0, s0, 0x5f7ffffc
	s_delay_alu instid0(SALU_CYCLE_3) | instskip(NEXT) | instid1(SALU_CYCLE_3)
	s_mul_f32 s2, s0, 0x2f800000
	s_trunc_f32 s2, s2
	s_delay_alu instid0(SALU_CYCLE_3) | instskip(SKIP_1) | instid1(SALU_CYCLE_2)
	s_fmamk_f32 s0, s2, 0xcf800000, s0
	s_cvt_u32_f32 s47, s2
	s_cvt_u32_f32 s46, s0
	s_delay_alu instid0(SALU_CYCLE_3) | instskip(NEXT) | instid1(SALU_CYCLE_1)
	s_mul_u64 s[50:51], s[48:49], s[46:47]
	s_mul_hi_u32 s53, s46, s51
	s_mul_i32 s52, s46, s51
	s_mul_hi_u32 s2, s46, s50
	s_mul_i32 s41, s47, s50
	s_add_nc_u64 s[52:53], s[2:3], s[52:53]
	s_mul_hi_u32 s0, s47, s50
	s_mul_hi_u32 s54, s47, s51
	s_add_co_u32 s2, s52, s41
	s_add_co_ci_u32 s2, s53, s0
	s_mul_i32 s50, s47, s51
	s_add_co_ci_u32 s51, s54, 0
	s_delay_alu instid0(SALU_CYCLE_1) | instskip(NEXT) | instid1(SALU_CYCLE_1)
	s_add_nc_u64 s[50:51], s[2:3], s[50:51]
	s_add_co_u32 s46, s46, s50
	s_cselect_b32 s0, -1, 0
	s_delay_alu instid0(SALU_CYCLE_1) | instskip(SKIP_1) | instid1(SALU_CYCLE_1)
	s_cmp_lg_u32 s0, 0
	s_add_co_ci_u32 s47, s47, s51
	s_mul_u64 s[48:49], s[48:49], s[46:47]
	s_delay_alu instid0(SALU_CYCLE_1)
	s_mul_hi_u32 s51, s46, s49
	s_mul_i32 s50, s46, s49
	s_mul_hi_u32 s2, s46, s48
	s_mul_i32 s41, s47, s48
	s_add_nc_u64 s[50:51], s[2:3], s[50:51]
	s_mul_hi_u32 s0, s47, s48
	s_mul_hi_u32 s52, s47, s49
	s_add_co_u32 s2, s50, s41
	s_add_co_ci_u32 s2, s51, s0
	s_mul_i32 s48, s47, s49
	s_add_co_ci_u32 s49, s52, 0
	s_delay_alu instid0(SALU_CYCLE_1) | instskip(NEXT) | instid1(SALU_CYCLE_1)
	s_add_nc_u64 s[48:49], s[2:3], s[48:49]
	s_add_co_u32 s0, s46, s48
	s_cselect_b32 s2, -1, 0
	v_mul_hi_u32 v20, v12, s0
	s_cmp_lg_u32 s2, 0
	s_add_co_ci_u32 s2, s47, s49
	s_and_b64 s[46:47], s[0:1], s[28:29]
	v_mul_u64_e32 v[14:15], s[2:3], v[12:13]
	v_mul_u64_e32 v[10:11], s[46:47], v[16:17]
	;; [unrolled: 1-line block ×3, first 2 shown]
	s_delay_alu instid0(VALU_DEP_3) | instskip(NEXT) | instid1(VALU_DEP_1)
	v_add_nc_u64_e32 v[14:15], v[20:21], v[14:15]
	v_add_co_u32 v3, vcc_lo, v14, v10
	s_delay_alu instid0(VALU_DEP_2) | instskip(NEXT) | instid1(VALU_DEP_4)
	v_add_co_ci_u32_e32 v20, vcc_lo, v15, v11, vcc_lo
	v_add_co_ci_u32_e32 v19, vcc_lo, 0, v19, vcc_lo
	s_delay_alu instid0(VALU_DEP_1) | instskip(NEXT) | instid1(VALU_DEP_1)
	v_add_nc_u64_e32 v[10:11], v[20:21], v[18:19]
	v_mul_u64_e32 v[14:15], s[42:43], v[10:11]
	s_delay_alu instid0(VALU_DEP_1) | instskip(NEXT) | instid1(VALU_DEP_2)
	v_sub_nc_u32_e32 v3, v16, v15
	v_sub_co_u32 v9, vcc_lo, v12, v14
	s_delay_alu instid0(VALU_DEP_1) | instskip(NEXT) | instid1(VALU_DEP_3)
	v_sub_co_ci_u32_e64 v16, null, v16, v15, vcc_lo
	v_subrev_co_ci_u32_e64 v3, null, s43, v3, vcc_lo
	s_delay_alu instid0(VALU_DEP_3) | instskip(SKIP_1) | instid1(VALU_DEP_3)
	v_sub_co_u32 v12, s0, v9, s42
	v_add_nc_u64_e32 v[14:15], 1, v[10:11]
	v_subrev_co_ci_u32_e64 v3, null, 0, v3, s0
	s_delay_alu instid0(VALU_DEP_3) | instskip(SKIP_1) | instid1(VALU_DEP_3)
	v_cmp_le_u32_e32 vcc_lo, s42, v12
	v_cndmask_b32_e64 v12, 0, -1, vcc_lo
	v_cmp_le_u32_e32 vcc_lo, s43, v3
	v_cndmask_b32_e64 v13, 0, -1, vcc_lo
	;; [unrolled: 2-line block ×4, first 2 shown]
	v_cmp_eq_u32_e32 vcc_lo, s43, v3
	v_cndmask_b32_e32 v3, v13, v12, vcc_lo
	v_cmp_eq_u32_e32 vcc_lo, s43, v16
	v_add_nc_u64_e32 v[12:13], 2, v[10:11]
	v_cndmask_b32_e32 v9, v17, v9, vcc_lo
	s_delay_alu instid0(VALU_DEP_4) | instskip(NEXT) | instid1(VALU_DEP_2)
	v_cmp_ne_u32_e32 vcc_lo, 0, v3
	v_cmp_ne_u32_e64 s0, 0, v9
	s_delay_alu instid0(VALU_DEP_4) | instskip(NEXT) | instid1(VALU_DEP_1)
	v_dual_cndmask_b32 v3, v15, v13, vcc_lo :: v_dual_cndmask_b32 v9, v14, v12, vcc_lo
	v_dual_cndmask_b32 v10, v10, v9, s0 :: v_dual_mov_b32 v9, v8
	s_delay_alu instid0(VALU_DEP_1) | instskip(NEXT) | instid1(VALU_DEP_1)
	v_dual_cndmask_b32 v3, v11, v3, s0 :: v_dual_bitop2_b32 v10, v10, v8 bitop3:0x14
	v_xor_b32_e32 v11, v3, v8
	s_delay_alu instid0(VALU_DEP_1)
	v_sub_nc_u64_e32 v[8:9], v[10:11], v[8:9]
.LBB37_7:                               ;   in Loop: Header=BB37_5 Depth=2
	s_and_not1_saveexec_b32 s0, s45
	s_cbranch_execz .LBB37_9
; %bb.8:                                ;   in Loop: Header=BB37_5 Depth=2
	v_cvt_f32_u32_e32 v3, s38
	s_sub_co_i32 s2, 0, s38
	s_delay_alu instid0(VALU_DEP_1) | instskip(SKIP_1) | instid1(TRANS32_DEP_1)
	v_rcp_iflag_f32_e32 v3, v3
	v_nop
	v_mul_f32_e32 v3, 0x4f7ffffe, v3
	s_delay_alu instid0(VALU_DEP_1) | instskip(NEXT) | instid1(VALU_DEP_1)
	v_cvt_u32_f32_e32 v3, v3
	v_mul_lo_u32 v8, s2, v3
	s_delay_alu instid0(VALU_DEP_1) | instskip(NEXT) | instid1(VALU_DEP_1)
	v_mul_hi_u32 v8, v3, v8
	v_add_nc_u32_e32 v3, v3, v8
	s_delay_alu instid0(VALU_DEP_1) | instskip(NEXT) | instid1(VALU_DEP_1)
	v_mul_hi_u32 v3, v6, v3
	v_mul_lo_u32 v8, v3, s38
	s_delay_alu instid0(VALU_DEP_1) | instskip(NEXT) | instid1(VALU_DEP_1)
	v_dual_add_nc_u32 v9, 1, v3 :: v_dual_sub_nc_u32 v8, v6, v8
	v_subrev_nc_u32_e32 v10, s38, v8
	v_cmp_le_u32_e32 vcc_lo, s38, v8
	s_delay_alu instid0(VALU_DEP_2) | instskip(NEXT) | instid1(VALU_DEP_1)
	v_dual_cndmask_b32 v8, v8, v10 :: v_dual_cndmask_b32 v3, v3, v9
	v_cmp_le_u32_e32 vcc_lo, s38, v8
	s_delay_alu instid0(VALU_DEP_2) | instskip(NEXT) | instid1(VALU_DEP_1)
	v_add_nc_u32_e32 v9, 1, v3
	v_dual_cndmask_b32 v8, v3, v9 :: v_dual_mov_b32 v9, v2
.LBB37_9:                               ;   in Loop: Header=BB37_5 Depth=2
	s_or_b32 exec_lo, exec_lo, s0
	s_delay_alu instid0(VALU_DEP_1)
	v_mul_u64_e32 v[10:11], s[38:39], v[8:9]
	s_load_b64 s[38:39], s[36:37], 0xc8
	s_add_co_i32 s31, s31, -1
	s_wait_xcnt 0x0
	s_add_nc_u64 s[36:37], s[36:37], -8
	s_cmp_gt_u32 s31, 2
	s_delay_alu instid0(VALU_DEP_1) | instskip(SKIP_1) | instid1(VALU_DEP_1)
	v_sub_nc_u64_e32 v[6:7], v[6:7], v[10:11]
	s_wait_kmcnt 0x0
	v_mad_nc_u64_u32 v[4:5], s38, v6, v[4:5]
	s_delay_alu instid0(VALU_DEP_1) | instskip(NEXT) | instid1(VALU_DEP_1)
	v_mad_u32 v3, s39, v6, v5
	v_mad_u32 v5, s38, v7, v3
	s_cbranch_scc0 .LBB37_11
; %bb.10:                               ;   in Loop: Header=BB37_5 Depth=2
	v_mov_b64_e32 v[6:7], v[8:9]
	s_branch .LBB37_5
.LBB37_11:                              ;   in Loop: Header=BB37_4 Depth=1
	s_delay_alu instid0(VALU_DEP_1) | instskip(NEXT) | instid1(VALU_DEP_1)
	v_mul_u64_e32 v[6:7], s[20:21], v[8:9]
	v_lshl_add_u64 v[6:7], v[6:7], 3, s[22:23]
	s_delay_alu instid0(VALU_DEP_1)
	v_lshl_add_u64 v[4:5], v[4:5], 3, v[6:7]
	global_load_b64 v[4:5], v[4:5], off
	s_wait_loadcnt 0x0
	v_cmp_le_i64_e32 vcc_lo, s[6:7], v[4:5]
	v_cmp_ge_i64_e64 s0, s[8:9], v[4:5]
	s_and_b32 s0, vcc_lo, s0
	s_wait_xcnt 0x0
	s_and_saveexec_b32 s38, s0
	s_cbranch_execz .LBB37_3
; %bb.12:                               ;   in Loop: Header=BB37_4 Depth=1
	v_sub_nc_u64_e64 v[4:5], v[4:5], s[6:7]
                                        ; implicit-def: $vgpr6_vgpr7
	s_mov_b32 s0, exec_lo
	s_delay_alu instid0(VALU_DEP_1) | instskip(NEXT) | instid1(VALU_DEP_1)
	v_mul_u64_e32 v[4:5], s[4:5], v[4:5]
	v_or_b32_e32 v3, s25, v5
	s_delay_alu instid0(VALU_DEP_1)
	v_cmpx_ne_u64_e32 0, v[2:3]
	s_xor_b32 s39, exec_lo, s0
	s_cbranch_execz .LBB37_14
; %bb.13:                               ;   in Loop: Header=BB37_4 Depth=1
	s_mov_b32 s31, s30
	v_dual_mov_b32 v9, v2 :: v_dual_ashrrev_i32 v6, 31, v5
	s_add_nc_u64 s[36:37], s[24:25], s[30:31]
	s_delay_alu instid0(SALU_CYCLE_1) | instskip(NEXT) | instid1(VALU_DEP_1)
	s_xor_b64 s[36:37], s[36:37], s[30:31]
	v_mov_b32_e32 v7, v6
	s_cvt_f32_u32 s0, s36
	s_cvt_f32_u32 s2, s37
	s_sub_nc_u64 s[42:43], 0, s[36:37]
	s_delay_alu instid0(VALU_DEP_1) | instskip(NEXT) | instid1(SALU_CYCLE_1)
	v_add_nc_u64_e32 v[4:5], v[4:5], v[6:7]
	s_fmamk_f32 s0, s2, 0x4f800000, s0
	v_mov_b32_e32 v13, v2
	s_delay_alu instid0(SALU_CYCLE_2) | instskip(NEXT) | instid1(VALU_DEP_2)
	v_s_rcp_f32 s0, s0
	v_xor_b32_e32 v8, v4, v6
	s_delay_alu instid0(VALU_DEP_3) | instskip(NEXT) | instid1(TRANS32_DEP_1)
	v_dual_mov_b32 v17, v2 :: v_dual_bitop2_b32 v12, v5, v6 bitop3:0x14
	s_mul_f32 s0, s0, 0x5f7ffffc
	s_delay_alu instid0(SALU_CYCLE_3) | instskip(NEXT) | instid1(SALU_CYCLE_3)
	s_mul_f32 s2, s0, 0x2f800000
	s_trunc_f32 s2, s2
	s_delay_alu instid0(SALU_CYCLE_3) | instskip(SKIP_1) | instid1(SALU_CYCLE_2)
	s_fmamk_f32 s0, s2, 0xcf800000, s0
	s_cvt_u32_f32 s41, s2
	s_cvt_u32_f32 s40, s0
	s_delay_alu instid0(SALU_CYCLE_3) | instskip(NEXT) | instid1(SALU_CYCLE_1)
	s_mul_u64 s[46:47], s[42:43], s[40:41]
	s_mul_hi_u32 s49, s40, s47
	s_mul_i32 s48, s40, s47
	s_mul_hi_u32 s2, s40, s46
	s_mul_i32 s31, s41, s46
	s_add_nc_u64 s[48:49], s[2:3], s[48:49]
	s_mul_hi_u32 s0, s41, s46
	s_mul_hi_u32 s45, s41, s47
	s_add_co_u32 s2, s48, s31
	s_add_co_ci_u32 s2, s49, s0
	s_mul_i32 s46, s41, s47
	s_add_co_ci_u32 s47, s45, 0
	s_delay_alu instid0(SALU_CYCLE_1) | instskip(NEXT) | instid1(SALU_CYCLE_1)
	s_add_nc_u64 s[46:47], s[2:3], s[46:47]
	s_add_co_u32 s40, s40, s46
	s_cselect_b32 s0, -1, 0
	s_delay_alu instid0(SALU_CYCLE_1) | instskip(SKIP_1) | instid1(SALU_CYCLE_1)
	s_cmp_lg_u32 s0, 0
	s_add_co_ci_u32 s41, s41, s47
	s_mul_u64 s[42:43], s[42:43], s[40:41]
	s_delay_alu instid0(SALU_CYCLE_1)
	s_mul_hi_u32 s47, s40, s43
	s_mul_i32 s46, s40, s43
	s_mul_hi_u32 s2, s40, s42
	s_mul_i32 s31, s41, s42
	s_add_nc_u64 s[46:47], s[2:3], s[46:47]
	s_mul_hi_u32 s0, s41, s42
	s_mul_hi_u32 s45, s41, s43
	s_add_co_u32 s2, s46, s31
	s_add_co_ci_u32 s2, s47, s0
	s_mul_i32 s42, s41, s43
	s_add_co_ci_u32 s43, s45, 0
	s_delay_alu instid0(SALU_CYCLE_1) | instskip(NEXT) | instid1(SALU_CYCLE_1)
	s_add_nc_u64 s[42:43], s[2:3], s[42:43]
	s_add_co_u32 s0, s40, s42
	s_cselect_b32 s2, -1, 0
	v_mul_hi_u32 v16, v8, s0
	s_cmp_lg_u32 s2, 0
	s_add_co_ci_u32 s2, s41, s43
	s_and_b64 s[40:41], s[0:1], s[28:29]
	v_mul_u64_e32 v[10:11], s[2:3], v[8:9]
	v_mul_u64_e32 v[4:5], s[40:41], v[12:13]
	;; [unrolled: 1-line block ×3, first 2 shown]
	s_delay_alu instid0(VALU_DEP_3) | instskip(NEXT) | instid1(VALU_DEP_1)
	v_add_nc_u64_e32 v[10:11], v[16:17], v[10:11]
	v_add_co_u32 v3, vcc_lo, v10, v4
	s_delay_alu instid0(VALU_DEP_2) | instskip(NEXT) | instid1(VALU_DEP_4)
	v_add_co_ci_u32_e32 v16, vcc_lo, v11, v5, vcc_lo
	v_add_co_ci_u32_e32 v15, vcc_lo, 0, v15, vcc_lo
	s_delay_alu instid0(VALU_DEP_1) | instskip(NEXT) | instid1(VALU_DEP_1)
	v_add_nc_u64_e32 v[4:5], v[16:17], v[14:15]
	v_mul_u64_e32 v[10:11], s[36:37], v[4:5]
	s_delay_alu instid0(VALU_DEP_1) | instskip(NEXT) | instid1(VALU_DEP_2)
	v_sub_nc_u32_e32 v3, v12, v11
	v_sub_co_u32 v7, vcc_lo, v8, v10
	s_delay_alu instid0(VALU_DEP_1) | instskip(NEXT) | instid1(VALU_DEP_3)
	v_sub_co_ci_u32_e64 v12, null, v12, v11, vcc_lo
	v_subrev_co_ci_u32_e64 v3, null, s37, v3, vcc_lo
	s_delay_alu instid0(VALU_DEP_3) | instskip(SKIP_1) | instid1(VALU_DEP_3)
	v_sub_co_u32 v8, s0, v7, s36
	v_add_nc_u64_e32 v[10:11], 1, v[4:5]
	v_subrev_co_ci_u32_e64 v3, null, 0, v3, s0
	s_delay_alu instid0(VALU_DEP_3) | instskip(SKIP_1) | instid1(VALU_DEP_3)
	v_cmp_le_u32_e32 vcc_lo, s36, v8
	v_cndmask_b32_e64 v8, 0, -1, vcc_lo
	v_cmp_le_u32_e32 vcc_lo, s37, v3
	v_cndmask_b32_e64 v9, 0, -1, vcc_lo
	v_cmp_le_u32_e32 vcc_lo, s36, v7
	v_cndmask_b32_e64 v7, 0, -1, vcc_lo
	v_cmp_le_u32_e32 vcc_lo, s37, v12
	v_cndmask_b32_e64 v13, 0, -1, vcc_lo
	v_cmp_eq_u32_e32 vcc_lo, s37, v3
	v_cndmask_b32_e32 v3, v9, v8, vcc_lo
	v_cmp_eq_u32_e32 vcc_lo, s37, v12
	v_add_nc_u64_e32 v[8:9], 2, v[4:5]
	v_cndmask_b32_e32 v7, v13, v7, vcc_lo
	s_delay_alu instid0(VALU_DEP_4) | instskip(NEXT) | instid1(VALU_DEP_3)
	v_cmp_ne_u32_e32 vcc_lo, 0, v3
	v_cndmask_b32_e32 v3, v11, v9, vcc_lo
	s_delay_alu instid0(VALU_DEP_3) | instskip(SKIP_1) | instid1(VALU_DEP_2)
	v_cmp_ne_u32_e64 s0, 0, v7
	v_dual_cndmask_b32 v7, v10, v8, vcc_lo :: v_dual_bitop2_b32 v6, s30, v6 bitop3:0x14
	v_cndmask_b32_e64 v3, v5, v3, s0
	s_delay_alu instid0(VALU_DEP_2) | instskip(NEXT) | instid1(VALU_DEP_2)
	v_dual_cndmask_b32 v4, v4, v7, s0 :: v_dual_mov_b32 v7, v6
	v_xor_b32_e32 v5, v3, v6
	s_delay_alu instid0(VALU_DEP_2) | instskip(NEXT) | instid1(VALU_DEP_1)
	v_xor_b32_e32 v4, v4, v6
	v_sub_nc_u64_e32 v[6:7], v[4:5], v[6:7]
                                        ; implicit-def: $vgpr4_vgpr5
.LBB37_14:                              ;   in Loop: Header=BB37_4 Depth=1
	s_and_not1_saveexec_b32 s0, s39
	s_cbranch_execz .LBB37_2
; %bb.15:                               ;   in Loop: Header=BB37_4 Depth=1
	v_cvt_f32_u32_e32 v3, s24
	s_sub_co_i32 s2, 0, s24
	s_delay_alu instid0(VALU_DEP_1) | instskip(SKIP_1) | instid1(TRANS32_DEP_1)
	v_rcp_iflag_f32_e32 v3, v3
	v_nop
	v_mul_f32_e32 v3, 0x4f7ffffe, v3
	s_delay_alu instid0(VALU_DEP_1) | instskip(NEXT) | instid1(VALU_DEP_1)
	v_cvt_u32_f32_e32 v3, v3
	v_mul_lo_u32 v5, s2, v3
	s_delay_alu instid0(VALU_DEP_1) | instskip(NEXT) | instid1(VALU_DEP_1)
	v_mul_hi_u32 v5, v3, v5
	v_add_nc_u32_e32 v3, v3, v5
	s_delay_alu instid0(VALU_DEP_1) | instskip(NEXT) | instid1(VALU_DEP_1)
	v_mul_hi_u32 v3, v4, v3
	v_mul_lo_u32 v5, v3, s24
	s_delay_alu instid0(VALU_DEP_1) | instskip(NEXT) | instid1(VALU_DEP_1)
	v_dual_sub_nc_u32 v4, v4, v5 :: v_dual_add_nc_u32 v5, 1, v3
	v_subrev_nc_u32_e32 v6, s24, v4
	v_cmp_le_u32_e32 vcc_lo, s24, v4
	s_delay_alu instid0(VALU_DEP_2) | instskip(NEXT) | instid1(VALU_DEP_1)
	v_dual_cndmask_b32 v4, v4, v6 :: v_dual_cndmask_b32 v3, v3, v5
	v_cmp_le_u32_e32 vcc_lo, s24, v4
	s_delay_alu instid0(VALU_DEP_2) | instskip(NEXT) | instid1(VALU_DEP_1)
	v_add_nc_u32_e32 v5, 1, v3
	v_cndmask_b32_e32 v6, v3, v5, vcc_lo
	s_branch .LBB37_2
.LBB37_16:
	s_endpgm
	.section	.rodata,"a",@progbits
	.p2align	6, 0x0
	.amdhsa_kernel _ZN2at4cuda17kernelHistogram1DIfllLi1ELi2ELin1ELNS0_23CUDAHistogramMemoryTypeE1EZNS0_21CUDA_tensor_histogramIflLb1EEEbNS_6TensorES4_S4_lNS_14AccumulateTypeIT0_Lb1EE4typeES8_NS0_13TensorArgTypeES9_S9_EUllE_EEvNS0_6detail10TensorInfoIT_T1_EESF_NSC_IKS6_SE_EElS8_S8_SE_T6_
		.amdhsa_group_segment_fixed_size 0
		.amdhsa_private_segment_fixed_size 0
		.amdhsa_kernarg_size 1952
		.amdhsa_user_sgpr_count 2
		.amdhsa_user_sgpr_dispatch_ptr 0
		.amdhsa_user_sgpr_queue_ptr 0
		.amdhsa_user_sgpr_kernarg_segment_ptr 1
		.amdhsa_user_sgpr_dispatch_id 0
		.amdhsa_user_sgpr_kernarg_preload_length 0
		.amdhsa_user_sgpr_kernarg_preload_offset 0
		.amdhsa_user_sgpr_private_segment_size 0
		.amdhsa_wavefront_size32 1
		.amdhsa_uses_dynamic_stack 0
		.amdhsa_enable_private_segment 0
		.amdhsa_system_sgpr_workgroup_id_x 1
		.amdhsa_system_sgpr_workgroup_id_y 0
		.amdhsa_system_sgpr_workgroup_id_z 0
		.amdhsa_system_sgpr_workgroup_info 0
		.amdhsa_system_vgpr_workitem_id 0
		.amdhsa_next_free_vgpr 22
		.amdhsa_next_free_sgpr 55
		.amdhsa_named_barrier_count 0
		.amdhsa_reserve_vcc 1
		.amdhsa_float_round_mode_32 0
		.amdhsa_float_round_mode_16_64 0
		.amdhsa_float_denorm_mode_32 3
		.amdhsa_float_denorm_mode_16_64 3
		.amdhsa_fp16_overflow 0
		.amdhsa_memory_ordered 1
		.amdhsa_forward_progress 1
		.amdhsa_inst_pref_size 17
		.amdhsa_round_robin_scheduling 0
		.amdhsa_exception_fp_ieee_invalid_op 0
		.amdhsa_exception_fp_denorm_src 0
		.amdhsa_exception_fp_ieee_div_zero 0
		.amdhsa_exception_fp_ieee_overflow 0
		.amdhsa_exception_fp_ieee_underflow 0
		.amdhsa_exception_fp_ieee_inexact 0
		.amdhsa_exception_int_div_zero 0
	.end_amdhsa_kernel
	.section	.text._ZN2at4cuda17kernelHistogram1DIfllLi1ELi2ELin1ELNS0_23CUDAHistogramMemoryTypeE1EZNS0_21CUDA_tensor_histogramIflLb1EEEbNS_6TensorES4_S4_lNS_14AccumulateTypeIT0_Lb1EE4typeES8_NS0_13TensorArgTypeES9_S9_EUllE_EEvNS0_6detail10TensorInfoIT_T1_EESF_NSC_IKS6_SE_EElS8_S8_SE_T6_,"axG",@progbits,_ZN2at4cuda17kernelHistogram1DIfllLi1ELi2ELin1ELNS0_23CUDAHistogramMemoryTypeE1EZNS0_21CUDA_tensor_histogramIflLb1EEEbNS_6TensorES4_S4_lNS_14AccumulateTypeIT0_Lb1EE4typeES8_NS0_13TensorArgTypeES9_S9_EUllE_EEvNS0_6detail10TensorInfoIT_T1_EESF_NSC_IKS6_SE_EElS8_S8_SE_T6_,comdat
.Lfunc_end37:
	.size	_ZN2at4cuda17kernelHistogram1DIfllLi1ELi2ELin1ELNS0_23CUDAHistogramMemoryTypeE1EZNS0_21CUDA_tensor_histogramIflLb1EEEbNS_6TensorES4_S4_lNS_14AccumulateTypeIT0_Lb1EE4typeES8_NS0_13TensorArgTypeES9_S9_EUllE_EEvNS0_6detail10TensorInfoIT_T1_EESF_NSC_IKS6_SE_EElS8_S8_SE_T6_, .Lfunc_end37-_ZN2at4cuda17kernelHistogram1DIfllLi1ELi2ELin1ELNS0_23CUDAHistogramMemoryTypeE1EZNS0_21CUDA_tensor_histogramIflLb1EEEbNS_6TensorES4_S4_lNS_14AccumulateTypeIT0_Lb1EE4typeES8_NS0_13TensorArgTypeES9_S9_EUllE_EEvNS0_6detail10TensorInfoIT_T1_EESF_NSC_IKS6_SE_EElS8_S8_SE_T6_
                                        ; -- End function
	.set _ZN2at4cuda17kernelHistogram1DIfllLi1ELi2ELin1ELNS0_23CUDAHistogramMemoryTypeE1EZNS0_21CUDA_tensor_histogramIflLb1EEEbNS_6TensorES4_S4_lNS_14AccumulateTypeIT0_Lb1EE4typeES8_NS0_13TensorArgTypeES9_S9_EUllE_EEvNS0_6detail10TensorInfoIT_T1_EESF_NSC_IKS6_SE_EElS8_S8_SE_T6_.num_vgpr, 22
	.set _ZN2at4cuda17kernelHistogram1DIfllLi1ELi2ELin1ELNS0_23CUDAHistogramMemoryTypeE1EZNS0_21CUDA_tensor_histogramIflLb1EEEbNS_6TensorES4_S4_lNS_14AccumulateTypeIT0_Lb1EE4typeES8_NS0_13TensorArgTypeES9_S9_EUllE_EEvNS0_6detail10TensorInfoIT_T1_EESF_NSC_IKS6_SE_EElS8_S8_SE_T6_.num_agpr, 0
	.set _ZN2at4cuda17kernelHistogram1DIfllLi1ELi2ELin1ELNS0_23CUDAHistogramMemoryTypeE1EZNS0_21CUDA_tensor_histogramIflLb1EEEbNS_6TensorES4_S4_lNS_14AccumulateTypeIT0_Lb1EE4typeES8_NS0_13TensorArgTypeES9_S9_EUllE_EEvNS0_6detail10TensorInfoIT_T1_EESF_NSC_IKS6_SE_EElS8_S8_SE_T6_.numbered_sgpr, 55
	.set _ZN2at4cuda17kernelHistogram1DIfllLi1ELi2ELin1ELNS0_23CUDAHistogramMemoryTypeE1EZNS0_21CUDA_tensor_histogramIflLb1EEEbNS_6TensorES4_S4_lNS_14AccumulateTypeIT0_Lb1EE4typeES8_NS0_13TensorArgTypeES9_S9_EUllE_EEvNS0_6detail10TensorInfoIT_T1_EESF_NSC_IKS6_SE_EElS8_S8_SE_T6_.num_named_barrier, 0
	.set _ZN2at4cuda17kernelHistogram1DIfllLi1ELi2ELin1ELNS0_23CUDAHistogramMemoryTypeE1EZNS0_21CUDA_tensor_histogramIflLb1EEEbNS_6TensorES4_S4_lNS_14AccumulateTypeIT0_Lb1EE4typeES8_NS0_13TensorArgTypeES9_S9_EUllE_EEvNS0_6detail10TensorInfoIT_T1_EESF_NSC_IKS6_SE_EElS8_S8_SE_T6_.private_seg_size, 0
	.set _ZN2at4cuda17kernelHistogram1DIfllLi1ELi2ELin1ELNS0_23CUDAHistogramMemoryTypeE1EZNS0_21CUDA_tensor_histogramIflLb1EEEbNS_6TensorES4_S4_lNS_14AccumulateTypeIT0_Lb1EE4typeES8_NS0_13TensorArgTypeES9_S9_EUllE_EEvNS0_6detail10TensorInfoIT_T1_EESF_NSC_IKS6_SE_EElS8_S8_SE_T6_.uses_vcc, 1
	.set _ZN2at4cuda17kernelHistogram1DIfllLi1ELi2ELin1ELNS0_23CUDAHistogramMemoryTypeE1EZNS0_21CUDA_tensor_histogramIflLb1EEEbNS_6TensorES4_S4_lNS_14AccumulateTypeIT0_Lb1EE4typeES8_NS0_13TensorArgTypeES9_S9_EUllE_EEvNS0_6detail10TensorInfoIT_T1_EESF_NSC_IKS6_SE_EElS8_S8_SE_T6_.uses_flat_scratch, 0
	.set _ZN2at4cuda17kernelHistogram1DIfllLi1ELi2ELin1ELNS0_23CUDAHistogramMemoryTypeE1EZNS0_21CUDA_tensor_histogramIflLb1EEEbNS_6TensorES4_S4_lNS_14AccumulateTypeIT0_Lb1EE4typeES8_NS0_13TensorArgTypeES9_S9_EUllE_EEvNS0_6detail10TensorInfoIT_T1_EESF_NSC_IKS6_SE_EElS8_S8_SE_T6_.has_dyn_sized_stack, 0
	.set _ZN2at4cuda17kernelHistogram1DIfllLi1ELi2ELin1ELNS0_23CUDAHistogramMemoryTypeE1EZNS0_21CUDA_tensor_histogramIflLb1EEEbNS_6TensorES4_S4_lNS_14AccumulateTypeIT0_Lb1EE4typeES8_NS0_13TensorArgTypeES9_S9_EUllE_EEvNS0_6detail10TensorInfoIT_T1_EESF_NSC_IKS6_SE_EElS8_S8_SE_T6_.has_recursion, 0
	.set _ZN2at4cuda17kernelHistogram1DIfllLi1ELi2ELin1ELNS0_23CUDAHistogramMemoryTypeE1EZNS0_21CUDA_tensor_histogramIflLb1EEEbNS_6TensorES4_S4_lNS_14AccumulateTypeIT0_Lb1EE4typeES8_NS0_13TensorArgTypeES9_S9_EUllE_EEvNS0_6detail10TensorInfoIT_T1_EESF_NSC_IKS6_SE_EElS8_S8_SE_T6_.has_indirect_call, 0
	.section	.AMDGPU.csdata,"",@progbits
; Kernel info:
; codeLenInByte = 2084
; TotalNumSgprs: 57
; NumVgprs: 22
; ScratchSize: 0
; MemoryBound: 0
; FloatMode: 240
; IeeeMode: 1
; LDSByteSize: 0 bytes/workgroup (compile time only)
; SGPRBlocks: 0
; VGPRBlocks: 1
; NumSGPRsForWavesPerEU: 57
; NumVGPRsForWavesPerEU: 22
; NamedBarCnt: 0
; Occupancy: 16
; WaveLimiterHint : 1
; COMPUTE_PGM_RSRC2:SCRATCH_EN: 0
; COMPUTE_PGM_RSRC2:USER_SGPR: 2
; COMPUTE_PGM_RSRC2:TRAP_HANDLER: 0
; COMPUTE_PGM_RSRC2:TGID_X_EN: 1
; COMPUTE_PGM_RSRC2:TGID_Y_EN: 0
; COMPUTE_PGM_RSRC2:TGID_Z_EN: 0
; COMPUTE_PGM_RSRC2:TIDIG_COMP_CNT: 0
	.section	.text._ZN2at4cuda17kernelHistogram1DIfllLi1ELi2ELin1ELNS0_23CUDAHistogramMemoryTypeE0EZNS0_21CUDA_tensor_histogramIflLb1EEEbNS_6TensorES4_S4_lNS_14AccumulateTypeIT0_Lb1EE4typeES8_NS0_13TensorArgTypeES9_S9_EUllE0_EEvNS0_6detail10TensorInfoIT_T1_EESF_NSC_IKS6_SE_EElS8_S8_SE_T6_,"axG",@progbits,_ZN2at4cuda17kernelHistogram1DIfllLi1ELi2ELin1ELNS0_23CUDAHistogramMemoryTypeE0EZNS0_21CUDA_tensor_histogramIflLb1EEEbNS_6TensorES4_S4_lNS_14AccumulateTypeIT0_Lb1EE4typeES8_NS0_13TensorArgTypeES9_S9_EUllE0_EEvNS0_6detail10TensorInfoIT_T1_EESF_NSC_IKS6_SE_EElS8_S8_SE_T6_,comdat
	.protected	_ZN2at4cuda17kernelHistogram1DIfllLi1ELi2ELin1ELNS0_23CUDAHistogramMemoryTypeE0EZNS0_21CUDA_tensor_histogramIflLb1EEEbNS_6TensorES4_S4_lNS_14AccumulateTypeIT0_Lb1EE4typeES8_NS0_13TensorArgTypeES9_S9_EUllE0_EEvNS0_6detail10TensorInfoIT_T1_EESF_NSC_IKS6_SE_EElS8_S8_SE_T6_ ; -- Begin function _ZN2at4cuda17kernelHistogram1DIfllLi1ELi2ELin1ELNS0_23CUDAHistogramMemoryTypeE0EZNS0_21CUDA_tensor_histogramIflLb1EEEbNS_6TensorES4_S4_lNS_14AccumulateTypeIT0_Lb1EE4typeES8_NS0_13TensorArgTypeES9_S9_EUllE0_EEvNS0_6detail10TensorInfoIT_T1_EESF_NSC_IKS6_SE_EElS8_S8_SE_T6_
	.globl	_ZN2at4cuda17kernelHistogram1DIfllLi1ELi2ELin1ELNS0_23CUDAHistogramMemoryTypeE0EZNS0_21CUDA_tensor_histogramIflLb1EEEbNS_6TensorES4_S4_lNS_14AccumulateTypeIT0_Lb1EE4typeES8_NS0_13TensorArgTypeES9_S9_EUllE0_EEvNS0_6detail10TensorInfoIT_T1_EESF_NSC_IKS6_SE_EElS8_S8_SE_T6_
	.p2align	8
	.type	_ZN2at4cuda17kernelHistogram1DIfllLi1ELi2ELin1ELNS0_23CUDAHistogramMemoryTypeE0EZNS0_21CUDA_tensor_histogramIflLb1EEEbNS_6TensorES4_S4_lNS_14AccumulateTypeIT0_Lb1EE4typeES8_NS0_13TensorArgTypeES9_S9_EUllE0_EEvNS0_6detail10TensorInfoIT_T1_EESF_NSC_IKS6_SE_EElS8_S8_SE_T6_,@function
_ZN2at4cuda17kernelHistogram1DIfllLi1ELi2ELin1ELNS0_23CUDAHistogramMemoryTypeE0EZNS0_21CUDA_tensor_histogramIflLb1EEEbNS_6TensorES4_S4_lNS_14AccumulateTypeIT0_Lb1EE4typeES8_NS0_13TensorArgTypeES9_S9_EUllE0_EEvNS0_6detail10TensorInfoIT_T1_EESF_NSC_IKS6_SE_EElS8_S8_SE_T6_: ; @_ZN2at4cuda17kernelHistogram1DIfllLi1ELi2ELin1ELNS0_23CUDAHistogramMemoryTypeE0EZNS0_21CUDA_tensor_histogramIflLb1EEEbNS_6TensorES4_S4_lNS_14AccumulateTypeIT0_Lb1EE4typeES8_NS0_13TensorArgTypeES9_S9_EUllE0_EEvNS0_6detail10TensorInfoIT_T1_EESF_NSC_IKS6_SE_EElS8_S8_SE_T6_
; %bb.0:
	s_load_b128 s[12:15], s[0:1], 0x0
	v_mov_b32_e32 v1, 0
	s_add_nc_u64 s[22:23], s[0:1], 0x508
	s_mov_b32 s3, exec_lo
                                        ; implicit-def: $sgpr4
	s_wait_kmcnt 0x0
	s_delay_alu instid0(VALU_DEP_1)
	v_cmp_gt_i64_e64 s2, s[14:15], v[0:1]
	v_cmpx_le_i64_e64 s[14:15], v[0:1]
	s_xor_b32 s3, exec_lo, s3
; %bb.1:
	s_load_b32 s4, s[22:23], 0xc
; %bb.2:
	s_or_saveexec_b32 s3, s3
	s_wait_kmcnt 0x0
	v_mov_b32_e32 v4, s4
	s_xor_b32 exec_lo, exec_lo, s3
	s_cbranch_execz .LBB38_12
; %bb.3:
	v_dual_mov_b32 v5, 0 :: v_dual_add_nc_u32 v4, 1, v0
	s_load_b32 s6, s[22:23], 0xc
	s_mov_b32 s8, -1
	s_delay_alu instid0(VALU_DEP_1) | instskip(SKIP_2) | instid1(SALU_CYCLE_1)
	v_max_i64 v[2:3], s[14:15], v[4:5]
	s_wait_kmcnt 0x0
	s_and_b32 s4, s6, 0xffff
	s_cmp_eq_u32 s4, 1
	s_cselect_b32 s5, -1, 0
	s_delay_alu instid0(VALU_DEP_1) | instskip(SKIP_1) | instid1(VALU_DEP_2)
	v_sub_nc_u64_e32 v[6:7], v[2:3], v[0:1]
	v_mov_b64_e32 v[2:3], v[0:1]
	v_cmp_lt_u64_e32 vcc_lo, 1, v[6:7]
	s_and_b32 s7, vcc_lo, s5
	s_delay_alu instid0(SALU_CYCLE_1)
	s_and_saveexec_b32 s5, s7
	s_cbranch_execz .LBB38_7
; %bb.4:
	v_dual_mov_b32 v3, v7 :: v_dual_bitop2_b32 v2, -2, v6 bitop3:0x40
	v_lshl_add_u32 v4, v0, 2, 0
	s_mov_b32 s7, 0
	s_delay_alu instid0(VALU_DEP_2)
	v_mov_b64_e32 v[8:9], v[2:3]
.LBB38_5:                               ; =>This Inner Loop Header: Depth=1
	s_delay_alu instid0(VALU_DEP_1) | instskip(SKIP_4) | instid1(SALU_CYCLE_1)
	v_add_nc_u64_e32 v[8:9], -2, v[8:9]
	ds_store_2addr_b32 v4, v5, v5 offset1:1
	v_add_nc_u32_e32 v4, 8, v4
	v_cmp_eq_u64_e32 vcc_lo, 0, v[8:9]
	s_or_b32 s7, vcc_lo, s7
	s_and_not1_b32 exec_lo, exec_lo, s7
	s_cbranch_execnz .LBB38_5
; %bb.6:
	s_or_b32 exec_lo, exec_lo, s7
	v_cmp_ne_u64_e32 vcc_lo, v[6:7], v[2:3]
	v_add_nc_u64_e32 v[2:3], v[2:3], v[0:1]
	s_or_not1_b32 s8, vcc_lo, exec_lo
.LBB38_7:
	s_or_b32 exec_lo, exec_lo, s5
	v_mov_b32_e32 v4, 1
	s_and_saveexec_b32 s7, s8
	s_cbranch_execz .LBB38_11
; %bb.8:
	s_delay_alu instid0(VALU_DEP_2)
	v_lshl_add_u32 v4, v2, 2, 0
	v_mov_b32_e32 v5, 0
	s_mov_b32 s5, 0
	s_lshl_b32 s9, s4, 2
	s_mov_b32 s8, s5
.LBB38_9:                               ; =>This Inner Loop Header: Depth=1
	v_add_nc_u64_e32 v[2:3], s[4:5], v[2:3]
	ds_store_b32 v4, v5
	v_add_nc_u32_e32 v4, s9, v4
	v_cmp_le_i64_e32 vcc_lo, s[14:15], v[2:3]
	s_or_b32 s8, vcc_lo, s8
	s_delay_alu instid0(SALU_CYCLE_1)
	s_and_not1_b32 exec_lo, exec_lo, s8
	s_cbranch_execnz .LBB38_9
; %bb.10:
	s_or_b32 exec_lo, exec_lo, s8
	v_mov_b32_e32 v4, s6
.LBB38_11:
	s_or_b32 exec_lo, exec_lo, s7
.LBB38_12:
	s_delay_alu instid0(SALU_CYCLE_1)
	s_or_b32 exec_lo, exec_lo, s3
	s_bfe_u32 s3, ttmp6, 0x4000c
	s_load_b256 s[4:11], s[0:1], 0x4e0
	s_add_co_i32 s3, s3, 1
	s_and_b32 s16, ttmp6, 15
	s_mul_i32 s3, ttmp9, s3
	s_getreg_b32 s17, hwreg(HW_REG_IB_STS2, 6, 4)
	v_and_b32_e32 v2, 0xffff, v4
	s_add_co_i32 s16, s16, s3
	s_cmp_eq_u32 s17, 0
	v_mov_b32_e32 v6, 0
	s_cselect_b32 s3, ttmp9, s16
	s_mov_b32 s17, 0
	v_mad_u32 v4, s3, v2, v0
	s_mov_b32 s33, exec_lo
	v_mov_b32_e32 v5, v6
	s_wait_dscnt 0x0
	s_barrier_signal -1
	s_barrier_wait -1
	s_wait_kmcnt 0x0
	s_delay_alu instid0(VALU_DEP_2)
	v_cmpx_gt_i64_e64 s[10:11], v[4:5]
	s_cbranch_execz .LBB38_28
; %bb.13:
	s_load_b32 s3, s[0:1], 0x4d8
	s_load_b32 s16, s[22:23], 0x0
	s_clause 0x1
	s_load_b64 s[18:19], s[0:1], 0x410
	s_load_b64 s[20:21], s[0:1], 0x340
	s_add_nc_u64 s[26:27], s[0:1], 0x340
	v_dual_mov_b32 v9, v6 :: v_dual_mov_b32 v3, 1.0
	s_wait_xcnt 0x0
	s_sub_nc_u64 s[22:23], s[8:9], s[6:7]
	s_mov_b64 s[24:25], 0xffffffff
	s_mov_b32 s42, 0
	s_wait_kmcnt 0x0
	s_cmp_gt_i32 s3, 1
	v_mul_lo_u32 v8, s16, v2
	s_cselect_b32 s40, -1, 0
	s_add_co_i32 s16, s3, -1
	s_add_co_i32 s41, s3, 1
	s_lshl_b64 s[28:29], s[16:17], 3
	s_delay_alu instid0(SALU_CYCLE_1)
	s_add_nc_u64 s[26:27], s[26:27], s[28:29]
	s_ashr_i32 s28, s23, 31
	s_add_nc_u64 s[26:27], s[26:27], 8
	s_branch .LBB38_16
.LBB38_14:                              ;   in Loop: Header=BB38_16 Depth=1
	s_or_b32 exec_lo, exec_lo, s3
	s_delay_alu instid0(VALU_DEP_1) | instskip(NEXT) | instid1(VALU_DEP_1)
	v_ashrrev_i32_e32 v13, 31, v12
	v_cmp_eq_u64_e32 vcc_lo, s[4:5], v[12:13]
	v_subrev_co_ci_u32_e64 v7, null, 0, v12, vcc_lo
	s_delay_alu instid0(VALU_DEP_1)
	v_lshl_add_u32 v7, v7, 2, 0
	ds_add_f32 v7, v3
.LBB38_15:                              ;   in Loop: Header=BB38_16 Depth=1
	s_or_b32 exec_lo, exec_lo, s34
	v_add_nc_u64_e32 v[4:5], v[4:5], v[8:9]
	s_delay_alu instid0(VALU_DEP_1) | instskip(SKIP_1) | instid1(SALU_CYCLE_1)
	v_cmp_le_i64_e32 vcc_lo, s[10:11], v[4:5]
	s_or_b32 s42, vcc_lo, s42
	s_and_not1_b32 exec_lo, exec_lo, s42
	s_cbranch_execz .LBB38_28
.LBB38_16:                              ; =>This Loop Header: Depth=1
                                        ;     Child Loop BB38_17 Depth 2
	v_mov_b64_e32 v[10:11], 0
	v_mov_b64_e32 v[12:13], v[4:5]
	;; [unrolled: 1-line block ×3, first 2 shown]
	s_and_not1_b32 vcc_lo, exec_lo, s40
	s_mov_b64 s[30:31], s[26:27]
	s_mov_b32 s29, s41
	s_cbranch_vccnz .LBB38_23
.LBB38_17:                              ;   Parent Loop BB38_16 Depth=1
                                        ; =>  This Inner Loop Header: Depth=2
	s_load_b64 s[34:35], s[30:31], 0x0
                                        ; implicit-def: $vgpr14_vgpr15
	s_mov_b32 s3, exec_lo
	s_wait_kmcnt 0x0
	s_delay_alu instid0(VALU_DEP_1) | instskip(NEXT) | instid1(VALU_DEP_1)
	v_or_b32_e32 v7, s35, v13
	v_cmpx_ne_u64_e32 0, v[6:7]
	s_xor_b32 s43, exec_lo, s3
	s_cbranch_execz .LBB38_19
; %bb.18:                               ;   in Loop: Header=BB38_17 Depth=2
	s_ashr_i32 s36, s35, 31
	v_dual_mov_b32 v19, v6 :: v_dual_ashrrev_i32 v14, 31, v13
	s_mov_b32 s37, s36
	v_mov_b32_e32 v27, v6
	s_add_nc_u64 s[38:39], s[34:35], s[36:37]
	s_delay_alu instid0(VALU_DEP_2) | instskip(SKIP_1) | instid1(SALU_CYCLE_1)
	v_mov_b32_e32 v15, v14
	s_xor_b64 s[38:39], s[38:39], s[36:37]
	s_cvt_f32_u32 s3, s38
	s_cvt_f32_u32 s16, s39
	s_sub_nc_u64 s[46:47], 0, s[38:39]
	v_add_nc_u64_e32 v[16:17], v[12:13], v[14:15]
	v_mov_b32_e32 v23, v6
	s_fmamk_f32 s3, s16, 0x4f800000, s3
	s_delay_alu instid0(SALU_CYCLE_3) | instskip(NEXT) | instid1(VALU_DEP_2)
	v_s_rcp_f32 s3, s3
	v_xor_b32_e32 v18, v16, v14
	s_delay_alu instid0(VALU_DEP_3) | instskip(NEXT) | instid1(TRANS32_DEP_1)
	v_xor_b32_e32 v22, v17, v14
	s_mul_f32 s3, s3, 0x5f7ffffc
	s_delay_alu instid0(SALU_CYCLE_3) | instskip(NEXT) | instid1(SALU_CYCLE_3)
	s_mul_f32 s16, s3, 0x2f800000
	s_trunc_f32 s16, s16
	s_delay_alu instid0(SALU_CYCLE_3) | instskip(SKIP_1) | instid1(SALU_CYCLE_2)
	s_fmamk_f32 s3, s16, 0xcf800000, s3
	s_cvt_u32_f32 s45, s16
	s_cvt_u32_f32 s44, s3
	s_delay_alu instid0(SALU_CYCLE_3) | instskip(NEXT) | instid1(SALU_CYCLE_1)
	s_mul_u64 s[48:49], s[46:47], s[44:45]
	s_mul_hi_u32 s51, s44, s49
	s_mul_i32 s50, s44, s49
	s_mul_hi_u32 s16, s44, s48
	s_mul_i32 s37, s45, s48
	s_add_nc_u64 s[50:51], s[16:17], s[50:51]
	s_mul_hi_u32 s3, s45, s48
	s_mul_hi_u32 s52, s45, s49
	s_add_co_u32 s16, s50, s37
	s_add_co_ci_u32 s16, s51, s3
	s_mul_i32 s48, s45, s49
	s_add_co_ci_u32 s49, s52, 0
	s_delay_alu instid0(SALU_CYCLE_1) | instskip(NEXT) | instid1(SALU_CYCLE_1)
	s_add_nc_u64 s[48:49], s[16:17], s[48:49]
	s_add_co_u32 s44, s44, s48
	s_cselect_b32 s3, -1, 0
	s_delay_alu instid0(SALU_CYCLE_1) | instskip(SKIP_1) | instid1(SALU_CYCLE_1)
	s_cmp_lg_u32 s3, 0
	s_add_co_ci_u32 s45, s45, s49
	s_mul_u64 s[46:47], s[46:47], s[44:45]
	s_delay_alu instid0(SALU_CYCLE_1)
	s_mul_hi_u32 s49, s44, s47
	s_mul_i32 s48, s44, s47
	s_mul_hi_u32 s16, s44, s46
	s_mul_i32 s37, s45, s46
	s_add_nc_u64 s[48:49], s[16:17], s[48:49]
	s_mul_hi_u32 s3, s45, s46
	s_mul_hi_u32 s50, s45, s47
	s_add_co_u32 s16, s48, s37
	s_add_co_ci_u32 s16, s49, s3
	s_mul_i32 s46, s45, s47
	s_add_co_ci_u32 s47, s50, 0
	s_delay_alu instid0(SALU_CYCLE_1) | instskip(NEXT) | instid1(SALU_CYCLE_1)
	s_add_nc_u64 s[46:47], s[16:17], s[46:47]
	s_add_co_u32 s44, s44, s46
	s_cselect_b32 s3, -1, 0
	v_mul_hi_u32 v26, v18, s44
	s_cmp_lg_u32 s3, 0
	s_add_co_ci_u32 s16, s45, s47
	s_and_b64 s[46:47], s[44:45], s[24:25]
	v_mul_u64_e32 v[20:21], s[16:17], v[18:19]
	v_mul_u64_e32 v[16:17], s[46:47], v[22:23]
	;; [unrolled: 1-line block ×3, first 2 shown]
	s_delay_alu instid0(VALU_DEP_3) | instskip(NEXT) | instid1(VALU_DEP_1)
	v_add_nc_u64_e32 v[20:21], v[26:27], v[20:21]
	v_add_co_u32 v7, vcc_lo, v20, v16
	s_delay_alu instid0(VALU_DEP_2) | instskip(NEXT) | instid1(VALU_DEP_4)
	v_add_co_ci_u32_e32 v26, vcc_lo, v21, v17, vcc_lo
	v_add_co_ci_u32_e32 v25, vcc_lo, 0, v25, vcc_lo
	s_delay_alu instid0(VALU_DEP_1) | instskip(NEXT) | instid1(VALU_DEP_1)
	v_add_nc_u64_e32 v[16:17], v[26:27], v[24:25]
	v_mul_u64_e32 v[20:21], s[38:39], v[16:17]
	s_delay_alu instid0(VALU_DEP_1) | instskip(NEXT) | instid1(VALU_DEP_2)
	v_sub_nc_u32_e32 v7, v22, v21
	v_sub_co_u32 v15, vcc_lo, v18, v20
	s_delay_alu instid0(VALU_DEP_1) | instskip(NEXT) | instid1(VALU_DEP_3)
	v_sub_co_ci_u32_e64 v22, null, v22, v21, vcc_lo
	v_subrev_co_ci_u32_e64 v7, null, s39, v7, vcc_lo
	s_delay_alu instid0(VALU_DEP_3) | instskip(SKIP_1) | instid1(VALU_DEP_3)
	v_sub_co_u32 v18, s3, v15, s38
	v_add_nc_u64_e32 v[20:21], 1, v[16:17]
	v_subrev_co_ci_u32_e64 v7, null, 0, v7, s3
	s_delay_alu instid0(VALU_DEP_3) | instskip(SKIP_1) | instid1(VALU_DEP_3)
	v_cmp_le_u32_e32 vcc_lo, s38, v18
	v_cndmask_b32_e64 v18, 0, -1, vcc_lo
	v_cmp_le_u32_e32 vcc_lo, s39, v7
	v_cndmask_b32_e64 v19, 0, -1, vcc_lo
	;; [unrolled: 2-line block ×4, first 2 shown]
	v_cmp_eq_u32_e32 vcc_lo, s39, v7
	v_cndmask_b32_e32 v7, v19, v18, vcc_lo
	v_cmp_eq_u32_e32 vcc_lo, s39, v22
	v_add_nc_u64_e32 v[18:19], 2, v[16:17]
	v_cndmask_b32_e32 v15, v23, v15, vcc_lo
	s_delay_alu instid0(VALU_DEP_4) | instskip(NEXT) | instid1(VALU_DEP_2)
	v_cmp_ne_u32_e32 vcc_lo, 0, v7
	v_cmp_ne_u32_e64 s3, 0, v15
	s_delay_alu instid0(VALU_DEP_4) | instskip(NEXT) | instid1(VALU_DEP_1)
	v_dual_cndmask_b32 v7, v21, v19, vcc_lo :: v_dual_cndmask_b32 v15, v20, v18, vcc_lo
	v_dual_cndmask_b32 v7, v17, v7, s3 :: v_dual_bitop2_b32 v14, s36, v14 bitop3:0x14
	s_delay_alu instid0(VALU_DEP_1) | instskip(NEXT) | instid1(VALU_DEP_2)
	v_dual_cndmask_b32 v16, v16, v15, s3 :: v_dual_mov_b32 v15, v14
	v_xor_b32_e32 v17, v7, v14
	s_delay_alu instid0(VALU_DEP_2) | instskip(NEXT) | instid1(VALU_DEP_1)
	v_xor_b32_e32 v16, v16, v14
	v_sub_nc_u64_e32 v[14:15], v[16:17], v[14:15]
.LBB38_19:                              ;   in Loop: Header=BB38_17 Depth=2
	s_and_not1_saveexec_b32 s3, s43
	s_cbranch_execz .LBB38_21
; %bb.20:                               ;   in Loop: Header=BB38_17 Depth=2
	v_cvt_f32_u32_e32 v7, s34
	s_sub_co_i32 s16, 0, s34
	s_delay_alu instid0(VALU_DEP_1) | instskip(SKIP_1) | instid1(TRANS32_DEP_1)
	v_rcp_iflag_f32_e32 v7, v7
	v_nop
	v_mul_f32_e32 v7, 0x4f7ffffe, v7
	s_delay_alu instid0(VALU_DEP_1) | instskip(NEXT) | instid1(VALU_DEP_1)
	v_cvt_u32_f32_e32 v7, v7
	v_mul_lo_u32 v14, s16, v7
	s_delay_alu instid0(VALU_DEP_1) | instskip(NEXT) | instid1(VALU_DEP_1)
	v_mul_hi_u32 v14, v7, v14
	v_add_nc_u32_e32 v7, v7, v14
	s_delay_alu instid0(VALU_DEP_1) | instskip(NEXT) | instid1(VALU_DEP_1)
	v_mul_hi_u32 v7, v12, v7
	v_mul_lo_u32 v14, v7, s34
	s_delay_alu instid0(VALU_DEP_1) | instskip(NEXT) | instid1(VALU_DEP_1)
	v_dual_add_nc_u32 v15, 1, v7 :: v_dual_sub_nc_u32 v14, v12, v14
	v_subrev_nc_u32_e32 v16, s34, v14
	v_cmp_le_u32_e32 vcc_lo, s34, v14
	s_delay_alu instid0(VALU_DEP_2) | instskip(NEXT) | instid1(VALU_DEP_1)
	v_dual_cndmask_b32 v14, v14, v16 :: v_dual_cndmask_b32 v7, v7, v15
	v_cmp_le_u32_e32 vcc_lo, s34, v14
	s_delay_alu instid0(VALU_DEP_2) | instskip(NEXT) | instid1(VALU_DEP_1)
	v_add_nc_u32_e32 v15, 1, v7
	v_dual_cndmask_b32 v14, v7, v15 :: v_dual_mov_b32 v15, v6
.LBB38_21:                              ;   in Loop: Header=BB38_17 Depth=2
	s_or_b32 exec_lo, exec_lo, s3
	s_delay_alu instid0(VALU_DEP_1)
	v_mul_u64_e32 v[16:17], s[34:35], v[14:15]
	s_load_b64 s[34:35], s[30:31], 0xc8
	s_add_co_i32 s29, s29, -1
	s_wait_xcnt 0x0
	s_add_nc_u64 s[30:31], s[30:31], -8
	s_cmp_gt_u32 s29, 2
	s_delay_alu instid0(VALU_DEP_1) | instskip(SKIP_1) | instid1(VALU_DEP_1)
	v_sub_nc_u64_e32 v[12:13], v[12:13], v[16:17]
	s_wait_kmcnt 0x0
	v_mad_nc_u64_u32 v[10:11], s34, v12, v[10:11]
	s_delay_alu instid0(VALU_DEP_1) | instskip(NEXT) | instid1(VALU_DEP_1)
	v_mad_u32 v7, s35, v12, v11
	v_mad_u32 v11, s34, v13, v7
	s_cbranch_scc0 .LBB38_23
; %bb.22:                               ;   in Loop: Header=BB38_17 Depth=2
	v_mov_b64_e32 v[12:13], v[14:15]
	s_branch .LBB38_17
.LBB38_23:                              ;   in Loop: Header=BB38_16 Depth=1
	s_delay_alu instid0(VALU_DEP_1) | instskip(NEXT) | instid1(VALU_DEP_1)
	v_mul_u64_e32 v[12:13], s[18:19], v[14:15]
	v_lshl_add_u64 v[12:13], v[12:13], 3, s[20:21]
	s_delay_alu instid0(VALU_DEP_1)
	v_lshl_add_u64 v[10:11], v[10:11], 3, v[12:13]
	global_load_b64 v[10:11], v[10:11], off
	s_wait_loadcnt 0x0
	v_cmp_le_i64_e32 vcc_lo, s[6:7], v[10:11]
	v_cmp_ge_i64_e64 s3, s[8:9], v[10:11]
	s_and_b32 s3, vcc_lo, s3
	s_wait_xcnt 0x0
	s_and_saveexec_b32 s34, s3
	s_cbranch_execz .LBB38_15
; %bb.24:                               ;   in Loop: Header=BB38_16 Depth=1
	v_sub_nc_u64_e64 v[10:11], v[10:11], s[6:7]
                                        ; implicit-def: $vgpr12_vgpr13
	s_mov_b32 s3, exec_lo
	s_delay_alu instid0(VALU_DEP_1) | instskip(NEXT) | instid1(VALU_DEP_1)
	v_mul_u64_e32 v[10:11], s[4:5], v[10:11]
	v_or_b32_e32 v7, s23, v11
	s_delay_alu instid0(VALU_DEP_1)
	v_cmpx_ne_u64_e32 0, v[6:7]
	s_xor_b32 s35, exec_lo, s3
	s_cbranch_execz .LBB38_26
; %bb.25:                               ;   in Loop: Header=BB38_16 Depth=1
	s_mov_b32 s29, s28
	v_dual_mov_b32 v15, v6 :: v_dual_ashrrev_i32 v12, 31, v11
	s_add_nc_u64 s[30:31], s[22:23], s[28:29]
	v_mov_b32_e32 v23, v6
	s_xor_b64 s[30:31], s[30:31], s[28:29]
	s_delay_alu instid0(VALU_DEP_2) | instskip(SKIP_3) | instid1(VALU_DEP_1)
	v_mov_b32_e32 v13, v12
	s_cvt_f32_u32 s3, s30
	s_cvt_f32_u32 s16, s31
	s_sub_nc_u64 s[38:39], 0, s[30:31]
	v_add_nc_u64_e32 v[10:11], v[10:11], v[12:13]
	s_delay_alu instid0(SALU_CYCLE_1) | instskip(SKIP_1) | instid1(SALU_CYCLE_2)
	s_fmamk_f32 s3, s16, 0x4f800000, s3
	v_mov_b32_e32 v19, v6
	v_s_rcp_f32 s3, s3
	s_delay_alu instid0(VALU_DEP_2) | instskip(NEXT) | instid1(VALU_DEP_3)
	v_xor_b32_e32 v14, v10, v12
	v_xor_b32_e32 v18, v11, v12
	s_delay_alu instid0(TRANS32_DEP_1) | instskip(NEXT) | instid1(SALU_CYCLE_3)
	s_mul_f32 s3, s3, 0x5f7ffffc
	s_mul_f32 s16, s3, 0x2f800000
	s_delay_alu instid0(SALU_CYCLE_3) | instskip(NEXT) | instid1(SALU_CYCLE_3)
	s_trunc_f32 s16, s16
	s_fmamk_f32 s3, s16, 0xcf800000, s3
	s_cvt_u32_f32 s37, s16
	s_delay_alu instid0(SALU_CYCLE_2) | instskip(NEXT) | instid1(SALU_CYCLE_3)
	s_cvt_u32_f32 s36, s3
	s_mul_u64 s[44:45], s[38:39], s[36:37]
	s_delay_alu instid0(SALU_CYCLE_1)
	s_mul_hi_u32 s47, s36, s45
	s_mul_i32 s46, s36, s45
	s_mul_hi_u32 s16, s36, s44
	s_mul_i32 s29, s37, s44
	s_add_nc_u64 s[46:47], s[16:17], s[46:47]
	s_mul_hi_u32 s3, s37, s44
	s_mul_hi_u32 s43, s37, s45
	s_add_co_u32 s16, s46, s29
	s_add_co_ci_u32 s16, s47, s3
	s_mul_i32 s44, s37, s45
	s_add_co_ci_u32 s45, s43, 0
	s_delay_alu instid0(SALU_CYCLE_1) | instskip(NEXT) | instid1(SALU_CYCLE_1)
	s_add_nc_u64 s[44:45], s[16:17], s[44:45]
	s_add_co_u32 s36, s36, s44
	s_cselect_b32 s3, -1, 0
	s_delay_alu instid0(SALU_CYCLE_1) | instskip(SKIP_1) | instid1(SALU_CYCLE_1)
	s_cmp_lg_u32 s3, 0
	s_add_co_ci_u32 s37, s37, s45
	s_mul_u64 s[38:39], s[38:39], s[36:37]
	s_delay_alu instid0(SALU_CYCLE_1)
	s_mul_hi_u32 s45, s36, s39
	s_mul_i32 s44, s36, s39
	s_mul_hi_u32 s16, s36, s38
	s_mul_i32 s29, s37, s38
	s_add_nc_u64 s[44:45], s[16:17], s[44:45]
	s_mul_hi_u32 s3, s37, s38
	s_mul_hi_u32 s43, s37, s39
	s_add_co_u32 s16, s44, s29
	s_add_co_ci_u32 s16, s45, s3
	s_mul_i32 s38, s37, s39
	s_add_co_ci_u32 s39, s43, 0
	s_delay_alu instid0(SALU_CYCLE_1) | instskip(NEXT) | instid1(SALU_CYCLE_1)
	s_add_nc_u64 s[38:39], s[16:17], s[38:39]
	s_add_co_u32 s36, s36, s38
	s_cselect_b32 s3, -1, 0
	v_mul_hi_u32 v22, v14, s36
	s_cmp_lg_u32 s3, 0
	s_add_co_ci_u32 s16, s37, s39
	s_and_b64 s[38:39], s[36:37], s[24:25]
	v_mul_u64_e32 v[16:17], s[16:17], v[14:15]
	v_mul_u64_e32 v[10:11], s[38:39], v[18:19]
	;; [unrolled: 1-line block ×3, first 2 shown]
	s_delay_alu instid0(VALU_DEP_3) | instskip(NEXT) | instid1(VALU_DEP_1)
	v_add_nc_u64_e32 v[16:17], v[22:23], v[16:17]
	v_add_co_u32 v7, vcc_lo, v16, v10
	s_delay_alu instid0(VALU_DEP_2) | instskip(NEXT) | instid1(VALU_DEP_4)
	v_add_co_ci_u32_e32 v22, vcc_lo, v17, v11, vcc_lo
	v_add_co_ci_u32_e32 v21, vcc_lo, 0, v21, vcc_lo
	s_delay_alu instid0(VALU_DEP_1) | instskip(NEXT) | instid1(VALU_DEP_1)
	v_add_nc_u64_e32 v[10:11], v[22:23], v[20:21]
	v_mul_u64_e32 v[16:17], s[30:31], v[10:11]
	s_delay_alu instid0(VALU_DEP_1) | instskip(NEXT) | instid1(VALU_DEP_2)
	v_sub_nc_u32_e32 v7, v18, v17
	v_sub_co_u32 v13, vcc_lo, v14, v16
	s_delay_alu instid0(VALU_DEP_1) | instskip(NEXT) | instid1(VALU_DEP_3)
	v_sub_co_ci_u32_e64 v18, null, v18, v17, vcc_lo
	v_subrev_co_ci_u32_e64 v7, null, s31, v7, vcc_lo
	s_delay_alu instid0(VALU_DEP_3) | instskip(SKIP_1) | instid1(VALU_DEP_3)
	v_sub_co_u32 v14, s3, v13, s30
	v_add_nc_u64_e32 v[16:17], 1, v[10:11]
	v_subrev_co_ci_u32_e64 v7, null, 0, v7, s3
	s_delay_alu instid0(VALU_DEP_3) | instskip(SKIP_1) | instid1(VALU_DEP_3)
	v_cmp_le_u32_e32 vcc_lo, s30, v14
	v_cndmask_b32_e64 v14, 0, -1, vcc_lo
	v_cmp_le_u32_e32 vcc_lo, s31, v7
	v_cndmask_b32_e64 v15, 0, -1, vcc_lo
	;; [unrolled: 2-line block ×4, first 2 shown]
	v_cmp_eq_u32_e32 vcc_lo, s31, v7
	v_cndmask_b32_e32 v7, v15, v14, vcc_lo
	v_cmp_eq_u32_e32 vcc_lo, s31, v18
	v_add_nc_u64_e32 v[14:15], 2, v[10:11]
	v_cndmask_b32_e32 v13, v19, v13, vcc_lo
	s_delay_alu instid0(VALU_DEP_4) | instskip(NEXT) | instid1(VALU_DEP_3)
	v_cmp_ne_u32_e32 vcc_lo, 0, v7
	v_cndmask_b32_e32 v7, v17, v15, vcc_lo
	s_delay_alu instid0(VALU_DEP_3) | instskip(SKIP_1) | instid1(VALU_DEP_1)
	v_cmp_ne_u32_e64 s3, 0, v13
	v_dual_cndmask_b32 v13, v16, v14, vcc_lo :: v_dual_bitop2_b32 v12, s28, v12 bitop3:0x14
	v_dual_cndmask_b32 v7, v11, v7, s3 :: v_dual_cndmask_b32 v10, v10, v13, s3
	s_delay_alu instid0(VALU_DEP_1) | instskip(NEXT) | instid1(VALU_DEP_2)
	v_dual_mov_b32 v13, v12 :: v_dual_bitop2_b32 v11, v7, v12 bitop3:0x14
	v_xor_b32_e32 v10, v10, v12
	s_delay_alu instid0(VALU_DEP_1)
	v_sub_nc_u64_e32 v[12:13], v[10:11], v[12:13]
                                        ; implicit-def: $vgpr10_vgpr11
.LBB38_26:                              ;   in Loop: Header=BB38_16 Depth=1
	s_and_not1_saveexec_b32 s3, s35
	s_cbranch_execz .LBB38_14
; %bb.27:                               ;   in Loop: Header=BB38_16 Depth=1
	v_cvt_f32_u32_e32 v7, s22
	s_sub_co_i32 s16, 0, s22
	s_delay_alu instid0(VALU_DEP_1) | instskip(SKIP_1) | instid1(TRANS32_DEP_1)
	v_rcp_iflag_f32_e32 v7, v7
	v_nop
	v_mul_f32_e32 v7, 0x4f7ffffe, v7
	s_delay_alu instid0(VALU_DEP_1) | instskip(NEXT) | instid1(VALU_DEP_1)
	v_cvt_u32_f32_e32 v7, v7
	v_mul_lo_u32 v11, s16, v7
	s_delay_alu instid0(VALU_DEP_1) | instskip(NEXT) | instid1(VALU_DEP_1)
	v_mul_hi_u32 v11, v7, v11
	v_add_nc_u32_e32 v7, v7, v11
	s_delay_alu instid0(VALU_DEP_1) | instskip(NEXT) | instid1(VALU_DEP_1)
	v_mul_hi_u32 v7, v10, v7
	v_mul_lo_u32 v11, v7, s22
	s_delay_alu instid0(VALU_DEP_1) | instskip(SKIP_1) | instid1(VALU_DEP_2)
	v_sub_nc_u32_e32 v10, v10, v11
	v_add_nc_u32_e32 v11, 1, v7
	v_subrev_nc_u32_e32 v12, s22, v10
	v_cmp_le_u32_e32 vcc_lo, s22, v10
	s_delay_alu instid0(VALU_DEP_2) | instskip(NEXT) | instid1(VALU_DEP_1)
	v_dual_cndmask_b32 v10, v10, v12 :: v_dual_cndmask_b32 v7, v7, v11
	v_cmp_le_u32_e32 vcc_lo, s22, v10
	s_delay_alu instid0(VALU_DEP_2) | instskip(NEXT) | instid1(VALU_DEP_1)
	v_add_nc_u32_e32 v11, 1, v7
	v_cndmask_b32_e32 v12, v7, v11, vcc_lo
	s_branch .LBB38_14
.LBB38_28:
	s_or_b32 exec_lo, exec_lo, s33
	s_load_b64 s[0:1], s[0:1], 0xd0
; %bb.29:
	s_wait_dscnt 0x0
	s_barrier_signal -1
	s_barrier_wait -1
	s_and_saveexec_b32 s3, s2
	s_cbranch_execz .LBB38_32
; %bb.30:
	v_dual_mov_b32 v3, 0 :: v_dual_lshlrev_b32 v9, 2, v2
	s_wait_kmcnt 0x0
	v_mul_u64_e32 v[4:5], s[0:1], v[0:1]
	v_lshl_add_u32 v8, v0, 2, 0
	s_delay_alu instid0(VALU_DEP_3) | instskip(SKIP_1) | instid1(VALU_DEP_3)
	v_mul_u64_e32 v[6:7], s[0:1], v[2:3]
	s_mov_b32 s0, 0
	v_lshl_add_u64 v[4:5], v[4:5], 2, s[12:13]
	s_delay_alu instid0(VALU_DEP_2)
	v_lshlrev_b64_e32 v[6:7], 2, v[6:7]
.LBB38_31:                              ; =>This Inner Loop Header: Depth=1
	ds_load_b32 v10, v8
	v_add_nc_u64_e32 v[0:1], v[0:1], v[2:3]
	v_add_nc_u32_e32 v8, v8, v9
	s_delay_alu instid0(VALU_DEP_2)
	v_cmp_le_i64_e32 vcc_lo, s[14:15], v[0:1]
	s_or_b32 s0, vcc_lo, s0
	s_wait_dscnt 0x0
	global_atomic_add_f32 v[4:5], v10, off scope:SCOPE_DEV
	s_wait_xcnt 0x0
	v_add_nc_u64_e32 v[4:5], v[4:5], v[6:7]
	s_and_not1_b32 exec_lo, exec_lo, s0
	s_cbranch_execnz .LBB38_31
.LBB38_32:
	s_endpgm
	.section	.rodata,"a",@progbits
	.p2align	6, 0x0
	.amdhsa_kernel _ZN2at4cuda17kernelHistogram1DIfllLi1ELi2ELin1ELNS0_23CUDAHistogramMemoryTypeE0EZNS0_21CUDA_tensor_histogramIflLb1EEEbNS_6TensorES4_S4_lNS_14AccumulateTypeIT0_Lb1EE4typeES8_NS0_13TensorArgTypeES9_S9_EUllE0_EEvNS0_6detail10TensorInfoIT_T1_EESF_NSC_IKS6_SE_EElS8_S8_SE_T6_
		.amdhsa_group_segment_fixed_size 0
		.amdhsa_private_segment_fixed_size 0
		.amdhsa_kernarg_size 1544
		.amdhsa_user_sgpr_count 2
		.amdhsa_user_sgpr_dispatch_ptr 0
		.amdhsa_user_sgpr_queue_ptr 0
		.amdhsa_user_sgpr_kernarg_segment_ptr 1
		.amdhsa_user_sgpr_dispatch_id 0
		.amdhsa_user_sgpr_kernarg_preload_length 0
		.amdhsa_user_sgpr_kernarg_preload_offset 0
		.amdhsa_user_sgpr_private_segment_size 0
		.amdhsa_wavefront_size32 1
		.amdhsa_uses_dynamic_stack 0
		.amdhsa_enable_private_segment 0
		.amdhsa_system_sgpr_workgroup_id_x 1
		.amdhsa_system_sgpr_workgroup_id_y 0
		.amdhsa_system_sgpr_workgroup_id_z 0
		.amdhsa_system_sgpr_workgroup_info 0
		.amdhsa_system_vgpr_workitem_id 0
		.amdhsa_next_free_vgpr 28
		.amdhsa_next_free_sgpr 53
		.amdhsa_named_barrier_count 0
		.amdhsa_reserve_vcc 1
		.amdhsa_float_round_mode_32 0
		.amdhsa_float_round_mode_16_64 0
		.amdhsa_float_denorm_mode_32 3
		.amdhsa_float_denorm_mode_16_64 3
		.amdhsa_fp16_overflow 0
		.amdhsa_memory_ordered 1
		.amdhsa_forward_progress 1
		.amdhsa_inst_pref_size 20
		.amdhsa_round_robin_scheduling 0
		.amdhsa_exception_fp_ieee_invalid_op 0
		.amdhsa_exception_fp_denorm_src 0
		.amdhsa_exception_fp_ieee_div_zero 0
		.amdhsa_exception_fp_ieee_overflow 0
		.amdhsa_exception_fp_ieee_underflow 0
		.amdhsa_exception_fp_ieee_inexact 0
		.amdhsa_exception_int_div_zero 0
	.end_amdhsa_kernel
	.section	.text._ZN2at4cuda17kernelHistogram1DIfllLi1ELi2ELin1ELNS0_23CUDAHistogramMemoryTypeE0EZNS0_21CUDA_tensor_histogramIflLb1EEEbNS_6TensorES4_S4_lNS_14AccumulateTypeIT0_Lb1EE4typeES8_NS0_13TensorArgTypeES9_S9_EUllE0_EEvNS0_6detail10TensorInfoIT_T1_EESF_NSC_IKS6_SE_EElS8_S8_SE_T6_,"axG",@progbits,_ZN2at4cuda17kernelHistogram1DIfllLi1ELi2ELin1ELNS0_23CUDAHistogramMemoryTypeE0EZNS0_21CUDA_tensor_histogramIflLb1EEEbNS_6TensorES4_S4_lNS_14AccumulateTypeIT0_Lb1EE4typeES8_NS0_13TensorArgTypeES9_S9_EUllE0_EEvNS0_6detail10TensorInfoIT_T1_EESF_NSC_IKS6_SE_EElS8_S8_SE_T6_,comdat
.Lfunc_end38:
	.size	_ZN2at4cuda17kernelHistogram1DIfllLi1ELi2ELin1ELNS0_23CUDAHistogramMemoryTypeE0EZNS0_21CUDA_tensor_histogramIflLb1EEEbNS_6TensorES4_S4_lNS_14AccumulateTypeIT0_Lb1EE4typeES8_NS0_13TensorArgTypeES9_S9_EUllE0_EEvNS0_6detail10TensorInfoIT_T1_EESF_NSC_IKS6_SE_EElS8_S8_SE_T6_, .Lfunc_end38-_ZN2at4cuda17kernelHistogram1DIfllLi1ELi2ELin1ELNS0_23CUDAHistogramMemoryTypeE0EZNS0_21CUDA_tensor_histogramIflLb1EEEbNS_6TensorES4_S4_lNS_14AccumulateTypeIT0_Lb1EE4typeES8_NS0_13TensorArgTypeES9_S9_EUllE0_EEvNS0_6detail10TensorInfoIT_T1_EESF_NSC_IKS6_SE_EElS8_S8_SE_T6_
                                        ; -- End function
	.set _ZN2at4cuda17kernelHistogram1DIfllLi1ELi2ELin1ELNS0_23CUDAHistogramMemoryTypeE0EZNS0_21CUDA_tensor_histogramIflLb1EEEbNS_6TensorES4_S4_lNS_14AccumulateTypeIT0_Lb1EE4typeES8_NS0_13TensorArgTypeES9_S9_EUllE0_EEvNS0_6detail10TensorInfoIT_T1_EESF_NSC_IKS6_SE_EElS8_S8_SE_T6_.num_vgpr, 28
	.set _ZN2at4cuda17kernelHistogram1DIfllLi1ELi2ELin1ELNS0_23CUDAHistogramMemoryTypeE0EZNS0_21CUDA_tensor_histogramIflLb1EEEbNS_6TensorES4_S4_lNS_14AccumulateTypeIT0_Lb1EE4typeES8_NS0_13TensorArgTypeES9_S9_EUllE0_EEvNS0_6detail10TensorInfoIT_T1_EESF_NSC_IKS6_SE_EElS8_S8_SE_T6_.num_agpr, 0
	.set _ZN2at4cuda17kernelHistogram1DIfllLi1ELi2ELin1ELNS0_23CUDAHistogramMemoryTypeE0EZNS0_21CUDA_tensor_histogramIflLb1EEEbNS_6TensorES4_S4_lNS_14AccumulateTypeIT0_Lb1EE4typeES8_NS0_13TensorArgTypeES9_S9_EUllE0_EEvNS0_6detail10TensorInfoIT_T1_EESF_NSC_IKS6_SE_EElS8_S8_SE_T6_.numbered_sgpr, 53
	.set _ZN2at4cuda17kernelHistogram1DIfllLi1ELi2ELin1ELNS0_23CUDAHistogramMemoryTypeE0EZNS0_21CUDA_tensor_histogramIflLb1EEEbNS_6TensorES4_S4_lNS_14AccumulateTypeIT0_Lb1EE4typeES8_NS0_13TensorArgTypeES9_S9_EUllE0_EEvNS0_6detail10TensorInfoIT_T1_EESF_NSC_IKS6_SE_EElS8_S8_SE_T6_.num_named_barrier, 0
	.set _ZN2at4cuda17kernelHistogram1DIfllLi1ELi2ELin1ELNS0_23CUDAHistogramMemoryTypeE0EZNS0_21CUDA_tensor_histogramIflLb1EEEbNS_6TensorES4_S4_lNS_14AccumulateTypeIT0_Lb1EE4typeES8_NS0_13TensorArgTypeES9_S9_EUllE0_EEvNS0_6detail10TensorInfoIT_T1_EESF_NSC_IKS6_SE_EElS8_S8_SE_T6_.private_seg_size, 0
	.set _ZN2at4cuda17kernelHistogram1DIfllLi1ELi2ELin1ELNS0_23CUDAHistogramMemoryTypeE0EZNS0_21CUDA_tensor_histogramIflLb1EEEbNS_6TensorES4_S4_lNS_14AccumulateTypeIT0_Lb1EE4typeES8_NS0_13TensorArgTypeES9_S9_EUllE0_EEvNS0_6detail10TensorInfoIT_T1_EESF_NSC_IKS6_SE_EElS8_S8_SE_T6_.uses_vcc, 1
	.set _ZN2at4cuda17kernelHistogram1DIfllLi1ELi2ELin1ELNS0_23CUDAHistogramMemoryTypeE0EZNS0_21CUDA_tensor_histogramIflLb1EEEbNS_6TensorES4_S4_lNS_14AccumulateTypeIT0_Lb1EE4typeES8_NS0_13TensorArgTypeES9_S9_EUllE0_EEvNS0_6detail10TensorInfoIT_T1_EESF_NSC_IKS6_SE_EElS8_S8_SE_T6_.uses_flat_scratch, 0
	.set _ZN2at4cuda17kernelHistogram1DIfllLi1ELi2ELin1ELNS0_23CUDAHistogramMemoryTypeE0EZNS0_21CUDA_tensor_histogramIflLb1EEEbNS_6TensorES4_S4_lNS_14AccumulateTypeIT0_Lb1EE4typeES8_NS0_13TensorArgTypeES9_S9_EUllE0_EEvNS0_6detail10TensorInfoIT_T1_EESF_NSC_IKS6_SE_EElS8_S8_SE_T6_.has_dyn_sized_stack, 0
	.set _ZN2at4cuda17kernelHistogram1DIfllLi1ELi2ELin1ELNS0_23CUDAHistogramMemoryTypeE0EZNS0_21CUDA_tensor_histogramIflLb1EEEbNS_6TensorES4_S4_lNS_14AccumulateTypeIT0_Lb1EE4typeES8_NS0_13TensorArgTypeES9_S9_EUllE0_EEvNS0_6detail10TensorInfoIT_T1_EESF_NSC_IKS6_SE_EElS8_S8_SE_T6_.has_recursion, 0
	.set _ZN2at4cuda17kernelHistogram1DIfllLi1ELi2ELin1ELNS0_23CUDAHistogramMemoryTypeE0EZNS0_21CUDA_tensor_histogramIflLb1EEEbNS_6TensorES4_S4_lNS_14AccumulateTypeIT0_Lb1EE4typeES8_NS0_13TensorArgTypeES9_S9_EUllE0_EEvNS0_6detail10TensorInfoIT_T1_EESF_NSC_IKS6_SE_EElS8_S8_SE_T6_.has_indirect_call, 0
	.section	.AMDGPU.csdata,"",@progbits
; Kernel info:
; codeLenInByte = 2476
; TotalNumSgprs: 55
; NumVgprs: 28
; ScratchSize: 0
; MemoryBound: 0
; FloatMode: 240
; IeeeMode: 1
; LDSByteSize: 0 bytes/workgroup (compile time only)
; SGPRBlocks: 0
; VGPRBlocks: 1
; NumSGPRsForWavesPerEU: 55
; NumVGPRsForWavesPerEU: 28
; NamedBarCnt: 0
; Occupancy: 16
; WaveLimiterHint : 1
; COMPUTE_PGM_RSRC2:SCRATCH_EN: 0
; COMPUTE_PGM_RSRC2:USER_SGPR: 2
; COMPUTE_PGM_RSRC2:TRAP_HANDLER: 0
; COMPUTE_PGM_RSRC2:TGID_X_EN: 1
; COMPUTE_PGM_RSRC2:TGID_Y_EN: 0
; COMPUTE_PGM_RSRC2:TGID_Z_EN: 0
; COMPUTE_PGM_RSRC2:TIDIG_COMP_CNT: 0
	.section	.text._ZN2at4cuda17kernelHistogram1DIfllLi1ELi2ELin1ELNS0_23CUDAHistogramMemoryTypeE1EZNS0_21CUDA_tensor_histogramIflLb1EEEbNS_6TensorES4_S4_lNS_14AccumulateTypeIT0_Lb1EE4typeES8_NS0_13TensorArgTypeES9_S9_EUllE0_EEvNS0_6detail10TensorInfoIT_T1_EESF_NSC_IKS6_SE_EElS8_S8_SE_T6_,"axG",@progbits,_ZN2at4cuda17kernelHistogram1DIfllLi1ELi2ELin1ELNS0_23CUDAHistogramMemoryTypeE1EZNS0_21CUDA_tensor_histogramIflLb1EEEbNS_6TensorES4_S4_lNS_14AccumulateTypeIT0_Lb1EE4typeES8_NS0_13TensorArgTypeES9_S9_EUllE0_EEvNS0_6detail10TensorInfoIT_T1_EESF_NSC_IKS6_SE_EElS8_S8_SE_T6_,comdat
	.protected	_ZN2at4cuda17kernelHistogram1DIfllLi1ELi2ELin1ELNS0_23CUDAHistogramMemoryTypeE1EZNS0_21CUDA_tensor_histogramIflLb1EEEbNS_6TensorES4_S4_lNS_14AccumulateTypeIT0_Lb1EE4typeES8_NS0_13TensorArgTypeES9_S9_EUllE0_EEvNS0_6detail10TensorInfoIT_T1_EESF_NSC_IKS6_SE_EElS8_S8_SE_T6_ ; -- Begin function _ZN2at4cuda17kernelHistogram1DIfllLi1ELi2ELin1ELNS0_23CUDAHistogramMemoryTypeE1EZNS0_21CUDA_tensor_histogramIflLb1EEEbNS_6TensorES4_S4_lNS_14AccumulateTypeIT0_Lb1EE4typeES8_NS0_13TensorArgTypeES9_S9_EUllE0_EEvNS0_6detail10TensorInfoIT_T1_EESF_NSC_IKS6_SE_EElS8_S8_SE_T6_
	.globl	_ZN2at4cuda17kernelHistogram1DIfllLi1ELi2ELin1ELNS0_23CUDAHistogramMemoryTypeE1EZNS0_21CUDA_tensor_histogramIflLb1EEEbNS_6TensorES4_S4_lNS_14AccumulateTypeIT0_Lb1EE4typeES8_NS0_13TensorArgTypeES9_S9_EUllE0_EEvNS0_6detail10TensorInfoIT_T1_EESF_NSC_IKS6_SE_EElS8_S8_SE_T6_
	.p2align	8
	.type	_ZN2at4cuda17kernelHistogram1DIfllLi1ELi2ELin1ELNS0_23CUDAHistogramMemoryTypeE1EZNS0_21CUDA_tensor_histogramIflLb1EEEbNS_6TensorES4_S4_lNS_14AccumulateTypeIT0_Lb1EE4typeES8_NS0_13TensorArgTypeES9_S9_EUllE0_EEvNS0_6detail10TensorInfoIT_T1_EESF_NSC_IKS6_SE_EElS8_S8_SE_T6_,@function
_ZN2at4cuda17kernelHistogram1DIfllLi1ELi2ELin1ELNS0_23CUDAHistogramMemoryTypeE1EZNS0_21CUDA_tensor_histogramIflLb1EEEbNS_6TensorES4_S4_lNS_14AccumulateTypeIT0_Lb1EE4typeES8_NS0_13TensorArgTypeES9_S9_EUllE0_EEvNS0_6detail10TensorInfoIT_T1_EESF_NSC_IKS6_SE_EElS8_S8_SE_T6_: ; @_ZN2at4cuda17kernelHistogram1DIfllLi1ELi2ELin1ELNS0_23CUDAHistogramMemoryTypeE1EZNS0_21CUDA_tensor_histogramIflLb1EEEbNS_6TensorES4_S4_lNS_14AccumulateTypeIT0_Lb1EE4typeES8_NS0_13TensorArgTypeES9_S9_EUllE0_EEvNS0_6detail10TensorInfoIT_T1_EESF_NSC_IKS6_SE_EElS8_S8_SE_T6_
; %bb.0:
	s_load_b32 s2, s[0:1], 0x514
	s_bfe_u32 s12, ttmp6, 0x4000c
	s_load_b256 s[4:11], s[0:1], 0x4e0
	s_add_co_i32 s12, s12, 1
	s_and_b32 s3, ttmp6, 15
	s_mul_i32 s12, ttmp9, s12
	s_getreg_b32 s13, hwreg(HW_REG_IB_STS2, 6, 4)
	s_add_co_i32 s3, s3, s12
	v_mov_b32_e32 v2, 0
	s_mov_b32 s12, exec_lo
	s_delay_alu instid0(VALU_DEP_1) | instskip(SKIP_4) | instid1(SALU_CYCLE_1)
	v_mov_b32_e32 v1, v2
	s_wait_kmcnt 0x0
	s_and_b32 s2, s2, 0xffff
	s_cmp_eq_u32 s13, 0
	s_cselect_b32 s3, ttmp9, s3
	v_mad_u32 v0, s3, s2, v0
	s_mov_b32 s3, 0
	s_delay_alu instid0(VALU_DEP_1)
	v_cmpx_gt_i64_e64 s[10:11], v[0:1]
	s_cbranch_execz .LBB39_16
; %bb.1:
	s_load_b32 s28, s[0:1], 0x4d8
	s_add_nc_u64 s[20:21], s[0:1], 0x508
	s_load_b32 s22, s[20:21], 0x0
	s_clause 0x3
	s_load_b64 s[12:13], s[0:1], 0x0
	s_load_b64 s[14:15], s[0:1], 0xd0
	;; [unrolled: 1-line block ×4, first 2 shown]
	s_add_nc_u64 s[26:27], s[0:1], 0x340
	v_mov_b32_e32 v10, 1.0
	s_wait_xcnt 0x0
	s_sub_nc_u64 s[20:21], s[8:9], s[6:7]
	s_mov_b32 s23, s3
	s_mov_b64 s[24:25], 0xffffffff
	s_mov_b32 s40, 0
	s_wait_kmcnt 0x0
	s_mul_i32 s22, s22, s2
	s_cmp_gt_i32 s28, 1
	s_cselect_b32 s1, -1, 0
	s_add_co_i32 s2, s28, -1
	s_add_co_i32 s33, s28, 1
	s_lshl_b64 s[28:29], s[2:3], 3
	s_delay_alu instid0(SALU_CYCLE_1)
	s_add_nc_u64 s[28:29], s[26:27], s[28:29]
	s_ashr_i32 s26, s21, 31
	s_add_nc_u64 s[28:29], s[28:29], 8
	s_branch .LBB39_4
.LBB39_2:                               ;   in Loop: Header=BB39_4 Depth=1
	s_or_b32 exec_lo, exec_lo, s0
	s_delay_alu instid0(VALU_DEP_1) | instskip(NEXT) | instid1(VALU_DEP_1)
	v_dual_ashrrev_i32 v7, 31, v6 :: v_dual_mov_b32 v5, s3
	v_cmp_eq_u64_e32 vcc_lo, s[4:5], v[6:7]
	v_cndmask_b32_e64 v4, 0, 1, vcc_lo
	s_delay_alu instid0(VALU_DEP_1) | instskip(NEXT) | instid1(VALU_DEP_1)
	v_sub_nc_u64_e32 v[4:5], v[6:7], v[4:5]
	v_mul_u64_e32 v[4:5], s[14:15], v[4:5]
	s_delay_alu instid0(VALU_DEP_1)
	v_lshl_add_u64 v[4:5], v[4:5], 2, s[12:13]
	global_atomic_add_f32 v[4:5], v10, off scope:SCOPE_DEV
.LBB39_3:                               ;   in Loop: Header=BB39_4 Depth=1
	s_wait_xcnt 0x0
	s_or_b32 exec_lo, exec_lo, s34
	v_add_nc_u64_e32 v[0:1], s[22:23], v[0:1]
	s_delay_alu instid0(VALU_DEP_1) | instskip(SKIP_1) | instid1(SALU_CYCLE_1)
	v_cmp_le_i64_e32 vcc_lo, s[10:11], v[0:1]
	s_or_b32 s40, vcc_lo, s40
	s_and_not1_b32 exec_lo, exec_lo, s40
	s_cbranch_execz .LBB39_16
.LBB39_4:                               ; =>This Loop Header: Depth=1
                                        ;     Child Loop BB39_5 Depth 2
	v_mov_b64_e32 v[4:5], 0
	v_mov_b64_e32 v[6:7], v[0:1]
	;; [unrolled: 1-line block ×3, first 2 shown]
	s_and_not1_b32 vcc_lo, exec_lo, s1
	s_mov_b64 s[30:31], s[28:29]
	s_mov_b32 s27, s33
	s_cbranch_vccnz .LBB39_11
.LBB39_5:                               ;   Parent Loop BB39_4 Depth=1
                                        ; =>  This Inner Loop Header: Depth=2
	s_load_b64 s[34:35], s[30:31], 0x0
                                        ; implicit-def: $vgpr8_vgpr9
	s_mov_b32 s0, exec_lo
	s_wait_kmcnt 0x0
	s_delay_alu instid0(VALU_DEP_1) | instskip(NEXT) | instid1(VALU_DEP_1)
	v_or_b32_e32 v3, s35, v7
	v_cmpx_ne_u64_e32 0, v[2:3]
	s_xor_b32 s41, exec_lo, s0
	s_cbranch_execz .LBB39_7
; %bb.6:                                ;   in Loop: Header=BB39_5 Depth=2
	s_ashr_i32 s36, s35, 31
	v_dual_mov_b32 v15, v2 :: v_dual_ashrrev_i32 v8, 31, v7
	s_mov_b32 s37, s36
	v_mov_b32_e32 v19, v2
	s_add_nc_u64 s[38:39], s[34:35], s[36:37]
	s_delay_alu instid0(VALU_DEP_2)
	v_mov_b32_e32 v9, v8
	s_xor_b64 s[38:39], s[38:39], s[36:37]
	v_mov_b32_e32 v23, v2
	s_cvt_f32_u32 s0, s38
	s_cvt_f32_u32 s2, s39
	s_sub_nc_u64 s[44:45], 0, s[38:39]
	v_add_nc_u64_e32 v[12:13], v[6:7], v[8:9]
	s_delay_alu instid0(SALU_CYCLE_1) | instskip(NEXT) | instid1(SALU_CYCLE_3)
	s_fmamk_f32 s0, s2, 0x4f800000, s0
	v_s_rcp_f32 s0, s0
	s_delay_alu instid0(VALU_DEP_1) | instskip(NEXT) | instid1(VALU_DEP_2)
	v_xor_b32_e32 v14, v12, v8
	v_xor_b32_e32 v18, v13, v8
	s_delay_alu instid0(TRANS32_DEP_1) | instskip(NEXT) | instid1(SALU_CYCLE_3)
	s_mul_f32 s0, s0, 0x5f7ffffc
	s_mul_f32 s2, s0, 0x2f800000
	s_delay_alu instid0(SALU_CYCLE_3) | instskip(NEXT) | instid1(SALU_CYCLE_3)
	s_trunc_f32 s2, s2
	s_fmamk_f32 s0, s2, 0xcf800000, s0
	s_cvt_u32_f32 s43, s2
	s_delay_alu instid0(SALU_CYCLE_2) | instskip(NEXT) | instid1(SALU_CYCLE_3)
	s_cvt_u32_f32 s42, s0
	s_mul_u64 s[46:47], s[44:45], s[42:43]
	s_delay_alu instid0(SALU_CYCLE_1)
	s_mul_hi_u32 s49, s42, s47
	s_mul_i32 s48, s42, s47
	s_mul_hi_u32 s2, s42, s46
	s_mul_i32 s37, s43, s46
	s_add_nc_u64 s[48:49], s[2:3], s[48:49]
	s_mul_hi_u32 s0, s43, s46
	s_mul_hi_u32 s50, s43, s47
	s_add_co_u32 s2, s48, s37
	s_add_co_ci_u32 s2, s49, s0
	s_mul_i32 s46, s43, s47
	s_add_co_ci_u32 s47, s50, 0
	s_delay_alu instid0(SALU_CYCLE_1) | instskip(NEXT) | instid1(SALU_CYCLE_1)
	s_add_nc_u64 s[46:47], s[2:3], s[46:47]
	s_add_co_u32 s42, s42, s46
	s_cselect_b32 s0, -1, 0
	s_delay_alu instid0(SALU_CYCLE_1) | instskip(SKIP_1) | instid1(SALU_CYCLE_1)
	s_cmp_lg_u32 s0, 0
	s_add_co_ci_u32 s43, s43, s47
	s_mul_u64 s[44:45], s[44:45], s[42:43]
	s_delay_alu instid0(SALU_CYCLE_1)
	s_mul_hi_u32 s47, s42, s45
	s_mul_i32 s46, s42, s45
	s_mul_hi_u32 s2, s42, s44
	s_mul_i32 s37, s43, s44
	s_add_nc_u64 s[46:47], s[2:3], s[46:47]
	s_mul_hi_u32 s0, s43, s44
	s_mul_hi_u32 s48, s43, s45
	s_add_co_u32 s2, s46, s37
	s_add_co_ci_u32 s2, s47, s0
	s_mul_i32 s44, s43, s45
	s_add_co_ci_u32 s45, s48, 0
	s_delay_alu instid0(SALU_CYCLE_1) | instskip(NEXT) | instid1(SALU_CYCLE_1)
	s_add_nc_u64 s[44:45], s[2:3], s[44:45]
	s_add_co_u32 s0, s42, s44
	s_cselect_b32 s2, -1, 0
	v_mul_hi_u32 v22, v14, s0
	s_cmp_lg_u32 s2, 0
	s_add_co_ci_u32 s2, s43, s45
	s_and_b64 s[42:43], s[0:1], s[24:25]
	v_mul_u64_e32 v[16:17], s[2:3], v[14:15]
	v_mul_u64_e32 v[12:13], s[42:43], v[18:19]
	;; [unrolled: 1-line block ×3, first 2 shown]
	s_delay_alu instid0(VALU_DEP_3) | instskip(NEXT) | instid1(VALU_DEP_1)
	v_add_nc_u64_e32 v[16:17], v[22:23], v[16:17]
	v_add_co_u32 v3, vcc_lo, v16, v12
	s_delay_alu instid0(VALU_DEP_2) | instskip(NEXT) | instid1(VALU_DEP_4)
	v_add_co_ci_u32_e32 v22, vcc_lo, v17, v13, vcc_lo
	v_add_co_ci_u32_e32 v21, vcc_lo, 0, v21, vcc_lo
	s_delay_alu instid0(VALU_DEP_1) | instskip(NEXT) | instid1(VALU_DEP_1)
	v_add_nc_u64_e32 v[12:13], v[22:23], v[20:21]
	v_mul_u64_e32 v[16:17], s[38:39], v[12:13]
	s_delay_alu instid0(VALU_DEP_1) | instskip(NEXT) | instid1(VALU_DEP_2)
	v_sub_nc_u32_e32 v3, v18, v17
	v_sub_co_u32 v9, vcc_lo, v14, v16
	s_delay_alu instid0(VALU_DEP_1) | instskip(NEXT) | instid1(VALU_DEP_3)
	v_sub_co_ci_u32_e64 v18, null, v18, v17, vcc_lo
	v_subrev_co_ci_u32_e64 v3, null, s39, v3, vcc_lo
	s_delay_alu instid0(VALU_DEP_3) | instskip(SKIP_1) | instid1(VALU_DEP_3)
	v_sub_co_u32 v11, s0, v9, s38
	v_add_nc_u64_e32 v[16:17], 1, v[12:13]
	v_subrev_co_ci_u32_e64 v3, null, 0, v3, s0
	s_delay_alu instid0(VALU_DEP_3) | instskip(SKIP_1) | instid1(VALU_DEP_3)
	v_cmp_le_u32_e32 vcc_lo, s38, v11
	v_cndmask_b32_e64 v11, 0, -1, vcc_lo
	v_cmp_le_u32_e32 vcc_lo, s39, v3
	v_cndmask_b32_e64 v14, 0, -1, vcc_lo
	v_cmp_le_u32_e32 vcc_lo, s38, v9
	v_cndmask_b32_e64 v9, 0, -1, vcc_lo
	v_cmp_le_u32_e32 vcc_lo, s39, v18
	v_cndmask_b32_e64 v19, 0, -1, vcc_lo
	v_cmp_eq_u32_e32 vcc_lo, s39, v3
	v_cndmask_b32_e32 v3, v14, v11, vcc_lo
	v_cmp_eq_u32_e32 vcc_lo, s39, v18
	v_add_nc_u64_e32 v[14:15], 2, v[12:13]
	v_cndmask_b32_e32 v9, v19, v9, vcc_lo
	s_delay_alu instid0(VALU_DEP_4) | instskip(NEXT) | instid1(VALU_DEP_3)
	v_cmp_ne_u32_e32 vcc_lo, 0, v3
	v_cndmask_b32_e32 v3, v17, v15, vcc_lo
	s_delay_alu instid0(VALU_DEP_3) | instskip(SKIP_1) | instid1(VALU_DEP_1)
	v_cmp_ne_u32_e64 s0, 0, v9
	v_dual_cndmask_b32 v9, v16, v14, vcc_lo :: v_dual_bitop2_b32 v8, s36, v8 bitop3:0x14
	v_dual_cndmask_b32 v3, v13, v3, s0 :: v_dual_cndmask_b32 v11, v12, v9, s0
	s_delay_alu instid0(VALU_DEP_1) | instskip(NEXT) | instid1(VALU_DEP_2)
	v_dual_mov_b32 v9, v8 :: v_dual_bitop2_b32 v13, v3, v8 bitop3:0x14
	v_xor_b32_e32 v12, v11, v8
	s_delay_alu instid0(VALU_DEP_1)
	v_sub_nc_u64_e32 v[8:9], v[12:13], v[8:9]
.LBB39_7:                               ;   in Loop: Header=BB39_5 Depth=2
	s_and_not1_saveexec_b32 s0, s41
	s_cbranch_execz .LBB39_9
; %bb.8:                                ;   in Loop: Header=BB39_5 Depth=2
	v_cvt_f32_u32_e32 v3, s34
	s_sub_co_i32 s2, 0, s34
	s_delay_alu instid0(VALU_DEP_1) | instskip(SKIP_1) | instid1(TRANS32_DEP_1)
	v_rcp_iflag_f32_e32 v3, v3
	v_nop
	v_mul_f32_e32 v3, 0x4f7ffffe, v3
	s_delay_alu instid0(VALU_DEP_1) | instskip(NEXT) | instid1(VALU_DEP_1)
	v_cvt_u32_f32_e32 v3, v3
	v_mul_lo_u32 v8, s2, v3
	s_delay_alu instid0(VALU_DEP_1) | instskip(NEXT) | instid1(VALU_DEP_1)
	v_mul_hi_u32 v8, v3, v8
	v_add_nc_u32_e32 v3, v3, v8
	s_delay_alu instid0(VALU_DEP_1) | instskip(NEXT) | instid1(VALU_DEP_1)
	v_mul_hi_u32 v3, v6, v3
	v_mul_lo_u32 v8, v3, s34
	s_delay_alu instid0(VALU_DEP_1) | instskip(NEXT) | instid1(VALU_DEP_1)
	v_dual_add_nc_u32 v9, 1, v3 :: v_dual_sub_nc_u32 v8, v6, v8
	v_subrev_nc_u32_e32 v11, s34, v8
	v_cmp_le_u32_e32 vcc_lo, s34, v8
	s_delay_alu instid0(VALU_DEP_2) | instskip(NEXT) | instid1(VALU_DEP_1)
	v_dual_cndmask_b32 v8, v8, v11 :: v_dual_cndmask_b32 v3, v3, v9
	v_cmp_le_u32_e32 vcc_lo, s34, v8
	s_delay_alu instid0(VALU_DEP_2) | instskip(NEXT) | instid1(VALU_DEP_1)
	v_add_nc_u32_e32 v9, 1, v3
	v_dual_cndmask_b32 v8, v3, v9 :: v_dual_mov_b32 v9, v2
.LBB39_9:                               ;   in Loop: Header=BB39_5 Depth=2
	s_or_b32 exec_lo, exec_lo, s0
	s_delay_alu instid0(VALU_DEP_1)
	v_mul_u64_e32 v[12:13], s[34:35], v[8:9]
	s_load_b64 s[34:35], s[30:31], 0xc8
	s_add_co_i32 s27, s27, -1
	s_wait_xcnt 0x0
	s_add_nc_u64 s[30:31], s[30:31], -8
	s_cmp_gt_u32 s27, 2
	s_delay_alu instid0(VALU_DEP_1) | instskip(SKIP_1) | instid1(VALU_DEP_1)
	v_sub_nc_u64_e32 v[6:7], v[6:7], v[12:13]
	s_wait_kmcnt 0x0
	v_mad_nc_u64_u32 v[4:5], s34, v6, v[4:5]
	s_delay_alu instid0(VALU_DEP_1) | instskip(NEXT) | instid1(VALU_DEP_1)
	v_mad_u32 v3, s35, v6, v5
	v_mad_u32 v5, s34, v7, v3
	s_cbranch_scc0 .LBB39_11
; %bb.10:                               ;   in Loop: Header=BB39_5 Depth=2
	v_mov_b64_e32 v[6:7], v[8:9]
	s_branch .LBB39_5
.LBB39_11:                              ;   in Loop: Header=BB39_4 Depth=1
	s_delay_alu instid0(VALU_DEP_1) | instskip(NEXT) | instid1(VALU_DEP_1)
	v_mul_u64_e32 v[6:7], s[16:17], v[8:9]
	v_lshl_add_u64 v[6:7], v[6:7], 3, s[18:19]
	s_delay_alu instid0(VALU_DEP_1)
	v_lshl_add_u64 v[4:5], v[4:5], 3, v[6:7]
	global_load_b64 v[4:5], v[4:5], off
	s_wait_loadcnt 0x0
	v_cmp_le_i64_e32 vcc_lo, s[6:7], v[4:5]
	v_cmp_ge_i64_e64 s0, s[8:9], v[4:5]
	s_and_b32 s0, vcc_lo, s0
	s_wait_xcnt 0x0
	s_and_saveexec_b32 s34, s0
	s_cbranch_execz .LBB39_3
; %bb.12:                               ;   in Loop: Header=BB39_4 Depth=1
	v_sub_nc_u64_e64 v[4:5], v[4:5], s[6:7]
                                        ; implicit-def: $vgpr6_vgpr7
	s_mov_b32 s0, exec_lo
	s_delay_alu instid0(VALU_DEP_1) | instskip(NEXT) | instid1(VALU_DEP_1)
	v_mul_u64_e32 v[4:5], s[4:5], v[4:5]
	v_or_b32_e32 v3, s21, v5
	s_delay_alu instid0(VALU_DEP_1)
	v_cmpx_ne_u64_e32 0, v[2:3]
	s_xor_b32 s35, exec_lo, s0
	s_cbranch_execz .LBB39_14
; %bb.13:                               ;   in Loop: Header=BB39_4 Depth=1
	s_mov_b32 s27, s26
	v_dual_mov_b32 v9, v2 :: v_dual_ashrrev_i32 v6, 31, v5
	s_add_nc_u64 s[30:31], s[20:21], s[26:27]
	v_mov_b32_e32 v19, v2
	s_xor_b64 s[30:31], s[30:31], s[26:27]
	s_delay_alu instid0(VALU_DEP_2) | instskip(SKIP_3) | instid1(VALU_DEP_1)
	v_mov_b32_e32 v7, v6
	s_cvt_f32_u32 s0, s30
	s_cvt_f32_u32 s2, s31
	s_sub_nc_u64 s[38:39], 0, s[30:31]
	v_add_nc_u64_e32 v[4:5], v[4:5], v[6:7]
	s_delay_alu instid0(SALU_CYCLE_1) | instskip(SKIP_1) | instid1(SALU_CYCLE_2)
	s_fmamk_f32 s0, s2, 0x4f800000, s0
	v_mov_b32_e32 v15, v2
	v_s_rcp_f32 s0, s0
	s_delay_alu instid0(VALU_DEP_2) | instskip(NEXT) | instid1(VALU_DEP_3)
	v_xor_b32_e32 v8, v4, v6
	v_xor_b32_e32 v14, v5, v6
	s_delay_alu instid0(TRANS32_DEP_1) | instskip(NEXT) | instid1(SALU_CYCLE_3)
	s_mul_f32 s0, s0, 0x5f7ffffc
	s_mul_f32 s2, s0, 0x2f800000
	s_delay_alu instid0(SALU_CYCLE_3) | instskip(NEXT) | instid1(SALU_CYCLE_3)
	s_trunc_f32 s2, s2
	s_fmamk_f32 s0, s2, 0xcf800000, s0
	s_cvt_u32_f32 s37, s2
	s_delay_alu instid0(SALU_CYCLE_2) | instskip(NEXT) | instid1(SALU_CYCLE_3)
	s_cvt_u32_f32 s36, s0
	s_mul_u64 s[42:43], s[38:39], s[36:37]
	s_delay_alu instid0(SALU_CYCLE_1)
	s_mul_hi_u32 s45, s36, s43
	s_mul_i32 s44, s36, s43
	s_mul_hi_u32 s2, s36, s42
	s_mul_i32 s27, s37, s42
	s_add_nc_u64 s[44:45], s[2:3], s[44:45]
	s_mul_hi_u32 s0, s37, s42
	s_mul_hi_u32 s41, s37, s43
	s_add_co_u32 s2, s44, s27
	s_add_co_ci_u32 s2, s45, s0
	s_mul_i32 s42, s37, s43
	s_add_co_ci_u32 s43, s41, 0
	s_delay_alu instid0(SALU_CYCLE_1) | instskip(NEXT) | instid1(SALU_CYCLE_1)
	s_add_nc_u64 s[42:43], s[2:3], s[42:43]
	s_add_co_u32 s36, s36, s42
	s_cselect_b32 s0, -1, 0
	s_delay_alu instid0(SALU_CYCLE_1) | instskip(SKIP_1) | instid1(SALU_CYCLE_1)
	s_cmp_lg_u32 s0, 0
	s_add_co_ci_u32 s37, s37, s43
	s_mul_u64 s[38:39], s[38:39], s[36:37]
	s_delay_alu instid0(SALU_CYCLE_1)
	s_mul_hi_u32 s43, s36, s39
	s_mul_i32 s42, s36, s39
	s_mul_hi_u32 s2, s36, s38
	s_mul_i32 s27, s37, s38
	s_add_nc_u64 s[42:43], s[2:3], s[42:43]
	s_mul_hi_u32 s0, s37, s38
	s_mul_hi_u32 s41, s37, s39
	s_add_co_u32 s2, s42, s27
	s_add_co_ci_u32 s2, s43, s0
	s_mul_i32 s38, s37, s39
	s_add_co_ci_u32 s39, s41, 0
	s_delay_alu instid0(SALU_CYCLE_1) | instskip(NEXT) | instid1(SALU_CYCLE_1)
	s_add_nc_u64 s[38:39], s[2:3], s[38:39]
	s_add_co_u32 s0, s36, s38
	s_cselect_b32 s2, -1, 0
	v_mul_hi_u32 v18, v8, s0
	s_cmp_lg_u32 s2, 0
	s_add_co_ci_u32 s2, s37, s39
	s_and_b64 s[36:37], s[0:1], s[24:25]
	v_mul_u64_e32 v[12:13], s[2:3], v[8:9]
	v_mul_u64_e32 v[4:5], s[36:37], v[14:15]
	;; [unrolled: 1-line block ×3, first 2 shown]
	s_delay_alu instid0(VALU_DEP_3) | instskip(NEXT) | instid1(VALU_DEP_1)
	v_add_nc_u64_e32 v[12:13], v[18:19], v[12:13]
	v_add_co_u32 v3, vcc_lo, v12, v4
	s_delay_alu instid0(VALU_DEP_2) | instskip(NEXT) | instid1(VALU_DEP_4)
	v_add_co_ci_u32_e32 v18, vcc_lo, v13, v5, vcc_lo
	v_add_co_ci_u32_e32 v17, vcc_lo, 0, v17, vcc_lo
	s_delay_alu instid0(VALU_DEP_1) | instskip(NEXT) | instid1(VALU_DEP_1)
	v_add_nc_u64_e32 v[4:5], v[18:19], v[16:17]
	v_mul_u64_e32 v[12:13], s[30:31], v[4:5]
	s_delay_alu instid0(VALU_DEP_1) | instskip(NEXT) | instid1(VALU_DEP_2)
	v_sub_nc_u32_e32 v3, v14, v13
	v_sub_co_u32 v7, vcc_lo, v8, v12
	s_delay_alu instid0(VALU_DEP_1) | instskip(NEXT) | instid1(VALU_DEP_3)
	v_sub_co_ci_u32_e64 v11, null, v14, v13, vcc_lo
	v_subrev_co_ci_u32_e64 v3, null, s31, v3, vcc_lo
	s_delay_alu instid0(VALU_DEP_3) | instskip(SKIP_1) | instid1(VALU_DEP_3)
	v_sub_co_u32 v8, s0, v7, s30
	v_add_nc_u64_e32 v[12:13], 1, v[4:5]
	v_subrev_co_ci_u32_e64 v3, null, 0, v3, s0
	s_delay_alu instid0(VALU_DEP_3) | instskip(SKIP_1) | instid1(VALU_DEP_3)
	v_cmp_le_u32_e32 vcc_lo, s30, v8
	v_cndmask_b32_e64 v8, 0, -1, vcc_lo
	v_cmp_le_u32_e32 vcc_lo, s31, v3
	v_cndmask_b32_e64 v9, 0, -1, vcc_lo
	;; [unrolled: 2-line block ×4, first 2 shown]
	v_cmp_eq_u32_e32 vcc_lo, s31, v3
	v_cndmask_b32_e32 v3, v9, v8, vcc_lo
	v_cmp_eq_u32_e32 vcc_lo, s31, v11
	v_add_nc_u64_e32 v[8:9], 2, v[4:5]
	v_cndmask_b32_e32 v7, v14, v7, vcc_lo
	s_delay_alu instid0(VALU_DEP_4) | instskip(NEXT) | instid1(VALU_DEP_2)
	v_cmp_ne_u32_e32 vcc_lo, 0, v3
	v_cmp_ne_u32_e64 s0, 0, v7
	s_delay_alu instid0(VALU_DEP_4) | instskip(NEXT) | instid1(VALU_DEP_1)
	v_dual_cndmask_b32 v3, v13, v9, vcc_lo :: v_dual_cndmask_b32 v7, v12, v8, vcc_lo
	v_dual_cndmask_b32 v3, v5, v3, s0 :: v_dual_bitop2_b32 v6, s26, v6 bitop3:0x14
	s_delay_alu instid0(VALU_DEP_1) | instskip(NEXT) | instid1(VALU_DEP_2)
	v_dual_cndmask_b32 v4, v4, v7, s0 :: v_dual_mov_b32 v7, v6
	v_xor_b32_e32 v5, v3, v6
	s_delay_alu instid0(VALU_DEP_2) | instskip(NEXT) | instid1(VALU_DEP_1)
	v_xor_b32_e32 v4, v4, v6
	v_sub_nc_u64_e32 v[6:7], v[4:5], v[6:7]
                                        ; implicit-def: $vgpr4_vgpr5
.LBB39_14:                              ;   in Loop: Header=BB39_4 Depth=1
	s_and_not1_saveexec_b32 s0, s35
	s_cbranch_execz .LBB39_2
; %bb.15:                               ;   in Loop: Header=BB39_4 Depth=1
	v_cvt_f32_u32_e32 v3, s20
	s_sub_co_i32 s2, 0, s20
	s_delay_alu instid0(VALU_DEP_1) | instskip(SKIP_1) | instid1(TRANS32_DEP_1)
	v_rcp_iflag_f32_e32 v3, v3
	v_nop
	v_mul_f32_e32 v3, 0x4f7ffffe, v3
	s_delay_alu instid0(VALU_DEP_1) | instskip(NEXT) | instid1(VALU_DEP_1)
	v_cvt_u32_f32_e32 v3, v3
	v_mul_lo_u32 v5, s2, v3
	s_delay_alu instid0(VALU_DEP_1) | instskip(NEXT) | instid1(VALU_DEP_1)
	v_mul_hi_u32 v5, v3, v5
	v_add_nc_u32_e32 v3, v3, v5
	s_delay_alu instid0(VALU_DEP_1) | instskip(NEXT) | instid1(VALU_DEP_1)
	v_mul_hi_u32 v3, v4, v3
	v_mul_lo_u32 v5, v3, s20
	s_delay_alu instid0(VALU_DEP_1) | instskip(NEXT) | instid1(VALU_DEP_1)
	v_dual_sub_nc_u32 v4, v4, v5 :: v_dual_add_nc_u32 v5, 1, v3
	v_subrev_nc_u32_e32 v6, s20, v4
	v_cmp_le_u32_e32 vcc_lo, s20, v4
	s_delay_alu instid0(VALU_DEP_2) | instskip(NEXT) | instid1(VALU_DEP_1)
	v_dual_cndmask_b32 v4, v4, v6 :: v_dual_cndmask_b32 v3, v3, v5
	v_cmp_le_u32_e32 vcc_lo, s20, v4
	s_delay_alu instid0(VALU_DEP_2) | instskip(NEXT) | instid1(VALU_DEP_1)
	v_add_nc_u32_e32 v5, 1, v3
	v_cndmask_b32_e32 v6, v3, v5, vcc_lo
	s_branch .LBB39_2
.LBB39_16:
	s_endpgm
	.section	.rodata,"a",@progbits
	.p2align	6, 0x0
	.amdhsa_kernel _ZN2at4cuda17kernelHistogram1DIfllLi1ELi2ELin1ELNS0_23CUDAHistogramMemoryTypeE1EZNS0_21CUDA_tensor_histogramIflLb1EEEbNS_6TensorES4_S4_lNS_14AccumulateTypeIT0_Lb1EE4typeES8_NS0_13TensorArgTypeES9_S9_EUllE0_EEvNS0_6detail10TensorInfoIT_T1_EESF_NSC_IKS6_SE_EElS8_S8_SE_T6_
		.amdhsa_group_segment_fixed_size 0
		.amdhsa_private_segment_fixed_size 0
		.amdhsa_kernarg_size 1544
		.amdhsa_user_sgpr_count 2
		.amdhsa_user_sgpr_dispatch_ptr 0
		.amdhsa_user_sgpr_queue_ptr 0
		.amdhsa_user_sgpr_kernarg_segment_ptr 1
		.amdhsa_user_sgpr_dispatch_id 0
		.amdhsa_user_sgpr_kernarg_preload_length 0
		.amdhsa_user_sgpr_kernarg_preload_offset 0
		.amdhsa_user_sgpr_private_segment_size 0
		.amdhsa_wavefront_size32 1
		.amdhsa_uses_dynamic_stack 0
		.amdhsa_enable_private_segment 0
		.amdhsa_system_sgpr_workgroup_id_x 1
		.amdhsa_system_sgpr_workgroup_id_y 0
		.amdhsa_system_sgpr_workgroup_id_z 0
		.amdhsa_system_sgpr_workgroup_info 0
		.amdhsa_system_vgpr_workitem_id 0
		.amdhsa_next_free_vgpr 24
		.amdhsa_next_free_sgpr 51
		.amdhsa_named_barrier_count 0
		.amdhsa_reserve_vcc 1
		.amdhsa_float_round_mode_32 0
		.amdhsa_float_round_mode_16_64 0
		.amdhsa_float_denorm_mode_32 3
		.amdhsa_float_denorm_mode_16_64 3
		.amdhsa_fp16_overflow 0
		.amdhsa_memory_ordered 1
		.amdhsa_forward_progress 1
		.amdhsa_inst_pref_size 16
		.amdhsa_round_robin_scheduling 0
		.amdhsa_exception_fp_ieee_invalid_op 0
		.amdhsa_exception_fp_denorm_src 0
		.amdhsa_exception_fp_ieee_div_zero 0
		.amdhsa_exception_fp_ieee_overflow 0
		.amdhsa_exception_fp_ieee_underflow 0
		.amdhsa_exception_fp_ieee_inexact 0
		.amdhsa_exception_int_div_zero 0
	.end_amdhsa_kernel
	.section	.text._ZN2at4cuda17kernelHistogram1DIfllLi1ELi2ELin1ELNS0_23CUDAHistogramMemoryTypeE1EZNS0_21CUDA_tensor_histogramIflLb1EEEbNS_6TensorES4_S4_lNS_14AccumulateTypeIT0_Lb1EE4typeES8_NS0_13TensorArgTypeES9_S9_EUllE0_EEvNS0_6detail10TensorInfoIT_T1_EESF_NSC_IKS6_SE_EElS8_S8_SE_T6_,"axG",@progbits,_ZN2at4cuda17kernelHistogram1DIfllLi1ELi2ELin1ELNS0_23CUDAHistogramMemoryTypeE1EZNS0_21CUDA_tensor_histogramIflLb1EEEbNS_6TensorES4_S4_lNS_14AccumulateTypeIT0_Lb1EE4typeES8_NS0_13TensorArgTypeES9_S9_EUllE0_EEvNS0_6detail10TensorInfoIT_T1_EESF_NSC_IKS6_SE_EElS8_S8_SE_T6_,comdat
.Lfunc_end39:
	.size	_ZN2at4cuda17kernelHistogram1DIfllLi1ELi2ELin1ELNS0_23CUDAHistogramMemoryTypeE1EZNS0_21CUDA_tensor_histogramIflLb1EEEbNS_6TensorES4_S4_lNS_14AccumulateTypeIT0_Lb1EE4typeES8_NS0_13TensorArgTypeES9_S9_EUllE0_EEvNS0_6detail10TensorInfoIT_T1_EESF_NSC_IKS6_SE_EElS8_S8_SE_T6_, .Lfunc_end39-_ZN2at4cuda17kernelHistogram1DIfllLi1ELi2ELin1ELNS0_23CUDAHistogramMemoryTypeE1EZNS0_21CUDA_tensor_histogramIflLb1EEEbNS_6TensorES4_S4_lNS_14AccumulateTypeIT0_Lb1EE4typeES8_NS0_13TensorArgTypeES9_S9_EUllE0_EEvNS0_6detail10TensorInfoIT_T1_EESF_NSC_IKS6_SE_EElS8_S8_SE_T6_
                                        ; -- End function
	.set _ZN2at4cuda17kernelHistogram1DIfllLi1ELi2ELin1ELNS0_23CUDAHistogramMemoryTypeE1EZNS0_21CUDA_tensor_histogramIflLb1EEEbNS_6TensorES4_S4_lNS_14AccumulateTypeIT0_Lb1EE4typeES8_NS0_13TensorArgTypeES9_S9_EUllE0_EEvNS0_6detail10TensorInfoIT_T1_EESF_NSC_IKS6_SE_EElS8_S8_SE_T6_.num_vgpr, 24
	.set _ZN2at4cuda17kernelHistogram1DIfllLi1ELi2ELin1ELNS0_23CUDAHistogramMemoryTypeE1EZNS0_21CUDA_tensor_histogramIflLb1EEEbNS_6TensorES4_S4_lNS_14AccumulateTypeIT0_Lb1EE4typeES8_NS0_13TensorArgTypeES9_S9_EUllE0_EEvNS0_6detail10TensorInfoIT_T1_EESF_NSC_IKS6_SE_EElS8_S8_SE_T6_.num_agpr, 0
	.set _ZN2at4cuda17kernelHistogram1DIfllLi1ELi2ELin1ELNS0_23CUDAHistogramMemoryTypeE1EZNS0_21CUDA_tensor_histogramIflLb1EEEbNS_6TensorES4_S4_lNS_14AccumulateTypeIT0_Lb1EE4typeES8_NS0_13TensorArgTypeES9_S9_EUllE0_EEvNS0_6detail10TensorInfoIT_T1_EESF_NSC_IKS6_SE_EElS8_S8_SE_T6_.numbered_sgpr, 51
	.set _ZN2at4cuda17kernelHistogram1DIfllLi1ELi2ELin1ELNS0_23CUDAHistogramMemoryTypeE1EZNS0_21CUDA_tensor_histogramIflLb1EEEbNS_6TensorES4_S4_lNS_14AccumulateTypeIT0_Lb1EE4typeES8_NS0_13TensorArgTypeES9_S9_EUllE0_EEvNS0_6detail10TensorInfoIT_T1_EESF_NSC_IKS6_SE_EElS8_S8_SE_T6_.num_named_barrier, 0
	.set _ZN2at4cuda17kernelHistogram1DIfllLi1ELi2ELin1ELNS0_23CUDAHistogramMemoryTypeE1EZNS0_21CUDA_tensor_histogramIflLb1EEEbNS_6TensorES4_S4_lNS_14AccumulateTypeIT0_Lb1EE4typeES8_NS0_13TensorArgTypeES9_S9_EUllE0_EEvNS0_6detail10TensorInfoIT_T1_EESF_NSC_IKS6_SE_EElS8_S8_SE_T6_.private_seg_size, 0
	.set _ZN2at4cuda17kernelHistogram1DIfllLi1ELi2ELin1ELNS0_23CUDAHistogramMemoryTypeE1EZNS0_21CUDA_tensor_histogramIflLb1EEEbNS_6TensorES4_S4_lNS_14AccumulateTypeIT0_Lb1EE4typeES8_NS0_13TensorArgTypeES9_S9_EUllE0_EEvNS0_6detail10TensorInfoIT_T1_EESF_NSC_IKS6_SE_EElS8_S8_SE_T6_.uses_vcc, 1
	.set _ZN2at4cuda17kernelHistogram1DIfllLi1ELi2ELin1ELNS0_23CUDAHistogramMemoryTypeE1EZNS0_21CUDA_tensor_histogramIflLb1EEEbNS_6TensorES4_S4_lNS_14AccumulateTypeIT0_Lb1EE4typeES8_NS0_13TensorArgTypeES9_S9_EUllE0_EEvNS0_6detail10TensorInfoIT_T1_EESF_NSC_IKS6_SE_EElS8_S8_SE_T6_.uses_flat_scratch, 0
	.set _ZN2at4cuda17kernelHistogram1DIfllLi1ELi2ELin1ELNS0_23CUDAHistogramMemoryTypeE1EZNS0_21CUDA_tensor_histogramIflLb1EEEbNS_6TensorES4_S4_lNS_14AccumulateTypeIT0_Lb1EE4typeES8_NS0_13TensorArgTypeES9_S9_EUllE0_EEvNS0_6detail10TensorInfoIT_T1_EESF_NSC_IKS6_SE_EElS8_S8_SE_T6_.has_dyn_sized_stack, 0
	.set _ZN2at4cuda17kernelHistogram1DIfllLi1ELi2ELin1ELNS0_23CUDAHistogramMemoryTypeE1EZNS0_21CUDA_tensor_histogramIflLb1EEEbNS_6TensorES4_S4_lNS_14AccumulateTypeIT0_Lb1EE4typeES8_NS0_13TensorArgTypeES9_S9_EUllE0_EEvNS0_6detail10TensorInfoIT_T1_EESF_NSC_IKS6_SE_EElS8_S8_SE_T6_.has_recursion, 0
	.set _ZN2at4cuda17kernelHistogram1DIfllLi1ELi2ELin1ELNS0_23CUDAHistogramMemoryTypeE1EZNS0_21CUDA_tensor_histogramIflLb1EEEbNS_6TensorES4_S4_lNS_14AccumulateTypeIT0_Lb1EE4typeES8_NS0_13TensorArgTypeES9_S9_EUllE0_EEvNS0_6detail10TensorInfoIT_T1_EESF_NSC_IKS6_SE_EElS8_S8_SE_T6_.has_indirect_call, 0
	.section	.AMDGPU.csdata,"",@progbits
; Kernel info:
; codeLenInByte = 2032
; TotalNumSgprs: 53
; NumVgprs: 24
; ScratchSize: 0
; MemoryBound: 0
; FloatMode: 240
; IeeeMode: 1
; LDSByteSize: 0 bytes/workgroup (compile time only)
; SGPRBlocks: 0
; VGPRBlocks: 1
; NumSGPRsForWavesPerEU: 53
; NumVGPRsForWavesPerEU: 24
; NamedBarCnt: 0
; Occupancy: 16
; WaveLimiterHint : 1
; COMPUTE_PGM_RSRC2:SCRATCH_EN: 0
; COMPUTE_PGM_RSRC2:USER_SGPR: 2
; COMPUTE_PGM_RSRC2:TRAP_HANDLER: 0
; COMPUTE_PGM_RSRC2:TGID_X_EN: 1
; COMPUTE_PGM_RSRC2:TGID_Y_EN: 0
; COMPUTE_PGM_RSRC2:TGID_Z_EN: 0
; COMPUTE_PGM_RSRC2:TIDIG_COMP_CNT: 0
	.section	.text._ZN2at4cuda17kernelHistogram1DIlllLi1ELi2ELin1ELNS0_23CUDAHistogramMemoryTypeE0EZNS0_21CUDA_tensor_histogramIllLb0EEEbNS_6TensorES4_S4_lNS_14AccumulateTypeIT0_Lb1EE4typeES8_NS0_13TensorArgTypeES9_S9_EUllE_EEvNS0_6detail10TensorInfoIT_T1_EESF_NSC_IKS6_SE_EElS8_S8_SE_T6_,"axG",@progbits,_ZN2at4cuda17kernelHistogram1DIlllLi1ELi2ELin1ELNS0_23CUDAHistogramMemoryTypeE0EZNS0_21CUDA_tensor_histogramIllLb0EEEbNS_6TensorES4_S4_lNS_14AccumulateTypeIT0_Lb1EE4typeES8_NS0_13TensorArgTypeES9_S9_EUllE_EEvNS0_6detail10TensorInfoIT_T1_EESF_NSC_IKS6_SE_EElS8_S8_SE_T6_,comdat
	.protected	_ZN2at4cuda17kernelHistogram1DIlllLi1ELi2ELin1ELNS0_23CUDAHistogramMemoryTypeE0EZNS0_21CUDA_tensor_histogramIllLb0EEEbNS_6TensorES4_S4_lNS_14AccumulateTypeIT0_Lb1EE4typeES8_NS0_13TensorArgTypeES9_S9_EUllE_EEvNS0_6detail10TensorInfoIT_T1_EESF_NSC_IKS6_SE_EElS8_S8_SE_T6_ ; -- Begin function _ZN2at4cuda17kernelHistogram1DIlllLi1ELi2ELin1ELNS0_23CUDAHistogramMemoryTypeE0EZNS0_21CUDA_tensor_histogramIllLb0EEEbNS_6TensorES4_S4_lNS_14AccumulateTypeIT0_Lb1EE4typeES8_NS0_13TensorArgTypeES9_S9_EUllE_EEvNS0_6detail10TensorInfoIT_T1_EESF_NSC_IKS6_SE_EElS8_S8_SE_T6_
	.globl	_ZN2at4cuda17kernelHistogram1DIlllLi1ELi2ELin1ELNS0_23CUDAHistogramMemoryTypeE0EZNS0_21CUDA_tensor_histogramIllLb0EEEbNS_6TensorES4_S4_lNS_14AccumulateTypeIT0_Lb1EE4typeES8_NS0_13TensorArgTypeES9_S9_EUllE_EEvNS0_6detail10TensorInfoIT_T1_EESF_NSC_IKS6_SE_EElS8_S8_SE_T6_
	.p2align	8
	.type	_ZN2at4cuda17kernelHistogram1DIlllLi1ELi2ELin1ELNS0_23CUDAHistogramMemoryTypeE0EZNS0_21CUDA_tensor_histogramIllLb0EEEbNS_6TensorES4_S4_lNS_14AccumulateTypeIT0_Lb1EE4typeES8_NS0_13TensorArgTypeES9_S9_EUllE_EEvNS0_6detail10TensorInfoIT_T1_EESF_NSC_IKS6_SE_EElS8_S8_SE_T6_,@function
_ZN2at4cuda17kernelHistogram1DIlllLi1ELi2ELin1ELNS0_23CUDAHistogramMemoryTypeE0EZNS0_21CUDA_tensor_histogramIllLb0EEEbNS_6TensorES4_S4_lNS_14AccumulateTypeIT0_Lb1EE4typeES8_NS0_13TensorArgTypeES9_S9_EUllE_EEvNS0_6detail10TensorInfoIT_T1_EESF_NSC_IKS6_SE_EElS8_S8_SE_T6_: ; @_ZN2at4cuda17kernelHistogram1DIlllLi1ELi2ELin1ELNS0_23CUDAHistogramMemoryTypeE0EZNS0_21CUDA_tensor_histogramIllLb0EEEbNS_6TensorES4_S4_lNS_14AccumulateTypeIT0_Lb1EE4typeES8_NS0_13TensorArgTypeES9_S9_EUllE_EEvNS0_6detail10TensorInfoIT_T1_EESF_NSC_IKS6_SE_EElS8_S8_SE_T6_
; %bb.0:
	s_clause 0x2
	s_load_b128 s[12:15], s[0:1], 0x0
	s_load_b64 s[16:17], s[0:1], 0x500
	s_load_b256 s[4:11], s[0:1], 0x4e0
	v_mov_b32_e32 v1, 0
	s_add_nc_u64 s[28:29], s[0:1], 0x6a0
	s_mov_b32 s3, exec_lo
                                        ; implicit-def: $sgpr18
                                        ; implicit-def: $sgpr19
	s_wait_kmcnt 0x0
	s_delay_alu instid0(VALU_DEP_1)
	v_cmp_gt_i64_e64 s2, s[14:15], v[0:1]
	v_cmpx_le_i64_e64 s[14:15], v[0:1]
	s_xor_b32 s3, exec_lo, s3
	s_cbranch_execz .LBB40_2
; %bb.1:
	s_load_b32 s18, s[28:29], 0xc
	s_wait_kmcnt 0x0
	s_and_b32 s19, s18, 0xffff
.LBB40_2:
	s_or_saveexec_b32 s3, s3
	v_dual_mov_b32 v16, s18 :: v_dual_mov_b32 v15, s19
	v_lshl_add_u32 v14, v0, 3, 0
	s_xor_b32 exec_lo, exec_lo, s3
	s_cbranch_execz .LBB40_6
; %bb.3:
	s_load_b32 s20, s[28:29], 0xc
	v_mov_b64_e32 v[2:3], 0
	v_mov_b64_e32 v[4:5], v[0:1]
	v_lshl_add_u32 v6, v0, 3, 0
	s_mov_b32 s19, 0
	s_delay_alu instid0(SALU_CYCLE_1) | instskip(SKIP_2) | instid1(SALU_CYCLE_1)
	s_mov_b32 s21, s19
	s_wait_kmcnt 0x0
	s_and_b32 s18, s20, 0xffff
	s_lshl_b32 s22, s18, 3
.LBB40_4:                               ; =>This Inner Loop Header: Depth=1
	v_add_nc_u64_e32 v[4:5], s[18:19], v[4:5]
	ds_store_b64 v6, v[2:3]
	v_add_nc_u32_e32 v6, s22, v6
	v_cmp_le_i64_e32 vcc_lo, s[14:15], v[4:5]
	s_or_b32 s21, vcc_lo, s21
	s_delay_alu instid0(SALU_CYCLE_1)
	s_and_not1_b32 exec_lo, exec_lo, s21
	s_cbranch_execnz .LBB40_4
; %bb.5:
	s_or_b32 exec_lo, exec_lo, s21
	v_dual_mov_b32 v16, s20 :: v_dual_mov_b32 v15, s18
.LBB40_6:
	s_or_b32 exec_lo, exec_lo, s3
	s_bfe_u32 s3, ttmp6, 0x4000c
	s_clause 0x1
	s_load_b64 s[18:19], s[0:1], 0xd0
	s_load_b64 s[20:21], s[0:1], 0x5d0
	s_add_co_i32 s3, s3, 1
	s_and_b32 s22, ttmp6, 15
	s_mul_i32 s3, ttmp9, s3
	s_getreg_b32 s23, hwreg(HW_REG_IB_STS2, 6, 4)
	s_add_co_i32 s22, s22, s3
	s_cmp_eq_u32 s23, 0
	v_mov_b32_e32 v4, 0
	s_cselect_b32 s3, ttmp9, s22
	s_mov_b32 s23, 0
	v_mad_u32 v2, s3, v15, v0
	s_mov_b32 s3, exec_lo
	v_mov_b32_e32 v3, v4
	s_wait_dscnt 0x0
	s_barrier_signal -1
	s_barrier_wait -1
	s_delay_alu instid0(VALU_DEP_1)
	v_cmpx_gt_i64_e64 s[10:11], v[2:3]
	s_cbranch_execz .LBB40_22
; %bb.7:
	s_load_b32 s33, s[0:1], 0x4d8
	s_load_b32 s22, s[28:29], 0x0
	s_clause 0x1
	s_load_b64 s[24:25], s[0:1], 0x410
	s_load_b64 s[26:27], s[0:1], 0x340
	s_add_nc_u64 s[34:35], s[0:1], 0x340
	v_mov_b32_e32 v7, v4
	s_wait_xcnt 0x0
	s_sub_nc_u64 s[28:29], s[8:9], s[6:7]
	s_mov_b64 s[30:31], 0xffffffff
	s_mov_b32 s46, 0
	s_wait_kmcnt 0x0
	s_cmp_gt_i32 s33, 1
	v_mul_lo_u32 v6, s22, v15
	s_cselect_b32 s1, -1, 0
	s_add_co_i32 s22, s33, -1
	s_add_co_i32 s33, s33, 1
	s_lshl_b64 s[36:37], s[22:23], 3
	s_delay_alu instid0(SALU_CYCLE_1)
	s_add_nc_u64 s[34:35], s[34:35], s[36:37]
	s_ashr_i32 s36, s29, 31
	s_add_nc_u64 s[34:35], s[34:35], 8
	s_branch .LBB40_10
.LBB40_8:                               ;   in Loop: Header=BB40_10 Depth=1
	s_or_b32 exec_lo, exec_lo, s0
	v_mul_u64_e32 v[8:9], s[20:21], v[2:3]
	s_delay_alu instid0(VALU_DEP_2) | instskip(NEXT) | instid1(VALU_DEP_1)
	v_ashrrev_i32_e32 v11, 31, v10
	v_cmp_eq_u64_e32 vcc_lo, s[4:5], v[10:11]
	v_subrev_co_ci_u32_e64 v5, null, 0, v10, vcc_lo
	s_delay_alu instid0(VALU_DEP_1)
	v_lshl_add_u32 v5, v5, 3, 0
	v_lshl_add_u64 v[8:9], v[8:9], 3, s[16:17]
	global_load_b64 v[8:9], v[8:9], off
	s_wait_loadcnt 0x0
	ds_add_u64 v5, v[8:9]
.LBB40_9:                               ;   in Loop: Header=BB40_10 Depth=1
	s_wait_xcnt 0x0
	s_or_b32 exec_lo, exec_lo, s40
	v_add_nc_u64_e32 v[2:3], v[2:3], v[6:7]
	s_delay_alu instid0(VALU_DEP_1) | instskip(SKIP_1) | instid1(SALU_CYCLE_1)
	v_cmp_le_i64_e32 vcc_lo, s[10:11], v[2:3]
	s_or_b32 s46, vcc_lo, s46
	s_and_not1_b32 exec_lo, exec_lo, s46
	s_cbranch_execz .LBB40_22
.LBB40_10:                              ; =>This Loop Header: Depth=1
                                        ;     Child Loop BB40_11 Depth 2
	v_mov_b64_e32 v[8:9], 0
	v_mov_b64_e32 v[10:11], v[2:3]
	;; [unrolled: 1-line block ×3, first 2 shown]
	s_and_not1_b32 vcc_lo, exec_lo, s1
	s_mov_b64 s[38:39], s[34:35]
	s_mov_b32 s37, s33
	s_cbranch_vccnz .LBB40_17
.LBB40_11:                              ;   Parent Loop BB40_10 Depth=1
                                        ; =>  This Inner Loop Header: Depth=2
	s_load_b64 s[40:41], s[38:39], 0x0
                                        ; implicit-def: $vgpr12_vgpr13
	s_mov_b32 s0, exec_lo
	s_wait_kmcnt 0x0
	s_delay_alu instid0(VALU_DEP_1) | instskip(NEXT) | instid1(VALU_DEP_1)
	v_or_b32_e32 v5, s41, v11
	v_cmpx_ne_u64_e32 0, v[4:5]
	s_xor_b32 s47, exec_lo, s0
	s_cbranch_execz .LBB40_13
; %bb.12:                               ;   in Loop: Header=BB40_11 Depth=2
	s_ashr_i32 s42, s41, 31
	v_dual_mov_b32 v21, v4 :: v_dual_ashrrev_i32 v12, 31, v11
	s_mov_b32 s43, s42
	v_mov_b32_e32 v29, v4
	s_add_nc_u64 s[44:45], s[40:41], s[42:43]
	s_delay_alu instid0(VALU_DEP_2) | instskip(SKIP_1) | instid1(SALU_CYCLE_1)
	v_mov_b32_e32 v13, v12
	s_xor_b64 s[44:45], s[44:45], s[42:43]
	s_cvt_f32_u32 s0, s44
	s_cvt_f32_u32 s22, s45
	s_sub_nc_u64 s[50:51], 0, s[44:45]
	v_add_nc_u64_e32 v[18:19], v[10:11], v[12:13]
	v_mov_b32_e32 v25, v4
	s_fmamk_f32 s0, s22, 0x4f800000, s0
	s_delay_alu instid0(SALU_CYCLE_3) | instskip(NEXT) | instid1(VALU_DEP_2)
	v_s_rcp_f32 s0, s0
	v_xor_b32_e32 v20, v18, v12
	s_delay_alu instid0(VALU_DEP_3) | instskip(SKIP_1) | instid1(TRANS32_DEP_1)
	v_xor_b32_e32 v24, v19, v12
	v_xor_b32_e32 v12, s42, v12
	s_mul_f32 s0, s0, 0x5f7ffffc
	s_delay_alu instid0(SALU_CYCLE_3) | instskip(NEXT) | instid1(SALU_CYCLE_3)
	s_mul_f32 s22, s0, 0x2f800000
	s_trunc_f32 s22, s22
	s_delay_alu instid0(SALU_CYCLE_3) | instskip(SKIP_1) | instid1(SALU_CYCLE_2)
	s_fmamk_f32 s0, s22, 0xcf800000, s0
	s_cvt_u32_f32 s49, s22
	s_cvt_u32_f32 s48, s0
	s_delay_alu instid0(SALU_CYCLE_3) | instskip(NEXT) | instid1(SALU_CYCLE_1)
	s_mul_u64 s[52:53], s[50:51], s[48:49]
	s_mul_hi_u32 s55, s48, s53
	s_mul_i32 s54, s48, s53
	s_mul_hi_u32 s22, s48, s52
	s_mul_i32 s43, s49, s52
	s_add_nc_u64 s[54:55], s[22:23], s[54:55]
	s_mul_hi_u32 s0, s49, s52
	s_mul_hi_u32 s56, s49, s53
	s_add_co_u32 s22, s54, s43
	s_add_co_ci_u32 s22, s55, s0
	s_mul_i32 s52, s49, s53
	s_add_co_ci_u32 s53, s56, 0
	s_delay_alu instid0(SALU_CYCLE_1) | instskip(NEXT) | instid1(SALU_CYCLE_1)
	s_add_nc_u64 s[52:53], s[22:23], s[52:53]
	s_add_co_u32 s48, s48, s52
	s_cselect_b32 s0, -1, 0
	s_delay_alu instid0(SALU_CYCLE_1) | instskip(SKIP_1) | instid1(SALU_CYCLE_1)
	s_cmp_lg_u32 s0, 0
	s_add_co_ci_u32 s49, s49, s53
	s_mul_u64 s[50:51], s[50:51], s[48:49]
	s_delay_alu instid0(SALU_CYCLE_1)
	s_mul_hi_u32 s53, s48, s51
	s_mul_i32 s52, s48, s51
	s_mul_hi_u32 s22, s48, s50
	s_mul_i32 s43, s49, s50
	s_add_nc_u64 s[52:53], s[22:23], s[52:53]
	s_mul_hi_u32 s0, s49, s50
	s_mul_hi_u32 s54, s49, s51
	s_add_co_u32 s22, s52, s43
	s_add_co_ci_u32 s22, s53, s0
	s_mul_i32 s50, s49, s51
	s_add_co_ci_u32 s51, s54, 0
	s_delay_alu instid0(SALU_CYCLE_1) | instskip(NEXT) | instid1(SALU_CYCLE_1)
	s_add_nc_u64 s[50:51], s[22:23], s[50:51]
	s_add_co_u32 s0, s48, s50
	s_cselect_b32 s22, -1, 0
	v_mul_hi_u32 v28, v20, s0
	s_cmp_lg_u32 s22, 0
	s_add_co_ci_u32 s22, s49, s51
	s_and_b64 s[48:49], s[0:1], s[30:31]
	v_mul_u64_e32 v[22:23], s[22:23], v[20:21]
	v_mul_u64_e32 v[18:19], s[48:49], v[24:25]
	;; [unrolled: 1-line block ×3, first 2 shown]
	s_delay_alu instid0(VALU_DEP_3) | instskip(NEXT) | instid1(VALU_DEP_1)
	v_add_nc_u64_e32 v[22:23], v[28:29], v[22:23]
	v_add_co_u32 v5, vcc_lo, v22, v18
	s_delay_alu instid0(VALU_DEP_2) | instskip(NEXT) | instid1(VALU_DEP_4)
	v_add_co_ci_u32_e32 v28, vcc_lo, v23, v19, vcc_lo
	v_add_co_ci_u32_e32 v27, vcc_lo, 0, v27, vcc_lo
	s_delay_alu instid0(VALU_DEP_1) | instskip(NEXT) | instid1(VALU_DEP_1)
	v_add_nc_u64_e32 v[18:19], v[28:29], v[26:27]
	v_mul_u64_e32 v[22:23], s[44:45], v[18:19]
	s_delay_alu instid0(VALU_DEP_1) | instskip(NEXT) | instid1(VALU_DEP_2)
	v_sub_nc_u32_e32 v5, v24, v23
	v_sub_co_u32 v13, vcc_lo, v20, v22
	s_delay_alu instid0(VALU_DEP_1) | instskip(NEXT) | instid1(VALU_DEP_3)
	v_sub_co_ci_u32_e64 v24, null, v24, v23, vcc_lo
	v_subrev_co_ci_u32_e64 v5, null, s45, v5, vcc_lo
	s_delay_alu instid0(VALU_DEP_3) | instskip(SKIP_1) | instid1(VALU_DEP_3)
	v_sub_co_u32 v17, s0, v13, s44
	v_add_nc_u64_e32 v[22:23], 1, v[18:19]
	v_subrev_co_ci_u32_e64 v5, null, 0, v5, s0
	s_delay_alu instid0(VALU_DEP_3) | instskip(SKIP_1) | instid1(VALU_DEP_3)
	v_cmp_le_u32_e32 vcc_lo, s44, v17
	v_cndmask_b32_e64 v17, 0, -1, vcc_lo
	v_cmp_le_u32_e32 vcc_lo, s45, v5
	v_cndmask_b32_e64 v20, 0, -1, vcc_lo
	;; [unrolled: 2-line block ×4, first 2 shown]
	v_cmp_eq_u32_e32 vcc_lo, s45, v5
	v_cndmask_b32_e32 v5, v20, v17, vcc_lo
	v_cmp_eq_u32_e32 vcc_lo, s45, v24
	v_add_nc_u64_e32 v[20:21], 2, v[18:19]
	v_cndmask_b32_e32 v13, v25, v13, vcc_lo
	s_delay_alu instid0(VALU_DEP_4) | instskip(NEXT) | instid1(VALU_DEP_2)
	v_cmp_ne_u32_e32 vcc_lo, 0, v5
	v_cmp_ne_u32_e64 s0, 0, v13
	s_delay_alu instid0(VALU_DEP_4) | instskip(NEXT) | instid1(VALU_DEP_1)
	v_dual_cndmask_b32 v5, v23, v21, vcc_lo :: v_dual_cndmask_b32 v13, v22, v20, vcc_lo
	v_dual_cndmask_b32 v17, v18, v13, s0 :: v_dual_mov_b32 v13, v12
	s_delay_alu instid0(VALU_DEP_1) | instskip(NEXT) | instid1(VALU_DEP_1)
	v_dual_cndmask_b32 v5, v19, v5, s0 :: v_dual_bitop2_b32 v18, v17, v12 bitop3:0x14
	v_xor_b32_e32 v19, v5, v12
	s_delay_alu instid0(VALU_DEP_1)
	v_sub_nc_u64_e32 v[12:13], v[18:19], v[12:13]
.LBB40_13:                              ;   in Loop: Header=BB40_11 Depth=2
	s_and_not1_saveexec_b32 s0, s47
	s_cbranch_execz .LBB40_15
; %bb.14:                               ;   in Loop: Header=BB40_11 Depth=2
	v_cvt_f32_u32_e32 v5, s40
	s_sub_co_i32 s22, 0, s40
	s_delay_alu instid0(VALU_DEP_1) | instskip(SKIP_1) | instid1(TRANS32_DEP_1)
	v_rcp_iflag_f32_e32 v5, v5
	v_nop
	v_mul_f32_e32 v5, 0x4f7ffffe, v5
	s_delay_alu instid0(VALU_DEP_1) | instskip(NEXT) | instid1(VALU_DEP_1)
	v_cvt_u32_f32_e32 v5, v5
	v_mul_lo_u32 v12, s22, v5
	s_delay_alu instid0(VALU_DEP_1) | instskip(NEXT) | instid1(VALU_DEP_1)
	v_mul_hi_u32 v12, v5, v12
	v_add_nc_u32_e32 v5, v5, v12
	s_delay_alu instid0(VALU_DEP_1) | instskip(NEXT) | instid1(VALU_DEP_1)
	v_mul_hi_u32 v5, v10, v5
	v_mul_lo_u32 v12, v5, s40
	s_delay_alu instid0(VALU_DEP_1) | instskip(NEXT) | instid1(VALU_DEP_1)
	v_dual_add_nc_u32 v13, 1, v5 :: v_dual_sub_nc_u32 v12, v10, v12
	v_subrev_nc_u32_e32 v17, s40, v12
	v_cmp_le_u32_e32 vcc_lo, s40, v12
	s_delay_alu instid0(VALU_DEP_2) | instskip(NEXT) | instid1(VALU_DEP_4)
	v_cndmask_b32_e32 v12, v12, v17, vcc_lo
	v_cndmask_b32_e32 v5, v5, v13, vcc_lo
	s_delay_alu instid0(VALU_DEP_2) | instskip(NEXT) | instid1(VALU_DEP_2)
	v_cmp_le_u32_e32 vcc_lo, s40, v12
	v_add_nc_u32_e32 v13, 1, v5
	s_delay_alu instid0(VALU_DEP_1)
	v_dual_cndmask_b32 v12, v5, v13 :: v_dual_mov_b32 v13, v4
.LBB40_15:                              ;   in Loop: Header=BB40_11 Depth=2
	s_or_b32 exec_lo, exec_lo, s0
	s_delay_alu instid0(VALU_DEP_1)
	v_mul_u64_e32 v[18:19], s[40:41], v[12:13]
	s_load_b64 s[40:41], s[38:39], 0xc8
	s_add_co_i32 s37, s37, -1
	s_wait_xcnt 0x0
	s_add_nc_u64 s[38:39], s[38:39], -8
	s_cmp_gt_u32 s37, 2
	s_delay_alu instid0(VALU_DEP_1) | instskip(SKIP_1) | instid1(VALU_DEP_1)
	v_sub_nc_u64_e32 v[10:11], v[10:11], v[18:19]
	s_wait_kmcnt 0x0
	v_mad_nc_u64_u32 v[8:9], s40, v10, v[8:9]
	s_delay_alu instid0(VALU_DEP_1) | instskip(NEXT) | instid1(VALU_DEP_1)
	v_mad_u32 v5, s41, v10, v9
	v_mad_u32 v9, s40, v11, v5
	s_cbranch_scc0 .LBB40_17
; %bb.16:                               ;   in Loop: Header=BB40_11 Depth=2
	v_mov_b64_e32 v[10:11], v[12:13]
	s_branch .LBB40_11
.LBB40_17:                              ;   in Loop: Header=BB40_10 Depth=1
	s_delay_alu instid0(VALU_DEP_1) | instskip(NEXT) | instid1(VALU_DEP_1)
	v_mul_u64_e32 v[10:11], s[24:25], v[12:13]
	v_lshl_add_u64 v[10:11], v[10:11], 3, s[26:27]
	s_delay_alu instid0(VALU_DEP_1)
	v_lshl_add_u64 v[8:9], v[8:9], 3, v[10:11]
	global_load_b64 v[8:9], v[8:9], off
	s_wait_loadcnt 0x0
	v_cmp_le_i64_e32 vcc_lo, s[6:7], v[8:9]
	v_cmp_ge_i64_e64 s0, s[8:9], v[8:9]
	s_and_b32 s0, vcc_lo, s0
	s_wait_xcnt 0x0
	s_and_saveexec_b32 s40, s0
	s_cbranch_execz .LBB40_9
; %bb.18:                               ;   in Loop: Header=BB40_10 Depth=1
	v_sub_nc_u64_e64 v[8:9], v[8:9], s[6:7]
                                        ; implicit-def: $vgpr10_vgpr11
	s_mov_b32 s0, exec_lo
	s_delay_alu instid0(VALU_DEP_1) | instskip(NEXT) | instid1(VALU_DEP_1)
	v_mul_u64_e32 v[8:9], s[4:5], v[8:9]
	v_or_b32_e32 v5, s29, v9
	s_delay_alu instid0(VALU_DEP_1)
	v_cmpx_ne_u64_e32 0, v[4:5]
	s_xor_b32 s41, exec_lo, s0
	s_cbranch_execz .LBB40_20
; %bb.19:                               ;   in Loop: Header=BB40_10 Depth=1
	s_mov_b32 s37, s36
	v_dual_mov_b32 v13, v4 :: v_dual_ashrrev_i32 v10, 31, v9
	s_add_nc_u64 s[38:39], s[28:29], s[36:37]
	v_mov_b32_e32 v25, v4
	s_xor_b64 s[38:39], s[38:39], s[36:37]
	s_delay_alu instid0(VALU_DEP_2) | instskip(SKIP_3) | instid1(VALU_DEP_1)
	v_mov_b32_e32 v11, v10
	s_cvt_f32_u32 s0, s38
	s_cvt_f32_u32 s22, s39
	s_sub_nc_u64 s[44:45], 0, s[38:39]
	v_add_nc_u64_e32 v[8:9], v[8:9], v[10:11]
	s_delay_alu instid0(SALU_CYCLE_1) | instskip(SKIP_1) | instid1(SALU_CYCLE_2)
	s_fmamk_f32 s0, s22, 0x4f800000, s0
	v_mov_b32_e32 v21, v4
	v_s_rcp_f32 s0, s0
	s_delay_alu instid0(VALU_DEP_2) | instskip(NEXT) | instid1(VALU_DEP_3)
	v_xor_b32_e32 v12, v8, v10
	v_xor_b32_e32 v20, v9, v10
	s_delay_alu instid0(TRANS32_DEP_1) | instskip(NEXT) | instid1(SALU_CYCLE_3)
	s_mul_f32 s0, s0, 0x5f7ffffc
	s_mul_f32 s22, s0, 0x2f800000
	s_delay_alu instid0(SALU_CYCLE_3) | instskip(NEXT) | instid1(SALU_CYCLE_3)
	s_trunc_f32 s22, s22
	s_fmamk_f32 s0, s22, 0xcf800000, s0
	s_cvt_u32_f32 s43, s22
	s_delay_alu instid0(SALU_CYCLE_2) | instskip(NEXT) | instid1(SALU_CYCLE_3)
	s_cvt_u32_f32 s42, s0
	s_mul_u64 s[48:49], s[44:45], s[42:43]
	s_delay_alu instid0(SALU_CYCLE_1)
	s_mul_hi_u32 s51, s42, s49
	s_mul_i32 s50, s42, s49
	s_mul_hi_u32 s22, s42, s48
	s_mul_i32 s37, s43, s48
	s_add_nc_u64 s[50:51], s[22:23], s[50:51]
	s_mul_hi_u32 s0, s43, s48
	s_mul_hi_u32 s47, s43, s49
	s_add_co_u32 s22, s50, s37
	s_add_co_ci_u32 s22, s51, s0
	s_mul_i32 s48, s43, s49
	s_add_co_ci_u32 s49, s47, 0
	s_delay_alu instid0(SALU_CYCLE_1) | instskip(NEXT) | instid1(SALU_CYCLE_1)
	s_add_nc_u64 s[48:49], s[22:23], s[48:49]
	s_add_co_u32 s42, s42, s48
	s_cselect_b32 s0, -1, 0
	s_delay_alu instid0(SALU_CYCLE_1) | instskip(SKIP_1) | instid1(SALU_CYCLE_1)
	s_cmp_lg_u32 s0, 0
	s_add_co_ci_u32 s43, s43, s49
	s_mul_u64 s[44:45], s[44:45], s[42:43]
	s_delay_alu instid0(SALU_CYCLE_1)
	s_mul_hi_u32 s49, s42, s45
	s_mul_i32 s48, s42, s45
	s_mul_hi_u32 s22, s42, s44
	s_mul_i32 s37, s43, s44
	s_add_nc_u64 s[48:49], s[22:23], s[48:49]
	s_mul_hi_u32 s0, s43, s44
	s_mul_hi_u32 s47, s43, s45
	s_add_co_u32 s22, s48, s37
	s_add_co_ci_u32 s22, s49, s0
	s_mul_i32 s44, s43, s45
	s_add_co_ci_u32 s45, s47, 0
	s_delay_alu instid0(SALU_CYCLE_1) | instskip(NEXT) | instid1(SALU_CYCLE_1)
	s_add_nc_u64 s[44:45], s[22:23], s[44:45]
	s_add_co_u32 s0, s42, s44
	s_cselect_b32 s22, -1, 0
	v_mul_hi_u32 v24, v12, s0
	s_cmp_lg_u32 s22, 0
	s_add_co_ci_u32 s22, s43, s45
	s_and_b64 s[42:43], s[0:1], s[30:31]
	v_mul_u64_e32 v[18:19], s[22:23], v[12:13]
	v_mul_u64_e32 v[8:9], s[42:43], v[20:21]
	;; [unrolled: 1-line block ×3, first 2 shown]
	s_delay_alu instid0(VALU_DEP_3) | instskip(NEXT) | instid1(VALU_DEP_1)
	v_add_nc_u64_e32 v[18:19], v[24:25], v[18:19]
	v_add_co_u32 v5, vcc_lo, v18, v8
	s_delay_alu instid0(VALU_DEP_2) | instskip(NEXT) | instid1(VALU_DEP_4)
	v_add_co_ci_u32_e32 v24, vcc_lo, v19, v9, vcc_lo
	v_add_co_ci_u32_e32 v23, vcc_lo, 0, v23, vcc_lo
	s_delay_alu instid0(VALU_DEP_1) | instskip(NEXT) | instid1(VALU_DEP_1)
	v_add_nc_u64_e32 v[8:9], v[24:25], v[22:23]
	v_mul_u64_e32 v[18:19], s[38:39], v[8:9]
	s_delay_alu instid0(VALU_DEP_1) | instskip(NEXT) | instid1(VALU_DEP_2)
	v_sub_nc_u32_e32 v5, v20, v19
	v_sub_co_u32 v11, vcc_lo, v12, v18
	s_delay_alu instid0(VALU_DEP_1) | instskip(NEXT) | instid1(VALU_DEP_3)
	v_sub_co_ci_u32_e64 v17, null, v20, v19, vcc_lo
	v_subrev_co_ci_u32_e64 v5, null, s39, v5, vcc_lo
	s_delay_alu instid0(VALU_DEP_3) | instskip(SKIP_1) | instid1(VALU_DEP_3)
	v_sub_co_u32 v12, s0, v11, s38
	v_add_nc_u64_e32 v[18:19], 1, v[8:9]
	v_subrev_co_ci_u32_e64 v5, null, 0, v5, s0
	s_delay_alu instid0(VALU_DEP_3) | instskip(SKIP_1) | instid1(VALU_DEP_3)
	v_cmp_le_u32_e32 vcc_lo, s38, v12
	v_cndmask_b32_e64 v12, 0, -1, vcc_lo
	v_cmp_le_u32_e32 vcc_lo, s39, v5
	v_cndmask_b32_e64 v13, 0, -1, vcc_lo
	v_cmp_le_u32_e32 vcc_lo, s38, v11
	v_cndmask_b32_e64 v11, 0, -1, vcc_lo
	v_cmp_le_u32_e32 vcc_lo, s39, v17
	v_cndmask_b32_e64 v20, 0, -1, vcc_lo
	v_cmp_eq_u32_e32 vcc_lo, s39, v5
	v_cndmask_b32_e32 v5, v13, v12, vcc_lo
	v_cmp_eq_u32_e32 vcc_lo, s39, v17
	v_add_nc_u64_e32 v[12:13], 2, v[8:9]
	v_cndmask_b32_e32 v11, v20, v11, vcc_lo
	s_delay_alu instid0(VALU_DEP_4) | instskip(NEXT) | instid1(VALU_DEP_3)
	v_cmp_ne_u32_e32 vcc_lo, 0, v5
	v_cndmask_b32_e32 v5, v19, v13, vcc_lo
	s_delay_alu instid0(VALU_DEP_3) | instskip(SKIP_1) | instid1(VALU_DEP_1)
	v_cmp_ne_u32_e64 s0, 0, v11
	v_dual_cndmask_b32 v11, v18, v12, vcc_lo :: v_dual_bitop2_b32 v10, s36, v10 bitop3:0x14
	v_dual_cndmask_b32 v5, v9, v5, s0 :: v_dual_cndmask_b32 v8, v8, v11, s0
	s_delay_alu instid0(VALU_DEP_1) | instskip(NEXT) | instid1(VALU_DEP_2)
	v_dual_mov_b32 v11, v10 :: v_dual_bitop2_b32 v9, v5, v10 bitop3:0x14
	v_xor_b32_e32 v8, v8, v10
	s_delay_alu instid0(VALU_DEP_1)
	v_sub_nc_u64_e32 v[10:11], v[8:9], v[10:11]
                                        ; implicit-def: $vgpr8_vgpr9
.LBB40_20:                              ;   in Loop: Header=BB40_10 Depth=1
	s_and_not1_saveexec_b32 s0, s41
	s_cbranch_execz .LBB40_8
; %bb.21:                               ;   in Loop: Header=BB40_10 Depth=1
	v_cvt_f32_u32_e32 v5, s28
	s_sub_co_i32 s22, 0, s28
	s_delay_alu instid0(VALU_DEP_1) | instskip(SKIP_1) | instid1(TRANS32_DEP_1)
	v_rcp_iflag_f32_e32 v5, v5
	v_nop
	v_mul_f32_e32 v5, 0x4f7ffffe, v5
	s_delay_alu instid0(VALU_DEP_1) | instskip(NEXT) | instid1(VALU_DEP_1)
	v_cvt_u32_f32_e32 v5, v5
	v_mul_lo_u32 v9, s22, v5
	s_delay_alu instid0(VALU_DEP_1) | instskip(NEXT) | instid1(VALU_DEP_1)
	v_mul_hi_u32 v9, v5, v9
	v_add_nc_u32_e32 v5, v5, v9
	s_delay_alu instid0(VALU_DEP_1) | instskip(NEXT) | instid1(VALU_DEP_1)
	v_mul_hi_u32 v5, v8, v5
	v_mul_lo_u32 v9, v5, s28
	s_delay_alu instid0(VALU_DEP_1) | instskip(SKIP_1) | instid1(VALU_DEP_2)
	v_sub_nc_u32_e32 v8, v8, v9
	v_add_nc_u32_e32 v9, 1, v5
	v_subrev_nc_u32_e32 v10, s28, v8
	v_cmp_le_u32_e32 vcc_lo, s28, v8
	s_delay_alu instid0(VALU_DEP_2) | instskip(NEXT) | instid1(VALU_DEP_1)
	v_dual_cndmask_b32 v8, v8, v10 :: v_dual_cndmask_b32 v5, v5, v9
	v_cmp_le_u32_e32 vcc_lo, s28, v8
	s_delay_alu instid0(VALU_DEP_2) | instskip(NEXT) | instid1(VALU_DEP_1)
	v_add_nc_u32_e32 v9, 1, v5
	v_cndmask_b32_e32 v10, v5, v9, vcc_lo
	s_branch .LBB40_8
.LBB40_22:
	s_or_b32 exec_lo, exec_lo, s3
; %bb.23:
	s_wait_dscnt 0x0
	s_barrier_signal -1
	s_barrier_wait -1
	s_wait_xcnt 0x0
	s_and_saveexec_b32 s0, s2
	s_cbranch_execz .LBB40_26
; %bb.24:
	s_mov_b32 s0, 0
	v_and_b32_e32 v2, 0xffff, v16
	v_dual_mov_b32 v3, s0 :: v_dual_lshlrev_b32 v8, 3, v15
	s_wait_kmcnt 0x0
	v_mul_u64_e32 v[6:7], s[18:19], v[0:1]
	s_delay_alu instid0(VALU_DEP_2) | instskip(NEXT) | instid1(VALU_DEP_2)
	v_mul_u64_e32 v[4:5], s[18:19], v[2:3]
	v_lshl_add_u64 v[6:7], v[6:7], 3, s[12:13]
	s_delay_alu instid0(VALU_DEP_2)
	v_lshlrev_b64_e32 v[4:5], 3, v[4:5]
.LBB40_25:                              ; =>This Inner Loop Header: Depth=1
	ds_load_b64 v[10:11], v14
	v_add_nc_u64_e32 v[0:1], v[0:1], v[2:3]
	v_add_nc_u32_e32 v14, v14, v8
	s_delay_alu instid0(VALU_DEP_2)
	v_cmp_le_i64_e32 vcc_lo, s[14:15], v[0:1]
	s_or_b32 s0, vcc_lo, s0
	s_wait_dscnt 0x0
	global_atomic_add_u64 v[6:7], v[10:11], off scope:SCOPE_SYS
	s_wait_xcnt 0x0
	v_add_nc_u64_e32 v[6:7], v[6:7], v[4:5]
	s_and_not1_b32 exec_lo, exec_lo, s0
	s_cbranch_execnz .LBB40_25
.LBB40_26:
	s_endpgm
	.section	.rodata,"a",@progbits
	.p2align	6, 0x0
	.amdhsa_kernel _ZN2at4cuda17kernelHistogram1DIlllLi1ELi2ELin1ELNS0_23CUDAHistogramMemoryTypeE0EZNS0_21CUDA_tensor_histogramIllLb0EEEbNS_6TensorES4_S4_lNS_14AccumulateTypeIT0_Lb1EE4typeES8_NS0_13TensorArgTypeES9_S9_EUllE_EEvNS0_6detail10TensorInfoIT_T1_EESF_NSC_IKS6_SE_EElS8_S8_SE_T6_
		.amdhsa_group_segment_fixed_size 0
		.amdhsa_private_segment_fixed_size 0
		.amdhsa_kernarg_size 1952
		.amdhsa_user_sgpr_count 2
		.amdhsa_user_sgpr_dispatch_ptr 0
		.amdhsa_user_sgpr_queue_ptr 0
		.amdhsa_user_sgpr_kernarg_segment_ptr 1
		.amdhsa_user_sgpr_dispatch_id 0
		.amdhsa_user_sgpr_kernarg_preload_length 0
		.amdhsa_user_sgpr_kernarg_preload_offset 0
		.amdhsa_user_sgpr_private_segment_size 0
		.amdhsa_wavefront_size32 1
		.amdhsa_uses_dynamic_stack 0
		.amdhsa_enable_private_segment 0
		.amdhsa_system_sgpr_workgroup_id_x 1
		.amdhsa_system_sgpr_workgroup_id_y 0
		.amdhsa_system_sgpr_workgroup_id_z 0
		.amdhsa_system_sgpr_workgroup_info 0
		.amdhsa_system_vgpr_workitem_id 0
		.amdhsa_next_free_vgpr 30
		.amdhsa_next_free_sgpr 57
		.amdhsa_named_barrier_count 0
		.amdhsa_reserve_vcc 1
		.amdhsa_float_round_mode_32 0
		.amdhsa_float_round_mode_16_64 0
		.amdhsa_float_denorm_mode_32 3
		.amdhsa_float_denorm_mode_16_64 3
		.amdhsa_fp16_overflow 0
		.amdhsa_memory_ordered 1
		.amdhsa_forward_progress 1
		.amdhsa_inst_pref_size 19
		.amdhsa_round_robin_scheduling 0
		.amdhsa_exception_fp_ieee_invalid_op 0
		.amdhsa_exception_fp_denorm_src 0
		.amdhsa_exception_fp_ieee_div_zero 0
		.amdhsa_exception_fp_ieee_overflow 0
		.amdhsa_exception_fp_ieee_underflow 0
		.amdhsa_exception_fp_ieee_inexact 0
		.amdhsa_exception_int_div_zero 0
	.end_amdhsa_kernel
	.section	.text._ZN2at4cuda17kernelHistogram1DIlllLi1ELi2ELin1ELNS0_23CUDAHistogramMemoryTypeE0EZNS0_21CUDA_tensor_histogramIllLb0EEEbNS_6TensorES4_S4_lNS_14AccumulateTypeIT0_Lb1EE4typeES8_NS0_13TensorArgTypeES9_S9_EUllE_EEvNS0_6detail10TensorInfoIT_T1_EESF_NSC_IKS6_SE_EElS8_S8_SE_T6_,"axG",@progbits,_ZN2at4cuda17kernelHistogram1DIlllLi1ELi2ELin1ELNS0_23CUDAHistogramMemoryTypeE0EZNS0_21CUDA_tensor_histogramIllLb0EEEbNS_6TensorES4_S4_lNS_14AccumulateTypeIT0_Lb1EE4typeES8_NS0_13TensorArgTypeES9_S9_EUllE_EEvNS0_6detail10TensorInfoIT_T1_EESF_NSC_IKS6_SE_EElS8_S8_SE_T6_,comdat
.Lfunc_end40:
	.size	_ZN2at4cuda17kernelHistogram1DIlllLi1ELi2ELin1ELNS0_23CUDAHistogramMemoryTypeE0EZNS0_21CUDA_tensor_histogramIllLb0EEEbNS_6TensorES4_S4_lNS_14AccumulateTypeIT0_Lb1EE4typeES8_NS0_13TensorArgTypeES9_S9_EUllE_EEvNS0_6detail10TensorInfoIT_T1_EESF_NSC_IKS6_SE_EElS8_S8_SE_T6_, .Lfunc_end40-_ZN2at4cuda17kernelHistogram1DIlllLi1ELi2ELin1ELNS0_23CUDAHistogramMemoryTypeE0EZNS0_21CUDA_tensor_histogramIllLb0EEEbNS_6TensorES4_S4_lNS_14AccumulateTypeIT0_Lb1EE4typeES8_NS0_13TensorArgTypeES9_S9_EUllE_EEvNS0_6detail10TensorInfoIT_T1_EESF_NSC_IKS6_SE_EElS8_S8_SE_T6_
                                        ; -- End function
	.set _ZN2at4cuda17kernelHistogram1DIlllLi1ELi2ELin1ELNS0_23CUDAHistogramMemoryTypeE0EZNS0_21CUDA_tensor_histogramIllLb0EEEbNS_6TensorES4_S4_lNS_14AccumulateTypeIT0_Lb1EE4typeES8_NS0_13TensorArgTypeES9_S9_EUllE_EEvNS0_6detail10TensorInfoIT_T1_EESF_NSC_IKS6_SE_EElS8_S8_SE_T6_.num_vgpr, 30
	.set _ZN2at4cuda17kernelHistogram1DIlllLi1ELi2ELin1ELNS0_23CUDAHistogramMemoryTypeE0EZNS0_21CUDA_tensor_histogramIllLb0EEEbNS_6TensorES4_S4_lNS_14AccumulateTypeIT0_Lb1EE4typeES8_NS0_13TensorArgTypeES9_S9_EUllE_EEvNS0_6detail10TensorInfoIT_T1_EESF_NSC_IKS6_SE_EElS8_S8_SE_T6_.num_agpr, 0
	.set _ZN2at4cuda17kernelHistogram1DIlllLi1ELi2ELin1ELNS0_23CUDAHistogramMemoryTypeE0EZNS0_21CUDA_tensor_histogramIllLb0EEEbNS_6TensorES4_S4_lNS_14AccumulateTypeIT0_Lb1EE4typeES8_NS0_13TensorArgTypeES9_S9_EUllE_EEvNS0_6detail10TensorInfoIT_T1_EESF_NSC_IKS6_SE_EElS8_S8_SE_T6_.numbered_sgpr, 57
	.set _ZN2at4cuda17kernelHistogram1DIlllLi1ELi2ELin1ELNS0_23CUDAHistogramMemoryTypeE0EZNS0_21CUDA_tensor_histogramIllLb0EEEbNS_6TensorES4_S4_lNS_14AccumulateTypeIT0_Lb1EE4typeES8_NS0_13TensorArgTypeES9_S9_EUllE_EEvNS0_6detail10TensorInfoIT_T1_EESF_NSC_IKS6_SE_EElS8_S8_SE_T6_.num_named_barrier, 0
	.set _ZN2at4cuda17kernelHistogram1DIlllLi1ELi2ELin1ELNS0_23CUDAHistogramMemoryTypeE0EZNS0_21CUDA_tensor_histogramIllLb0EEEbNS_6TensorES4_S4_lNS_14AccumulateTypeIT0_Lb1EE4typeES8_NS0_13TensorArgTypeES9_S9_EUllE_EEvNS0_6detail10TensorInfoIT_T1_EESF_NSC_IKS6_SE_EElS8_S8_SE_T6_.private_seg_size, 0
	.set _ZN2at4cuda17kernelHistogram1DIlllLi1ELi2ELin1ELNS0_23CUDAHistogramMemoryTypeE0EZNS0_21CUDA_tensor_histogramIllLb0EEEbNS_6TensorES4_S4_lNS_14AccumulateTypeIT0_Lb1EE4typeES8_NS0_13TensorArgTypeES9_S9_EUllE_EEvNS0_6detail10TensorInfoIT_T1_EESF_NSC_IKS6_SE_EElS8_S8_SE_T6_.uses_vcc, 1
	.set _ZN2at4cuda17kernelHistogram1DIlllLi1ELi2ELin1ELNS0_23CUDAHistogramMemoryTypeE0EZNS0_21CUDA_tensor_histogramIllLb0EEEbNS_6TensorES4_S4_lNS_14AccumulateTypeIT0_Lb1EE4typeES8_NS0_13TensorArgTypeES9_S9_EUllE_EEvNS0_6detail10TensorInfoIT_T1_EESF_NSC_IKS6_SE_EElS8_S8_SE_T6_.uses_flat_scratch, 0
	.set _ZN2at4cuda17kernelHistogram1DIlllLi1ELi2ELin1ELNS0_23CUDAHistogramMemoryTypeE0EZNS0_21CUDA_tensor_histogramIllLb0EEEbNS_6TensorES4_S4_lNS_14AccumulateTypeIT0_Lb1EE4typeES8_NS0_13TensorArgTypeES9_S9_EUllE_EEvNS0_6detail10TensorInfoIT_T1_EESF_NSC_IKS6_SE_EElS8_S8_SE_T6_.has_dyn_sized_stack, 0
	.set _ZN2at4cuda17kernelHistogram1DIlllLi1ELi2ELin1ELNS0_23CUDAHistogramMemoryTypeE0EZNS0_21CUDA_tensor_histogramIllLb0EEEbNS_6TensorES4_S4_lNS_14AccumulateTypeIT0_Lb1EE4typeES8_NS0_13TensorArgTypeES9_S9_EUllE_EEvNS0_6detail10TensorInfoIT_T1_EESF_NSC_IKS6_SE_EElS8_S8_SE_T6_.has_recursion, 0
	.set _ZN2at4cuda17kernelHistogram1DIlllLi1ELi2ELin1ELNS0_23CUDAHistogramMemoryTypeE0EZNS0_21CUDA_tensor_histogramIllLb0EEEbNS_6TensorES4_S4_lNS_14AccumulateTypeIT0_Lb1EE4typeES8_NS0_13TensorArgTypeES9_S9_EUllE_EEvNS0_6detail10TensorInfoIT_T1_EESF_NSC_IKS6_SE_EElS8_S8_SE_T6_.has_indirect_call, 0
	.section	.AMDGPU.csdata,"",@progbits
; Kernel info:
; codeLenInByte = 2376
; TotalNumSgprs: 59
; NumVgprs: 30
; ScratchSize: 0
; MemoryBound: 0
; FloatMode: 240
; IeeeMode: 1
; LDSByteSize: 0 bytes/workgroup (compile time only)
; SGPRBlocks: 0
; VGPRBlocks: 1
; NumSGPRsForWavesPerEU: 59
; NumVGPRsForWavesPerEU: 30
; NamedBarCnt: 0
; Occupancy: 16
; WaveLimiterHint : 1
; COMPUTE_PGM_RSRC2:SCRATCH_EN: 0
; COMPUTE_PGM_RSRC2:USER_SGPR: 2
; COMPUTE_PGM_RSRC2:TRAP_HANDLER: 0
; COMPUTE_PGM_RSRC2:TGID_X_EN: 1
; COMPUTE_PGM_RSRC2:TGID_Y_EN: 0
; COMPUTE_PGM_RSRC2:TGID_Z_EN: 0
; COMPUTE_PGM_RSRC2:TIDIG_COMP_CNT: 0
	.section	.text._ZN2at4cuda17kernelHistogram1DIlllLi1ELi2ELin1ELNS0_23CUDAHistogramMemoryTypeE1EZNS0_21CUDA_tensor_histogramIllLb0EEEbNS_6TensorES4_S4_lNS_14AccumulateTypeIT0_Lb1EE4typeES8_NS0_13TensorArgTypeES9_S9_EUllE_EEvNS0_6detail10TensorInfoIT_T1_EESF_NSC_IKS6_SE_EElS8_S8_SE_T6_,"axG",@progbits,_ZN2at4cuda17kernelHistogram1DIlllLi1ELi2ELin1ELNS0_23CUDAHistogramMemoryTypeE1EZNS0_21CUDA_tensor_histogramIllLb0EEEbNS_6TensorES4_S4_lNS_14AccumulateTypeIT0_Lb1EE4typeES8_NS0_13TensorArgTypeES9_S9_EUllE_EEvNS0_6detail10TensorInfoIT_T1_EESF_NSC_IKS6_SE_EElS8_S8_SE_T6_,comdat
	.protected	_ZN2at4cuda17kernelHistogram1DIlllLi1ELi2ELin1ELNS0_23CUDAHistogramMemoryTypeE1EZNS0_21CUDA_tensor_histogramIllLb0EEEbNS_6TensorES4_S4_lNS_14AccumulateTypeIT0_Lb1EE4typeES8_NS0_13TensorArgTypeES9_S9_EUllE_EEvNS0_6detail10TensorInfoIT_T1_EESF_NSC_IKS6_SE_EElS8_S8_SE_T6_ ; -- Begin function _ZN2at4cuda17kernelHistogram1DIlllLi1ELi2ELin1ELNS0_23CUDAHistogramMemoryTypeE1EZNS0_21CUDA_tensor_histogramIllLb0EEEbNS_6TensorES4_S4_lNS_14AccumulateTypeIT0_Lb1EE4typeES8_NS0_13TensorArgTypeES9_S9_EUllE_EEvNS0_6detail10TensorInfoIT_T1_EESF_NSC_IKS6_SE_EElS8_S8_SE_T6_
	.globl	_ZN2at4cuda17kernelHistogram1DIlllLi1ELi2ELin1ELNS0_23CUDAHistogramMemoryTypeE1EZNS0_21CUDA_tensor_histogramIllLb0EEEbNS_6TensorES4_S4_lNS_14AccumulateTypeIT0_Lb1EE4typeES8_NS0_13TensorArgTypeES9_S9_EUllE_EEvNS0_6detail10TensorInfoIT_T1_EESF_NSC_IKS6_SE_EElS8_S8_SE_T6_
	.p2align	8
	.type	_ZN2at4cuda17kernelHistogram1DIlllLi1ELi2ELin1ELNS0_23CUDAHistogramMemoryTypeE1EZNS0_21CUDA_tensor_histogramIllLb0EEEbNS_6TensorES4_S4_lNS_14AccumulateTypeIT0_Lb1EE4typeES8_NS0_13TensorArgTypeES9_S9_EUllE_EEvNS0_6detail10TensorInfoIT_T1_EESF_NSC_IKS6_SE_EElS8_S8_SE_T6_,@function
_ZN2at4cuda17kernelHistogram1DIlllLi1ELi2ELin1ELNS0_23CUDAHistogramMemoryTypeE1EZNS0_21CUDA_tensor_histogramIllLb0EEEbNS_6TensorES4_S4_lNS_14AccumulateTypeIT0_Lb1EE4typeES8_NS0_13TensorArgTypeES9_S9_EUllE_EEvNS0_6detail10TensorInfoIT_T1_EESF_NSC_IKS6_SE_EElS8_S8_SE_T6_: ; @_ZN2at4cuda17kernelHistogram1DIlllLi1ELi2ELin1ELNS0_23CUDAHistogramMemoryTypeE1EZNS0_21CUDA_tensor_histogramIllLb0EEEbNS_6TensorES4_S4_lNS_14AccumulateTypeIT0_Lb1EE4typeES8_NS0_13TensorArgTypeES9_S9_EUllE_EEvNS0_6detail10TensorInfoIT_T1_EESF_NSC_IKS6_SE_EElS8_S8_SE_T6_
; %bb.0:
	s_load_b32 s2, s[0:1], 0x6ac
	s_bfe_u32 s12, ttmp6, 0x4000c
	s_load_b256 s[4:11], s[0:1], 0x4e0
	s_add_co_i32 s12, s12, 1
	s_and_b32 s3, ttmp6, 15
	s_mul_i32 s12, ttmp9, s12
	s_getreg_b32 s13, hwreg(HW_REG_IB_STS2, 6, 4)
	s_add_co_i32 s3, s3, s12
	v_mov_b32_e32 v2, 0
	s_mov_b32 s12, exec_lo
	s_delay_alu instid0(VALU_DEP_1) | instskip(SKIP_4) | instid1(SALU_CYCLE_1)
	v_mov_b32_e32 v1, v2
	s_wait_kmcnt 0x0
	s_and_b32 s2, s2, 0xffff
	s_cmp_eq_u32 s13, 0
	s_cselect_b32 s3, ttmp9, s3
	v_mad_u32 v0, s3, s2, v0
	s_mov_b32 s3, 0
	s_delay_alu instid0(VALU_DEP_1)
	v_cmpx_gt_i64_e64 s[10:11], v[0:1]
	s_cbranch_execz .LBB41_16
; %bb.1:
	s_clause 0x1
	s_load_b64 s[12:13], s[0:1], 0x5d0
	s_load_b32 s33, s[0:1], 0x4d8
	s_add_nc_u64 s[24:25], s[0:1], 0x6a0
	s_load_b32 s26, s[24:25], 0x0
	s_clause 0x4
	s_load_b64 s[14:15], s[0:1], 0x500
	s_load_b64 s[16:17], s[0:1], 0x0
	;; [unrolled: 1-line block ×5, first 2 shown]
	s_add_nc_u64 s[30:31], s[0:1], 0x340
	s_wait_xcnt 0x0
	s_sub_nc_u64 s[24:25], s[8:9], s[6:7]
	s_mov_b32 s27, s3
	s_mov_b64 s[28:29], 0xffffffff
	s_mov_b32 s44, 0
	s_wait_kmcnt 0x0
	s_mul_i32 s26, s26, s2
	s_cmp_gt_i32 s33, 1
	s_cselect_b32 s1, -1, 0
	s_add_co_i32 s2, s33, -1
	s_add_co_i32 s33, s33, 1
	s_lshl_b64 s[34:35], s[2:3], 3
	s_delay_alu instid0(SALU_CYCLE_1)
	s_add_nc_u64 s[34:35], s[30:31], s[34:35]
	s_ashr_i32 s30, s25, 31
	s_add_nc_u64 s[34:35], s[34:35], 8
	s_branch .LBB41_4
.LBB41_2:                               ;   in Loop: Header=BB41_4 Depth=1
	s_or_b32 exec_lo, exec_lo, s0
	v_mul_u64_e32 v[4:5], s[12:13], v[0:1]
	s_delay_alu instid0(VALU_DEP_2) | instskip(NEXT) | instid1(VALU_DEP_1)
	v_dual_ashrrev_i32 v7, 31, v6 :: v_dual_mov_b32 v9, s3
	v_cmp_eq_u64_e32 vcc_lo, s[4:5], v[6:7]
	v_cndmask_b32_e64 v8, 0, 1, vcc_lo
	s_delay_alu instid0(VALU_DEP_1) | instskip(NEXT) | instid1(VALU_DEP_1)
	v_sub_nc_u64_e32 v[6:7], v[6:7], v[8:9]
	v_mul_u64_e32 v[6:7], s[18:19], v[6:7]
	v_lshl_add_u64 v[4:5], v[4:5], 3, s[14:15]
	global_load_b64 v[4:5], v[4:5], off
	v_lshl_add_u64 v[6:7], v[6:7], 3, s[16:17]
	s_wait_xcnt 0x0
	s_wait_loadcnt 0x0
	global_atomic_add_u64 v[6:7], v[4:5], off scope:SCOPE_SYS
.LBB41_3:                               ;   in Loop: Header=BB41_4 Depth=1
	s_wait_xcnt 0x0
	s_or_b32 exec_lo, exec_lo, s38
	v_add_nc_u64_e32 v[0:1], s[26:27], v[0:1]
	s_delay_alu instid0(VALU_DEP_1) | instskip(SKIP_1) | instid1(SALU_CYCLE_1)
	v_cmp_le_i64_e32 vcc_lo, s[10:11], v[0:1]
	s_or_b32 s44, vcc_lo, s44
	s_and_not1_b32 exec_lo, exec_lo, s44
	s_cbranch_execz .LBB41_16
.LBB41_4:                               ; =>This Loop Header: Depth=1
                                        ;     Child Loop BB41_5 Depth 2
	v_mov_b64_e32 v[4:5], 0
	v_mov_b64_e32 v[6:7], v[0:1]
	;; [unrolled: 1-line block ×3, first 2 shown]
	s_and_not1_b32 vcc_lo, exec_lo, s1
	s_mov_b64 s[36:37], s[34:35]
	s_mov_b32 s31, s33
	s_cbranch_vccnz .LBB41_11
.LBB41_5:                               ;   Parent Loop BB41_4 Depth=1
                                        ; =>  This Inner Loop Header: Depth=2
	s_load_b64 s[38:39], s[36:37], 0x0
                                        ; implicit-def: $vgpr8_vgpr9
	s_mov_b32 s0, exec_lo
	s_wait_kmcnt 0x0
	s_delay_alu instid0(VALU_DEP_1) | instskip(NEXT) | instid1(VALU_DEP_1)
	v_or_b32_e32 v3, s39, v7
	v_cmpx_ne_u64_e32 0, v[2:3]
	s_xor_b32 s45, exec_lo, s0
	s_cbranch_execz .LBB41_7
; %bb.6:                                ;   in Loop: Header=BB41_5 Depth=2
	s_ashr_i32 s40, s39, 31
	v_dual_mov_b32 v13, v2 :: v_dual_ashrrev_i32 v8, 31, v7
	s_mov_b32 s41, s40
	s_delay_alu instid0(SALU_CYCLE_1) | instskip(NEXT) | instid1(VALU_DEP_1)
	s_add_nc_u64 s[42:43], s[38:39], s[40:41]
	v_mov_b32_e32 v9, v8
	s_xor_b64 s[42:43], s[42:43], s[40:41]
	s_delay_alu instid0(SALU_CYCLE_1)
	s_cvt_f32_u32 s0, s42
	s_cvt_f32_u32 s2, s43
	s_sub_nc_u64 s[48:49], 0, s[42:43]
	v_add_nc_u64_e32 v[10:11], v[6:7], v[8:9]
	v_mov_b32_e32 v17, v2
	s_fmamk_f32 s0, s2, 0x4f800000, s0
	s_delay_alu instid0(SALU_CYCLE_3) | instskip(NEXT) | instid1(VALU_DEP_2)
	v_s_rcp_f32 s0, s0
	v_xor_b32_e32 v12, v10, v8
	s_delay_alu instid0(VALU_DEP_3) | instskip(SKIP_1) | instid1(TRANS32_DEP_1)
	v_dual_mov_b32 v21, v2 :: v_dual_bitop2_b32 v16, v11, v8 bitop3:0x14
	v_xor_b32_e32 v8, s40, v8
	s_mul_f32 s0, s0, 0x5f7ffffc
	s_delay_alu instid0(SALU_CYCLE_3) | instskip(NEXT) | instid1(SALU_CYCLE_3)
	s_mul_f32 s2, s0, 0x2f800000
	s_trunc_f32 s2, s2
	s_delay_alu instid0(SALU_CYCLE_3) | instskip(SKIP_1) | instid1(SALU_CYCLE_2)
	s_fmamk_f32 s0, s2, 0xcf800000, s0
	s_cvt_u32_f32 s47, s2
	s_cvt_u32_f32 s46, s0
	s_delay_alu instid0(SALU_CYCLE_3) | instskip(NEXT) | instid1(SALU_CYCLE_1)
	s_mul_u64 s[50:51], s[48:49], s[46:47]
	s_mul_hi_u32 s53, s46, s51
	s_mul_i32 s52, s46, s51
	s_mul_hi_u32 s2, s46, s50
	s_mul_i32 s41, s47, s50
	s_add_nc_u64 s[52:53], s[2:3], s[52:53]
	s_mul_hi_u32 s0, s47, s50
	s_mul_hi_u32 s54, s47, s51
	s_add_co_u32 s2, s52, s41
	s_add_co_ci_u32 s2, s53, s0
	s_mul_i32 s50, s47, s51
	s_add_co_ci_u32 s51, s54, 0
	s_delay_alu instid0(SALU_CYCLE_1) | instskip(NEXT) | instid1(SALU_CYCLE_1)
	s_add_nc_u64 s[50:51], s[2:3], s[50:51]
	s_add_co_u32 s46, s46, s50
	s_cselect_b32 s0, -1, 0
	s_delay_alu instid0(SALU_CYCLE_1) | instskip(SKIP_1) | instid1(SALU_CYCLE_1)
	s_cmp_lg_u32 s0, 0
	s_add_co_ci_u32 s47, s47, s51
	s_mul_u64 s[48:49], s[48:49], s[46:47]
	s_delay_alu instid0(SALU_CYCLE_1)
	s_mul_hi_u32 s51, s46, s49
	s_mul_i32 s50, s46, s49
	s_mul_hi_u32 s2, s46, s48
	s_mul_i32 s41, s47, s48
	s_add_nc_u64 s[50:51], s[2:3], s[50:51]
	s_mul_hi_u32 s0, s47, s48
	s_mul_hi_u32 s52, s47, s49
	s_add_co_u32 s2, s50, s41
	s_add_co_ci_u32 s2, s51, s0
	s_mul_i32 s48, s47, s49
	s_add_co_ci_u32 s49, s52, 0
	s_delay_alu instid0(SALU_CYCLE_1) | instskip(NEXT) | instid1(SALU_CYCLE_1)
	s_add_nc_u64 s[48:49], s[2:3], s[48:49]
	s_add_co_u32 s0, s46, s48
	s_cselect_b32 s2, -1, 0
	v_mul_hi_u32 v20, v12, s0
	s_cmp_lg_u32 s2, 0
	s_add_co_ci_u32 s2, s47, s49
	s_and_b64 s[46:47], s[0:1], s[28:29]
	v_mul_u64_e32 v[14:15], s[2:3], v[12:13]
	v_mul_u64_e32 v[10:11], s[46:47], v[16:17]
	;; [unrolled: 1-line block ×3, first 2 shown]
	s_delay_alu instid0(VALU_DEP_3) | instskip(NEXT) | instid1(VALU_DEP_1)
	v_add_nc_u64_e32 v[14:15], v[20:21], v[14:15]
	v_add_co_u32 v3, vcc_lo, v14, v10
	s_delay_alu instid0(VALU_DEP_2) | instskip(NEXT) | instid1(VALU_DEP_4)
	v_add_co_ci_u32_e32 v20, vcc_lo, v15, v11, vcc_lo
	v_add_co_ci_u32_e32 v19, vcc_lo, 0, v19, vcc_lo
	s_delay_alu instid0(VALU_DEP_1) | instskip(NEXT) | instid1(VALU_DEP_1)
	v_add_nc_u64_e32 v[10:11], v[20:21], v[18:19]
	v_mul_u64_e32 v[14:15], s[42:43], v[10:11]
	s_delay_alu instid0(VALU_DEP_1) | instskip(NEXT) | instid1(VALU_DEP_2)
	v_sub_nc_u32_e32 v3, v16, v15
	v_sub_co_u32 v9, vcc_lo, v12, v14
	s_delay_alu instid0(VALU_DEP_1) | instskip(NEXT) | instid1(VALU_DEP_3)
	v_sub_co_ci_u32_e64 v16, null, v16, v15, vcc_lo
	v_subrev_co_ci_u32_e64 v3, null, s43, v3, vcc_lo
	s_delay_alu instid0(VALU_DEP_3) | instskip(SKIP_1) | instid1(VALU_DEP_3)
	v_sub_co_u32 v12, s0, v9, s42
	v_add_nc_u64_e32 v[14:15], 1, v[10:11]
	v_subrev_co_ci_u32_e64 v3, null, 0, v3, s0
	s_delay_alu instid0(VALU_DEP_3) | instskip(SKIP_1) | instid1(VALU_DEP_3)
	v_cmp_le_u32_e32 vcc_lo, s42, v12
	v_cndmask_b32_e64 v12, 0, -1, vcc_lo
	v_cmp_le_u32_e32 vcc_lo, s43, v3
	v_cndmask_b32_e64 v13, 0, -1, vcc_lo
	;; [unrolled: 2-line block ×4, first 2 shown]
	v_cmp_eq_u32_e32 vcc_lo, s43, v3
	v_cndmask_b32_e32 v3, v13, v12, vcc_lo
	v_cmp_eq_u32_e32 vcc_lo, s43, v16
	v_add_nc_u64_e32 v[12:13], 2, v[10:11]
	v_cndmask_b32_e32 v9, v17, v9, vcc_lo
	s_delay_alu instid0(VALU_DEP_4) | instskip(NEXT) | instid1(VALU_DEP_2)
	v_cmp_ne_u32_e32 vcc_lo, 0, v3
	v_cmp_ne_u32_e64 s0, 0, v9
	s_delay_alu instid0(VALU_DEP_4) | instskip(NEXT) | instid1(VALU_DEP_1)
	v_dual_cndmask_b32 v3, v15, v13, vcc_lo :: v_dual_cndmask_b32 v9, v14, v12, vcc_lo
	v_dual_cndmask_b32 v10, v10, v9, s0 :: v_dual_mov_b32 v9, v8
	s_delay_alu instid0(VALU_DEP_1) | instskip(NEXT) | instid1(VALU_DEP_1)
	v_dual_cndmask_b32 v3, v11, v3, s0 :: v_dual_bitop2_b32 v10, v10, v8 bitop3:0x14
	v_xor_b32_e32 v11, v3, v8
	s_delay_alu instid0(VALU_DEP_1)
	v_sub_nc_u64_e32 v[8:9], v[10:11], v[8:9]
.LBB41_7:                               ;   in Loop: Header=BB41_5 Depth=2
	s_and_not1_saveexec_b32 s0, s45
	s_cbranch_execz .LBB41_9
; %bb.8:                                ;   in Loop: Header=BB41_5 Depth=2
	v_cvt_f32_u32_e32 v3, s38
	s_sub_co_i32 s2, 0, s38
	s_delay_alu instid0(VALU_DEP_1) | instskip(SKIP_1) | instid1(TRANS32_DEP_1)
	v_rcp_iflag_f32_e32 v3, v3
	v_nop
	v_mul_f32_e32 v3, 0x4f7ffffe, v3
	s_delay_alu instid0(VALU_DEP_1) | instskip(NEXT) | instid1(VALU_DEP_1)
	v_cvt_u32_f32_e32 v3, v3
	v_mul_lo_u32 v8, s2, v3
	s_delay_alu instid0(VALU_DEP_1) | instskip(NEXT) | instid1(VALU_DEP_1)
	v_mul_hi_u32 v8, v3, v8
	v_add_nc_u32_e32 v3, v3, v8
	s_delay_alu instid0(VALU_DEP_1) | instskip(NEXT) | instid1(VALU_DEP_1)
	v_mul_hi_u32 v3, v6, v3
	v_mul_lo_u32 v8, v3, s38
	s_delay_alu instid0(VALU_DEP_1) | instskip(NEXT) | instid1(VALU_DEP_1)
	v_dual_add_nc_u32 v9, 1, v3 :: v_dual_sub_nc_u32 v8, v6, v8
	v_subrev_nc_u32_e32 v10, s38, v8
	v_cmp_le_u32_e32 vcc_lo, s38, v8
	s_delay_alu instid0(VALU_DEP_2) | instskip(NEXT) | instid1(VALU_DEP_1)
	v_dual_cndmask_b32 v8, v8, v10 :: v_dual_cndmask_b32 v3, v3, v9
	v_cmp_le_u32_e32 vcc_lo, s38, v8
	s_delay_alu instid0(VALU_DEP_2) | instskip(NEXT) | instid1(VALU_DEP_1)
	v_add_nc_u32_e32 v9, 1, v3
	v_dual_cndmask_b32 v8, v3, v9 :: v_dual_mov_b32 v9, v2
.LBB41_9:                               ;   in Loop: Header=BB41_5 Depth=2
	s_or_b32 exec_lo, exec_lo, s0
	s_delay_alu instid0(VALU_DEP_1)
	v_mul_u64_e32 v[10:11], s[38:39], v[8:9]
	s_load_b64 s[38:39], s[36:37], 0xc8
	s_add_co_i32 s31, s31, -1
	s_wait_xcnt 0x0
	s_add_nc_u64 s[36:37], s[36:37], -8
	s_cmp_gt_u32 s31, 2
	s_delay_alu instid0(VALU_DEP_1) | instskip(SKIP_1) | instid1(VALU_DEP_1)
	v_sub_nc_u64_e32 v[6:7], v[6:7], v[10:11]
	s_wait_kmcnt 0x0
	v_mad_nc_u64_u32 v[4:5], s38, v6, v[4:5]
	s_delay_alu instid0(VALU_DEP_1) | instskip(NEXT) | instid1(VALU_DEP_1)
	v_mad_u32 v3, s39, v6, v5
	v_mad_u32 v5, s38, v7, v3
	s_cbranch_scc0 .LBB41_11
; %bb.10:                               ;   in Loop: Header=BB41_5 Depth=2
	v_mov_b64_e32 v[6:7], v[8:9]
	s_branch .LBB41_5
.LBB41_11:                              ;   in Loop: Header=BB41_4 Depth=1
	s_delay_alu instid0(VALU_DEP_1) | instskip(NEXT) | instid1(VALU_DEP_1)
	v_mul_u64_e32 v[6:7], s[20:21], v[8:9]
	v_lshl_add_u64 v[6:7], v[6:7], 3, s[22:23]
	s_delay_alu instid0(VALU_DEP_1)
	v_lshl_add_u64 v[4:5], v[4:5], 3, v[6:7]
	global_load_b64 v[4:5], v[4:5], off
	s_wait_loadcnt 0x0
	v_cmp_le_i64_e32 vcc_lo, s[6:7], v[4:5]
	v_cmp_ge_i64_e64 s0, s[8:9], v[4:5]
	s_and_b32 s0, vcc_lo, s0
	s_wait_xcnt 0x0
	s_and_saveexec_b32 s38, s0
	s_cbranch_execz .LBB41_3
; %bb.12:                               ;   in Loop: Header=BB41_4 Depth=1
	v_sub_nc_u64_e64 v[4:5], v[4:5], s[6:7]
                                        ; implicit-def: $vgpr6_vgpr7
	s_mov_b32 s0, exec_lo
	s_delay_alu instid0(VALU_DEP_1) | instskip(NEXT) | instid1(VALU_DEP_1)
	v_mul_u64_e32 v[4:5], s[4:5], v[4:5]
	v_or_b32_e32 v3, s25, v5
	s_delay_alu instid0(VALU_DEP_1)
	v_cmpx_ne_u64_e32 0, v[2:3]
	s_xor_b32 s39, exec_lo, s0
	s_cbranch_execz .LBB41_14
; %bb.13:                               ;   in Loop: Header=BB41_4 Depth=1
	s_mov_b32 s31, s30
	v_dual_mov_b32 v9, v2 :: v_dual_ashrrev_i32 v6, 31, v5
	s_add_nc_u64 s[36:37], s[24:25], s[30:31]
	s_delay_alu instid0(SALU_CYCLE_1) | instskip(NEXT) | instid1(VALU_DEP_1)
	s_xor_b64 s[36:37], s[36:37], s[30:31]
	v_mov_b32_e32 v7, v6
	s_cvt_f32_u32 s0, s36
	s_cvt_f32_u32 s2, s37
	s_sub_nc_u64 s[42:43], 0, s[36:37]
	s_delay_alu instid0(VALU_DEP_1) | instskip(NEXT) | instid1(SALU_CYCLE_1)
	v_add_nc_u64_e32 v[4:5], v[4:5], v[6:7]
	s_fmamk_f32 s0, s2, 0x4f800000, s0
	v_mov_b32_e32 v13, v2
	s_delay_alu instid0(SALU_CYCLE_2) | instskip(NEXT) | instid1(VALU_DEP_2)
	v_s_rcp_f32 s0, s0
	v_xor_b32_e32 v8, v4, v6
	s_delay_alu instid0(VALU_DEP_3) | instskip(NEXT) | instid1(TRANS32_DEP_1)
	v_dual_mov_b32 v17, v2 :: v_dual_bitop2_b32 v12, v5, v6 bitop3:0x14
	s_mul_f32 s0, s0, 0x5f7ffffc
	s_delay_alu instid0(SALU_CYCLE_3) | instskip(NEXT) | instid1(SALU_CYCLE_3)
	s_mul_f32 s2, s0, 0x2f800000
	s_trunc_f32 s2, s2
	s_delay_alu instid0(SALU_CYCLE_3) | instskip(SKIP_1) | instid1(SALU_CYCLE_2)
	s_fmamk_f32 s0, s2, 0xcf800000, s0
	s_cvt_u32_f32 s41, s2
	s_cvt_u32_f32 s40, s0
	s_delay_alu instid0(SALU_CYCLE_3) | instskip(NEXT) | instid1(SALU_CYCLE_1)
	s_mul_u64 s[46:47], s[42:43], s[40:41]
	s_mul_hi_u32 s49, s40, s47
	s_mul_i32 s48, s40, s47
	s_mul_hi_u32 s2, s40, s46
	s_mul_i32 s31, s41, s46
	s_add_nc_u64 s[48:49], s[2:3], s[48:49]
	s_mul_hi_u32 s0, s41, s46
	s_mul_hi_u32 s45, s41, s47
	s_add_co_u32 s2, s48, s31
	s_add_co_ci_u32 s2, s49, s0
	s_mul_i32 s46, s41, s47
	s_add_co_ci_u32 s47, s45, 0
	s_delay_alu instid0(SALU_CYCLE_1) | instskip(NEXT) | instid1(SALU_CYCLE_1)
	s_add_nc_u64 s[46:47], s[2:3], s[46:47]
	s_add_co_u32 s40, s40, s46
	s_cselect_b32 s0, -1, 0
	s_delay_alu instid0(SALU_CYCLE_1) | instskip(SKIP_1) | instid1(SALU_CYCLE_1)
	s_cmp_lg_u32 s0, 0
	s_add_co_ci_u32 s41, s41, s47
	s_mul_u64 s[42:43], s[42:43], s[40:41]
	s_delay_alu instid0(SALU_CYCLE_1)
	s_mul_hi_u32 s47, s40, s43
	s_mul_i32 s46, s40, s43
	s_mul_hi_u32 s2, s40, s42
	s_mul_i32 s31, s41, s42
	s_add_nc_u64 s[46:47], s[2:3], s[46:47]
	s_mul_hi_u32 s0, s41, s42
	s_mul_hi_u32 s45, s41, s43
	s_add_co_u32 s2, s46, s31
	s_add_co_ci_u32 s2, s47, s0
	s_mul_i32 s42, s41, s43
	s_add_co_ci_u32 s43, s45, 0
	s_delay_alu instid0(SALU_CYCLE_1) | instskip(NEXT) | instid1(SALU_CYCLE_1)
	s_add_nc_u64 s[42:43], s[2:3], s[42:43]
	s_add_co_u32 s0, s40, s42
	s_cselect_b32 s2, -1, 0
	v_mul_hi_u32 v16, v8, s0
	s_cmp_lg_u32 s2, 0
	s_add_co_ci_u32 s2, s41, s43
	s_and_b64 s[40:41], s[0:1], s[28:29]
	v_mul_u64_e32 v[10:11], s[2:3], v[8:9]
	v_mul_u64_e32 v[4:5], s[40:41], v[12:13]
	;; [unrolled: 1-line block ×3, first 2 shown]
	s_delay_alu instid0(VALU_DEP_3) | instskip(NEXT) | instid1(VALU_DEP_1)
	v_add_nc_u64_e32 v[10:11], v[16:17], v[10:11]
	v_add_co_u32 v3, vcc_lo, v10, v4
	s_delay_alu instid0(VALU_DEP_2) | instskip(NEXT) | instid1(VALU_DEP_4)
	v_add_co_ci_u32_e32 v16, vcc_lo, v11, v5, vcc_lo
	v_add_co_ci_u32_e32 v15, vcc_lo, 0, v15, vcc_lo
	s_delay_alu instid0(VALU_DEP_1) | instskip(NEXT) | instid1(VALU_DEP_1)
	v_add_nc_u64_e32 v[4:5], v[16:17], v[14:15]
	v_mul_u64_e32 v[10:11], s[36:37], v[4:5]
	s_delay_alu instid0(VALU_DEP_1) | instskip(NEXT) | instid1(VALU_DEP_2)
	v_sub_nc_u32_e32 v3, v12, v11
	v_sub_co_u32 v7, vcc_lo, v8, v10
	s_delay_alu instid0(VALU_DEP_1) | instskip(NEXT) | instid1(VALU_DEP_3)
	v_sub_co_ci_u32_e64 v12, null, v12, v11, vcc_lo
	v_subrev_co_ci_u32_e64 v3, null, s37, v3, vcc_lo
	s_delay_alu instid0(VALU_DEP_3) | instskip(SKIP_1) | instid1(VALU_DEP_3)
	v_sub_co_u32 v8, s0, v7, s36
	v_add_nc_u64_e32 v[10:11], 1, v[4:5]
	v_subrev_co_ci_u32_e64 v3, null, 0, v3, s0
	s_delay_alu instid0(VALU_DEP_3) | instskip(SKIP_1) | instid1(VALU_DEP_3)
	v_cmp_le_u32_e32 vcc_lo, s36, v8
	v_cndmask_b32_e64 v8, 0, -1, vcc_lo
	v_cmp_le_u32_e32 vcc_lo, s37, v3
	v_cndmask_b32_e64 v9, 0, -1, vcc_lo
	;; [unrolled: 2-line block ×4, first 2 shown]
	v_cmp_eq_u32_e32 vcc_lo, s37, v3
	v_cndmask_b32_e32 v3, v9, v8, vcc_lo
	v_cmp_eq_u32_e32 vcc_lo, s37, v12
	v_add_nc_u64_e32 v[8:9], 2, v[4:5]
	v_cndmask_b32_e32 v7, v13, v7, vcc_lo
	s_delay_alu instid0(VALU_DEP_4) | instskip(NEXT) | instid1(VALU_DEP_3)
	v_cmp_ne_u32_e32 vcc_lo, 0, v3
	v_cndmask_b32_e32 v3, v11, v9, vcc_lo
	s_delay_alu instid0(VALU_DEP_3) | instskip(SKIP_1) | instid1(VALU_DEP_2)
	v_cmp_ne_u32_e64 s0, 0, v7
	v_dual_cndmask_b32 v7, v10, v8, vcc_lo :: v_dual_bitop2_b32 v6, s30, v6 bitop3:0x14
	v_cndmask_b32_e64 v3, v5, v3, s0
	s_delay_alu instid0(VALU_DEP_2) | instskip(NEXT) | instid1(VALU_DEP_2)
	v_dual_cndmask_b32 v4, v4, v7, s0 :: v_dual_mov_b32 v7, v6
	v_xor_b32_e32 v5, v3, v6
	s_delay_alu instid0(VALU_DEP_2) | instskip(NEXT) | instid1(VALU_DEP_1)
	v_xor_b32_e32 v4, v4, v6
	v_sub_nc_u64_e32 v[6:7], v[4:5], v[6:7]
                                        ; implicit-def: $vgpr4_vgpr5
.LBB41_14:                              ;   in Loop: Header=BB41_4 Depth=1
	s_and_not1_saveexec_b32 s0, s39
	s_cbranch_execz .LBB41_2
; %bb.15:                               ;   in Loop: Header=BB41_4 Depth=1
	v_cvt_f32_u32_e32 v3, s24
	s_sub_co_i32 s2, 0, s24
	s_delay_alu instid0(VALU_DEP_1) | instskip(SKIP_1) | instid1(TRANS32_DEP_1)
	v_rcp_iflag_f32_e32 v3, v3
	v_nop
	v_mul_f32_e32 v3, 0x4f7ffffe, v3
	s_delay_alu instid0(VALU_DEP_1) | instskip(NEXT) | instid1(VALU_DEP_1)
	v_cvt_u32_f32_e32 v3, v3
	v_mul_lo_u32 v5, s2, v3
	s_delay_alu instid0(VALU_DEP_1) | instskip(NEXT) | instid1(VALU_DEP_1)
	v_mul_hi_u32 v5, v3, v5
	v_add_nc_u32_e32 v3, v3, v5
	s_delay_alu instid0(VALU_DEP_1) | instskip(NEXT) | instid1(VALU_DEP_1)
	v_mul_hi_u32 v3, v4, v3
	v_mul_lo_u32 v5, v3, s24
	s_delay_alu instid0(VALU_DEP_1) | instskip(NEXT) | instid1(VALU_DEP_1)
	v_dual_sub_nc_u32 v4, v4, v5 :: v_dual_add_nc_u32 v5, 1, v3
	v_subrev_nc_u32_e32 v6, s24, v4
	v_cmp_le_u32_e32 vcc_lo, s24, v4
	s_delay_alu instid0(VALU_DEP_2) | instskip(NEXT) | instid1(VALU_DEP_1)
	v_dual_cndmask_b32 v4, v4, v6 :: v_dual_cndmask_b32 v3, v3, v5
	v_cmp_le_u32_e32 vcc_lo, s24, v4
	s_delay_alu instid0(VALU_DEP_2) | instskip(NEXT) | instid1(VALU_DEP_1)
	v_add_nc_u32_e32 v5, 1, v3
	v_cndmask_b32_e32 v6, v3, v5, vcc_lo
	s_branch .LBB41_2
.LBB41_16:
	s_endpgm
	.section	.rodata,"a",@progbits
	.p2align	6, 0x0
	.amdhsa_kernel _ZN2at4cuda17kernelHistogram1DIlllLi1ELi2ELin1ELNS0_23CUDAHistogramMemoryTypeE1EZNS0_21CUDA_tensor_histogramIllLb0EEEbNS_6TensorES4_S4_lNS_14AccumulateTypeIT0_Lb1EE4typeES8_NS0_13TensorArgTypeES9_S9_EUllE_EEvNS0_6detail10TensorInfoIT_T1_EESF_NSC_IKS6_SE_EElS8_S8_SE_T6_
		.amdhsa_group_segment_fixed_size 0
		.amdhsa_private_segment_fixed_size 0
		.amdhsa_kernarg_size 1952
		.amdhsa_user_sgpr_count 2
		.amdhsa_user_sgpr_dispatch_ptr 0
		.amdhsa_user_sgpr_queue_ptr 0
		.amdhsa_user_sgpr_kernarg_segment_ptr 1
		.amdhsa_user_sgpr_dispatch_id 0
		.amdhsa_user_sgpr_kernarg_preload_length 0
		.amdhsa_user_sgpr_kernarg_preload_offset 0
		.amdhsa_user_sgpr_private_segment_size 0
		.amdhsa_wavefront_size32 1
		.amdhsa_uses_dynamic_stack 0
		.amdhsa_enable_private_segment 0
		.amdhsa_system_sgpr_workgroup_id_x 1
		.amdhsa_system_sgpr_workgroup_id_y 0
		.amdhsa_system_sgpr_workgroup_id_z 0
		.amdhsa_system_sgpr_workgroup_info 0
		.amdhsa_system_vgpr_workitem_id 0
		.amdhsa_next_free_vgpr 22
		.amdhsa_next_free_sgpr 55
		.amdhsa_named_barrier_count 0
		.amdhsa_reserve_vcc 1
		.amdhsa_float_round_mode_32 0
		.amdhsa_float_round_mode_16_64 0
		.amdhsa_float_denorm_mode_32 3
		.amdhsa_float_denorm_mode_16_64 3
		.amdhsa_fp16_overflow 0
		.amdhsa_memory_ordered 1
		.amdhsa_forward_progress 1
		.amdhsa_inst_pref_size 17
		.amdhsa_round_robin_scheduling 0
		.amdhsa_exception_fp_ieee_invalid_op 0
		.amdhsa_exception_fp_denorm_src 0
		.amdhsa_exception_fp_ieee_div_zero 0
		.amdhsa_exception_fp_ieee_overflow 0
		.amdhsa_exception_fp_ieee_underflow 0
		.amdhsa_exception_fp_ieee_inexact 0
		.amdhsa_exception_int_div_zero 0
	.end_amdhsa_kernel
	.section	.text._ZN2at4cuda17kernelHistogram1DIlllLi1ELi2ELin1ELNS0_23CUDAHistogramMemoryTypeE1EZNS0_21CUDA_tensor_histogramIllLb0EEEbNS_6TensorES4_S4_lNS_14AccumulateTypeIT0_Lb1EE4typeES8_NS0_13TensorArgTypeES9_S9_EUllE_EEvNS0_6detail10TensorInfoIT_T1_EESF_NSC_IKS6_SE_EElS8_S8_SE_T6_,"axG",@progbits,_ZN2at4cuda17kernelHistogram1DIlllLi1ELi2ELin1ELNS0_23CUDAHistogramMemoryTypeE1EZNS0_21CUDA_tensor_histogramIllLb0EEEbNS_6TensorES4_S4_lNS_14AccumulateTypeIT0_Lb1EE4typeES8_NS0_13TensorArgTypeES9_S9_EUllE_EEvNS0_6detail10TensorInfoIT_T1_EESF_NSC_IKS6_SE_EElS8_S8_SE_T6_,comdat
.Lfunc_end41:
	.size	_ZN2at4cuda17kernelHistogram1DIlllLi1ELi2ELin1ELNS0_23CUDAHistogramMemoryTypeE1EZNS0_21CUDA_tensor_histogramIllLb0EEEbNS_6TensorES4_S4_lNS_14AccumulateTypeIT0_Lb1EE4typeES8_NS0_13TensorArgTypeES9_S9_EUllE_EEvNS0_6detail10TensorInfoIT_T1_EESF_NSC_IKS6_SE_EElS8_S8_SE_T6_, .Lfunc_end41-_ZN2at4cuda17kernelHistogram1DIlllLi1ELi2ELin1ELNS0_23CUDAHistogramMemoryTypeE1EZNS0_21CUDA_tensor_histogramIllLb0EEEbNS_6TensorES4_S4_lNS_14AccumulateTypeIT0_Lb1EE4typeES8_NS0_13TensorArgTypeES9_S9_EUllE_EEvNS0_6detail10TensorInfoIT_T1_EESF_NSC_IKS6_SE_EElS8_S8_SE_T6_
                                        ; -- End function
	.set _ZN2at4cuda17kernelHistogram1DIlllLi1ELi2ELin1ELNS0_23CUDAHistogramMemoryTypeE1EZNS0_21CUDA_tensor_histogramIllLb0EEEbNS_6TensorES4_S4_lNS_14AccumulateTypeIT0_Lb1EE4typeES8_NS0_13TensorArgTypeES9_S9_EUllE_EEvNS0_6detail10TensorInfoIT_T1_EESF_NSC_IKS6_SE_EElS8_S8_SE_T6_.num_vgpr, 22
	.set _ZN2at4cuda17kernelHistogram1DIlllLi1ELi2ELin1ELNS0_23CUDAHistogramMemoryTypeE1EZNS0_21CUDA_tensor_histogramIllLb0EEEbNS_6TensorES4_S4_lNS_14AccumulateTypeIT0_Lb1EE4typeES8_NS0_13TensorArgTypeES9_S9_EUllE_EEvNS0_6detail10TensorInfoIT_T1_EESF_NSC_IKS6_SE_EElS8_S8_SE_T6_.num_agpr, 0
	.set _ZN2at4cuda17kernelHistogram1DIlllLi1ELi2ELin1ELNS0_23CUDAHistogramMemoryTypeE1EZNS0_21CUDA_tensor_histogramIllLb0EEEbNS_6TensorES4_S4_lNS_14AccumulateTypeIT0_Lb1EE4typeES8_NS0_13TensorArgTypeES9_S9_EUllE_EEvNS0_6detail10TensorInfoIT_T1_EESF_NSC_IKS6_SE_EElS8_S8_SE_T6_.numbered_sgpr, 55
	.set _ZN2at4cuda17kernelHistogram1DIlllLi1ELi2ELin1ELNS0_23CUDAHistogramMemoryTypeE1EZNS0_21CUDA_tensor_histogramIllLb0EEEbNS_6TensorES4_S4_lNS_14AccumulateTypeIT0_Lb1EE4typeES8_NS0_13TensorArgTypeES9_S9_EUllE_EEvNS0_6detail10TensorInfoIT_T1_EESF_NSC_IKS6_SE_EElS8_S8_SE_T6_.num_named_barrier, 0
	.set _ZN2at4cuda17kernelHistogram1DIlllLi1ELi2ELin1ELNS0_23CUDAHistogramMemoryTypeE1EZNS0_21CUDA_tensor_histogramIllLb0EEEbNS_6TensorES4_S4_lNS_14AccumulateTypeIT0_Lb1EE4typeES8_NS0_13TensorArgTypeES9_S9_EUllE_EEvNS0_6detail10TensorInfoIT_T1_EESF_NSC_IKS6_SE_EElS8_S8_SE_T6_.private_seg_size, 0
	.set _ZN2at4cuda17kernelHistogram1DIlllLi1ELi2ELin1ELNS0_23CUDAHistogramMemoryTypeE1EZNS0_21CUDA_tensor_histogramIllLb0EEEbNS_6TensorES4_S4_lNS_14AccumulateTypeIT0_Lb1EE4typeES8_NS0_13TensorArgTypeES9_S9_EUllE_EEvNS0_6detail10TensorInfoIT_T1_EESF_NSC_IKS6_SE_EElS8_S8_SE_T6_.uses_vcc, 1
	.set _ZN2at4cuda17kernelHistogram1DIlllLi1ELi2ELin1ELNS0_23CUDAHistogramMemoryTypeE1EZNS0_21CUDA_tensor_histogramIllLb0EEEbNS_6TensorES4_S4_lNS_14AccumulateTypeIT0_Lb1EE4typeES8_NS0_13TensorArgTypeES9_S9_EUllE_EEvNS0_6detail10TensorInfoIT_T1_EESF_NSC_IKS6_SE_EElS8_S8_SE_T6_.uses_flat_scratch, 0
	.set _ZN2at4cuda17kernelHistogram1DIlllLi1ELi2ELin1ELNS0_23CUDAHistogramMemoryTypeE1EZNS0_21CUDA_tensor_histogramIllLb0EEEbNS_6TensorES4_S4_lNS_14AccumulateTypeIT0_Lb1EE4typeES8_NS0_13TensorArgTypeES9_S9_EUllE_EEvNS0_6detail10TensorInfoIT_T1_EESF_NSC_IKS6_SE_EElS8_S8_SE_T6_.has_dyn_sized_stack, 0
	.set _ZN2at4cuda17kernelHistogram1DIlllLi1ELi2ELin1ELNS0_23CUDAHistogramMemoryTypeE1EZNS0_21CUDA_tensor_histogramIllLb0EEEbNS_6TensorES4_S4_lNS_14AccumulateTypeIT0_Lb1EE4typeES8_NS0_13TensorArgTypeES9_S9_EUllE_EEvNS0_6detail10TensorInfoIT_T1_EESF_NSC_IKS6_SE_EElS8_S8_SE_T6_.has_recursion, 0
	.set _ZN2at4cuda17kernelHistogram1DIlllLi1ELi2ELin1ELNS0_23CUDAHistogramMemoryTypeE1EZNS0_21CUDA_tensor_histogramIllLb0EEEbNS_6TensorES4_S4_lNS_14AccumulateTypeIT0_Lb1EE4typeES8_NS0_13TensorArgTypeES9_S9_EUllE_EEvNS0_6detail10TensorInfoIT_T1_EESF_NSC_IKS6_SE_EElS8_S8_SE_T6_.has_indirect_call, 0
	.section	.AMDGPU.csdata,"",@progbits
; Kernel info:
; codeLenInByte = 2084
; TotalNumSgprs: 57
; NumVgprs: 22
; ScratchSize: 0
; MemoryBound: 0
; FloatMode: 240
; IeeeMode: 1
; LDSByteSize: 0 bytes/workgroup (compile time only)
; SGPRBlocks: 0
; VGPRBlocks: 1
; NumSGPRsForWavesPerEU: 57
; NumVGPRsForWavesPerEU: 22
; NamedBarCnt: 0
; Occupancy: 16
; WaveLimiterHint : 1
; COMPUTE_PGM_RSRC2:SCRATCH_EN: 0
; COMPUTE_PGM_RSRC2:USER_SGPR: 2
; COMPUTE_PGM_RSRC2:TRAP_HANDLER: 0
; COMPUTE_PGM_RSRC2:TGID_X_EN: 1
; COMPUTE_PGM_RSRC2:TGID_Y_EN: 0
; COMPUTE_PGM_RSRC2:TGID_Z_EN: 0
; COMPUTE_PGM_RSRC2:TIDIG_COMP_CNT: 0
	.section	.text._ZN2at4cuda17kernelHistogram1DIlllLi1ELi2ELin1ELNS0_23CUDAHistogramMemoryTypeE0EZNS0_21CUDA_tensor_histogramIllLb0EEEbNS_6TensorES4_S4_lNS_14AccumulateTypeIT0_Lb1EE4typeES8_NS0_13TensorArgTypeES9_S9_EUllE0_EEvNS0_6detail10TensorInfoIT_T1_EESF_NSC_IKS6_SE_EElS8_S8_SE_T6_,"axG",@progbits,_ZN2at4cuda17kernelHistogram1DIlllLi1ELi2ELin1ELNS0_23CUDAHistogramMemoryTypeE0EZNS0_21CUDA_tensor_histogramIllLb0EEEbNS_6TensorES4_S4_lNS_14AccumulateTypeIT0_Lb1EE4typeES8_NS0_13TensorArgTypeES9_S9_EUllE0_EEvNS0_6detail10TensorInfoIT_T1_EESF_NSC_IKS6_SE_EElS8_S8_SE_T6_,comdat
	.protected	_ZN2at4cuda17kernelHistogram1DIlllLi1ELi2ELin1ELNS0_23CUDAHistogramMemoryTypeE0EZNS0_21CUDA_tensor_histogramIllLb0EEEbNS_6TensorES4_S4_lNS_14AccumulateTypeIT0_Lb1EE4typeES8_NS0_13TensorArgTypeES9_S9_EUllE0_EEvNS0_6detail10TensorInfoIT_T1_EESF_NSC_IKS6_SE_EElS8_S8_SE_T6_ ; -- Begin function _ZN2at4cuda17kernelHistogram1DIlllLi1ELi2ELin1ELNS0_23CUDAHistogramMemoryTypeE0EZNS0_21CUDA_tensor_histogramIllLb0EEEbNS_6TensorES4_S4_lNS_14AccumulateTypeIT0_Lb1EE4typeES8_NS0_13TensorArgTypeES9_S9_EUllE0_EEvNS0_6detail10TensorInfoIT_T1_EESF_NSC_IKS6_SE_EElS8_S8_SE_T6_
	.globl	_ZN2at4cuda17kernelHistogram1DIlllLi1ELi2ELin1ELNS0_23CUDAHistogramMemoryTypeE0EZNS0_21CUDA_tensor_histogramIllLb0EEEbNS_6TensorES4_S4_lNS_14AccumulateTypeIT0_Lb1EE4typeES8_NS0_13TensorArgTypeES9_S9_EUllE0_EEvNS0_6detail10TensorInfoIT_T1_EESF_NSC_IKS6_SE_EElS8_S8_SE_T6_
	.p2align	8
	.type	_ZN2at4cuda17kernelHistogram1DIlllLi1ELi2ELin1ELNS0_23CUDAHistogramMemoryTypeE0EZNS0_21CUDA_tensor_histogramIllLb0EEEbNS_6TensorES4_S4_lNS_14AccumulateTypeIT0_Lb1EE4typeES8_NS0_13TensorArgTypeES9_S9_EUllE0_EEvNS0_6detail10TensorInfoIT_T1_EESF_NSC_IKS6_SE_EElS8_S8_SE_T6_,@function
_ZN2at4cuda17kernelHistogram1DIlllLi1ELi2ELin1ELNS0_23CUDAHistogramMemoryTypeE0EZNS0_21CUDA_tensor_histogramIllLb0EEEbNS_6TensorES4_S4_lNS_14AccumulateTypeIT0_Lb1EE4typeES8_NS0_13TensorArgTypeES9_S9_EUllE0_EEvNS0_6detail10TensorInfoIT_T1_EESF_NSC_IKS6_SE_EElS8_S8_SE_T6_: ; @_ZN2at4cuda17kernelHistogram1DIlllLi1ELi2ELin1ELNS0_23CUDAHistogramMemoryTypeE0EZNS0_21CUDA_tensor_histogramIllLb0EEEbNS_6TensorES4_S4_lNS_14AccumulateTypeIT0_Lb1EE4typeES8_NS0_13TensorArgTypeES9_S9_EUllE0_EEvNS0_6detail10TensorInfoIT_T1_EESF_NSC_IKS6_SE_EElS8_S8_SE_T6_
; %bb.0:
	s_load_b128 s[12:15], s[0:1], 0x0
	v_mov_b32_e32 v1, 0
	s_add_nc_u64 s[24:25], s[0:1], 0x508
	s_mov_b32 s3, exec_lo
                                        ; implicit-def: $sgpr4
                                        ; implicit-def: $sgpr5
	s_wait_kmcnt 0x0
	s_delay_alu instid0(VALU_DEP_1)
	v_cmp_gt_i64_e64 s2, s[14:15], v[0:1]
	v_cmpx_le_i64_e64 s[14:15], v[0:1]
	s_xor_b32 s3, exec_lo, s3
	s_cbranch_execz .LBB42_2
; %bb.1:
	s_load_b32 s4, s[24:25], 0xc
	s_wait_kmcnt 0x0
	s_and_b32 s5, s4, 0xffff
.LBB42_2:
	s_or_saveexec_b32 s3, s3
	v_dual_mov_b32 v18, s4 :: v_dual_mov_b32 v17, s5
	v_lshl_add_u32 v16, v0, 3, 0
	s_xor_b32 exec_lo, exec_lo, s3
	s_cbranch_execz .LBB42_6
; %bb.3:
	s_load_b32 s6, s[24:25], 0xc
	v_mov_b64_e32 v[2:3], 0
	v_mov_b64_e32 v[4:5], v[0:1]
	v_lshl_add_u32 v6, v0, 3, 0
	s_mov_b32 s5, 0
	s_delay_alu instid0(SALU_CYCLE_1) | instskip(SKIP_2) | instid1(SALU_CYCLE_1)
	s_mov_b32 s7, s5
	s_wait_kmcnt 0x0
	s_and_b32 s4, s6, 0xffff
	s_lshl_b32 s8, s4, 3
.LBB42_4:                               ; =>This Inner Loop Header: Depth=1
	v_add_nc_u64_e32 v[4:5], s[4:5], v[4:5]
	ds_store_b64 v6, v[2:3]
	v_add_nc_u32_e32 v6, s8, v6
	v_cmp_le_i64_e32 vcc_lo, s[14:15], v[4:5]
	s_or_b32 s7, vcc_lo, s7
	s_delay_alu instid0(SALU_CYCLE_1)
	s_and_not1_b32 exec_lo, exec_lo, s7
	s_cbranch_execnz .LBB42_4
; %bb.5:
	s_or_b32 exec_lo, exec_lo, s7
	v_dual_mov_b32 v18, s6 :: v_dual_mov_b32 v17, s4
.LBB42_6:
	s_or_b32 exec_lo, exec_lo, s3
	s_bfe_u32 s3, ttmp6, 0x4000c
	s_clause 0x1
	s_load_b64 s[16:17], s[0:1], 0xd0
	s_load_b256 s[4:11], s[0:1], 0x4e0
	s_add_co_i32 s3, s3, 1
	s_and_b32 s18, ttmp6, 15
	s_mul_i32 s3, ttmp9, s3
	s_getreg_b32 s19, hwreg(HW_REG_IB_STS2, 6, 4)
	s_add_co_i32 s18, s18, s3
	s_cmp_eq_u32 s19, 0
	v_mov_b32_e32 v4, 0
	s_cselect_b32 s3, ttmp9, s18
	s_mov_b32 s19, 0
	v_mad_u32 v2, s3, v17, v0
	s_mov_b32 s3, exec_lo
	v_mov_b32_e32 v3, v4
	s_wait_dscnt 0x0
	s_barrier_signal -1
	s_barrier_wait -1
	s_wait_kmcnt 0x0
	s_delay_alu instid0(VALU_DEP_2)
	v_cmpx_gt_i64_e64 s[10:11], v[2:3]
	s_cbranch_execz .LBB42_22
; %bb.7:
	s_load_b32 s33, s[0:1], 0x4d8
	s_load_b32 s18, s[24:25], 0x0
	s_clause 0x1
	s_load_b64 s[20:21], s[0:1], 0x410
	s_load_b64 s[22:23], s[0:1], 0x340
	s_add_nc_u64 s[28:29], s[0:1], 0x340
	v_mov_b64_e32 v[8:9], 1
	v_mov_b32_e32 v7, v4
	s_wait_xcnt 0x0
	s_sub_nc_u64 s[24:25], s[8:9], s[6:7]
	s_mov_b64 s[26:27], 0xffffffff
	s_mov_b32 s42, 0
	s_wait_kmcnt 0x0
	s_cmp_gt_i32 s33, 1
	v_mul_lo_u32 v6, s18, v17
	s_cselect_b32 s1, -1, 0
	s_add_co_i32 s18, s33, -1
	s_add_co_i32 s33, s33, 1
	s_lshl_b64 s[30:31], s[18:19], 3
	s_delay_alu instid0(SALU_CYCLE_1)
	s_add_nc_u64 s[28:29], s[28:29], s[30:31]
	s_ashr_i32 s30, s25, 31
	s_add_nc_u64 s[28:29], s[28:29], 8
	s_branch .LBB42_10
.LBB42_8:                               ;   in Loop: Header=BB42_10 Depth=1
	s_or_b32 exec_lo, exec_lo, s0
	s_delay_alu instid0(VALU_DEP_1) | instskip(NEXT) | instid1(VALU_DEP_1)
	v_ashrrev_i32_e32 v13, 31, v12
	v_cmp_eq_u64_e32 vcc_lo, s[4:5], v[12:13]
	v_subrev_co_ci_u32_e64 v5, null, 0, v12, vcc_lo
	s_delay_alu instid0(VALU_DEP_1)
	v_lshl_add_u32 v5, v5, 3, 0
	ds_add_u64 v5, v[8:9]
.LBB42_9:                               ;   in Loop: Header=BB42_10 Depth=1
	s_or_b32 exec_lo, exec_lo, s36
	v_add_nc_u64_e32 v[2:3], v[2:3], v[6:7]
	s_delay_alu instid0(VALU_DEP_1) | instskip(SKIP_1) | instid1(SALU_CYCLE_1)
	v_cmp_le_i64_e32 vcc_lo, s[10:11], v[2:3]
	s_or_b32 s42, vcc_lo, s42
	s_and_not1_b32 exec_lo, exec_lo, s42
	s_cbranch_execz .LBB42_22
.LBB42_10:                              ; =>This Loop Header: Depth=1
                                        ;     Child Loop BB42_11 Depth 2
	v_mov_b64_e32 v[10:11], 0
	v_mov_b64_e32 v[12:13], v[2:3]
	;; [unrolled: 1-line block ×3, first 2 shown]
	s_and_not1_b32 vcc_lo, exec_lo, s1
	s_mov_b64 s[34:35], s[28:29]
	s_mov_b32 s31, s33
	s_cbranch_vccnz .LBB42_17
.LBB42_11:                              ;   Parent Loop BB42_10 Depth=1
                                        ; =>  This Inner Loop Header: Depth=2
	s_load_b64 s[36:37], s[34:35], 0x0
                                        ; implicit-def: $vgpr14_vgpr15
	s_mov_b32 s0, exec_lo
	s_wait_kmcnt 0x0
	s_delay_alu instid0(VALU_DEP_1) | instskip(NEXT) | instid1(VALU_DEP_1)
	v_or_b32_e32 v5, s37, v13
	v_cmpx_ne_u64_e32 0, v[4:5]
	s_xor_b32 s43, exec_lo, s0
	s_cbranch_execz .LBB42_13
; %bb.12:                               ;   in Loop: Header=BB42_11 Depth=2
	s_ashr_i32 s38, s37, 31
	v_dual_mov_b32 v23, v4 :: v_dual_ashrrev_i32 v14, 31, v13
	s_mov_b32 s39, s38
	s_delay_alu instid0(SALU_CYCLE_1) | instskip(NEXT) | instid1(VALU_DEP_1)
	s_add_nc_u64 s[40:41], s[36:37], s[38:39]
	v_mov_b32_e32 v15, v14
	s_xor_b64 s[40:41], s[40:41], s[38:39]
	s_delay_alu instid0(SALU_CYCLE_1)
	s_cvt_f32_u32 s0, s40
	s_cvt_f32_u32 s18, s41
	s_sub_nc_u64 s[46:47], 0, s[40:41]
	v_add_nc_u64_e32 v[20:21], v[12:13], v[14:15]
	v_mov_b32_e32 v27, v4
	s_fmamk_f32 s0, s18, 0x4f800000, s0
	s_delay_alu instid0(SALU_CYCLE_3) | instskip(NEXT) | instid1(VALU_DEP_2)
	v_s_rcp_f32 s0, s0
	v_xor_b32_e32 v22, v20, v14
	s_delay_alu instid0(VALU_DEP_3) | instskip(SKIP_1) | instid1(TRANS32_DEP_1)
	v_dual_mov_b32 v31, v4 :: v_dual_bitop2_b32 v26, v21, v14 bitop3:0x14
	v_xor_b32_e32 v14, s38, v14
	s_mul_f32 s0, s0, 0x5f7ffffc
	s_delay_alu instid0(SALU_CYCLE_3) | instskip(NEXT) | instid1(SALU_CYCLE_3)
	s_mul_f32 s18, s0, 0x2f800000
	s_trunc_f32 s18, s18
	s_delay_alu instid0(SALU_CYCLE_3) | instskip(SKIP_1) | instid1(SALU_CYCLE_2)
	s_fmamk_f32 s0, s18, 0xcf800000, s0
	s_cvt_u32_f32 s45, s18
	s_cvt_u32_f32 s44, s0
	s_delay_alu instid0(SALU_CYCLE_3) | instskip(NEXT) | instid1(SALU_CYCLE_1)
	s_mul_u64 s[48:49], s[46:47], s[44:45]
	s_mul_hi_u32 s51, s44, s49
	s_mul_i32 s50, s44, s49
	s_mul_hi_u32 s18, s44, s48
	s_mul_i32 s39, s45, s48
	s_add_nc_u64 s[50:51], s[18:19], s[50:51]
	s_mul_hi_u32 s0, s45, s48
	s_mul_hi_u32 s52, s45, s49
	s_add_co_u32 s18, s50, s39
	s_add_co_ci_u32 s18, s51, s0
	s_mul_i32 s48, s45, s49
	s_add_co_ci_u32 s49, s52, 0
	s_delay_alu instid0(SALU_CYCLE_1) | instskip(NEXT) | instid1(SALU_CYCLE_1)
	s_add_nc_u64 s[48:49], s[18:19], s[48:49]
	s_add_co_u32 s44, s44, s48
	s_cselect_b32 s0, -1, 0
	s_delay_alu instid0(SALU_CYCLE_1) | instskip(SKIP_1) | instid1(SALU_CYCLE_1)
	s_cmp_lg_u32 s0, 0
	s_add_co_ci_u32 s45, s45, s49
	s_mul_u64 s[46:47], s[46:47], s[44:45]
	s_delay_alu instid0(SALU_CYCLE_1)
	s_mul_hi_u32 s49, s44, s47
	s_mul_i32 s48, s44, s47
	s_mul_hi_u32 s18, s44, s46
	s_mul_i32 s39, s45, s46
	s_add_nc_u64 s[48:49], s[18:19], s[48:49]
	s_mul_hi_u32 s0, s45, s46
	s_mul_hi_u32 s50, s45, s47
	s_add_co_u32 s18, s48, s39
	s_add_co_ci_u32 s18, s49, s0
	s_mul_i32 s46, s45, s47
	s_add_co_ci_u32 s47, s50, 0
	s_delay_alu instid0(SALU_CYCLE_1) | instskip(NEXT) | instid1(SALU_CYCLE_1)
	s_add_nc_u64 s[46:47], s[18:19], s[46:47]
	s_add_co_u32 s0, s44, s46
	s_cselect_b32 s18, -1, 0
	v_mul_hi_u32 v30, v22, s0
	s_cmp_lg_u32 s18, 0
	s_add_co_ci_u32 s18, s45, s47
	s_and_b64 s[44:45], s[0:1], s[26:27]
	v_mul_u64_e32 v[24:25], s[18:19], v[22:23]
	v_mul_u64_e32 v[20:21], s[44:45], v[26:27]
	;; [unrolled: 1-line block ×3, first 2 shown]
	s_delay_alu instid0(VALU_DEP_3) | instskip(NEXT) | instid1(VALU_DEP_1)
	v_add_nc_u64_e32 v[24:25], v[30:31], v[24:25]
	v_add_co_u32 v5, vcc_lo, v24, v20
	s_delay_alu instid0(VALU_DEP_2) | instskip(NEXT) | instid1(VALU_DEP_4)
	v_add_co_ci_u32_e32 v30, vcc_lo, v25, v21, vcc_lo
	v_add_co_ci_u32_e32 v29, vcc_lo, 0, v29, vcc_lo
	s_delay_alu instid0(VALU_DEP_1) | instskip(NEXT) | instid1(VALU_DEP_1)
	v_add_nc_u64_e32 v[20:21], v[30:31], v[28:29]
	v_mul_u64_e32 v[24:25], s[40:41], v[20:21]
	s_delay_alu instid0(VALU_DEP_1) | instskip(NEXT) | instid1(VALU_DEP_2)
	v_sub_nc_u32_e32 v5, v26, v25
	v_sub_co_u32 v15, vcc_lo, v22, v24
	s_delay_alu instid0(VALU_DEP_1) | instskip(NEXT) | instid1(VALU_DEP_3)
	v_sub_co_ci_u32_e64 v26, null, v26, v25, vcc_lo
	v_subrev_co_ci_u32_e64 v5, null, s41, v5, vcc_lo
	s_delay_alu instid0(VALU_DEP_3) | instskip(SKIP_1) | instid1(VALU_DEP_3)
	v_sub_co_u32 v19, s0, v15, s40
	v_add_nc_u64_e32 v[24:25], 1, v[20:21]
	v_subrev_co_ci_u32_e64 v5, null, 0, v5, s0
	s_delay_alu instid0(VALU_DEP_3) | instskip(SKIP_1) | instid1(VALU_DEP_3)
	v_cmp_le_u32_e32 vcc_lo, s40, v19
	v_cndmask_b32_e64 v19, 0, -1, vcc_lo
	v_cmp_le_u32_e32 vcc_lo, s41, v5
	v_cndmask_b32_e64 v22, 0, -1, vcc_lo
	;; [unrolled: 2-line block ×4, first 2 shown]
	v_cmp_eq_u32_e32 vcc_lo, s41, v5
	v_cndmask_b32_e32 v5, v22, v19, vcc_lo
	v_cmp_eq_u32_e32 vcc_lo, s41, v26
	v_add_nc_u64_e32 v[22:23], 2, v[20:21]
	v_cndmask_b32_e32 v15, v27, v15, vcc_lo
	s_delay_alu instid0(VALU_DEP_4) | instskip(NEXT) | instid1(VALU_DEP_2)
	v_cmp_ne_u32_e32 vcc_lo, 0, v5
	v_cmp_ne_u32_e64 s0, 0, v15
	s_delay_alu instid0(VALU_DEP_4) | instskip(NEXT) | instid1(VALU_DEP_1)
	v_dual_cndmask_b32 v5, v25, v23, vcc_lo :: v_dual_cndmask_b32 v15, v24, v22, vcc_lo
	v_dual_cndmask_b32 v19, v20, v15, s0 :: v_dual_mov_b32 v15, v14
	s_delay_alu instid0(VALU_DEP_1) | instskip(NEXT) | instid1(VALU_DEP_1)
	v_dual_cndmask_b32 v5, v21, v5, s0 :: v_dual_bitop2_b32 v20, v19, v14 bitop3:0x14
	v_xor_b32_e32 v21, v5, v14
	s_delay_alu instid0(VALU_DEP_1)
	v_sub_nc_u64_e32 v[14:15], v[20:21], v[14:15]
.LBB42_13:                              ;   in Loop: Header=BB42_11 Depth=2
	s_and_not1_saveexec_b32 s0, s43
	s_cbranch_execz .LBB42_15
; %bb.14:                               ;   in Loop: Header=BB42_11 Depth=2
	v_cvt_f32_u32_e32 v5, s36
	s_sub_co_i32 s18, 0, s36
	s_delay_alu instid0(VALU_DEP_1) | instskip(SKIP_1) | instid1(TRANS32_DEP_1)
	v_rcp_iflag_f32_e32 v5, v5
	v_nop
	v_mul_f32_e32 v5, 0x4f7ffffe, v5
	s_delay_alu instid0(VALU_DEP_1) | instskip(NEXT) | instid1(VALU_DEP_1)
	v_cvt_u32_f32_e32 v5, v5
	v_mul_lo_u32 v14, s18, v5
	s_delay_alu instid0(VALU_DEP_1) | instskip(NEXT) | instid1(VALU_DEP_1)
	v_mul_hi_u32 v14, v5, v14
	v_add_nc_u32_e32 v5, v5, v14
	s_delay_alu instid0(VALU_DEP_1) | instskip(NEXT) | instid1(VALU_DEP_1)
	v_mul_hi_u32 v5, v12, v5
	v_mul_lo_u32 v14, v5, s36
	s_delay_alu instid0(VALU_DEP_1) | instskip(NEXT) | instid1(VALU_DEP_1)
	v_dual_add_nc_u32 v15, 1, v5 :: v_dual_sub_nc_u32 v14, v12, v14
	v_subrev_nc_u32_e32 v19, s36, v14
	v_cmp_le_u32_e32 vcc_lo, s36, v14
	s_delay_alu instid0(VALU_DEP_2) | instskip(NEXT) | instid1(VALU_DEP_4)
	v_cndmask_b32_e32 v14, v14, v19, vcc_lo
	v_cndmask_b32_e32 v5, v5, v15, vcc_lo
	s_delay_alu instid0(VALU_DEP_2) | instskip(NEXT) | instid1(VALU_DEP_2)
	v_cmp_le_u32_e32 vcc_lo, s36, v14
	v_add_nc_u32_e32 v15, 1, v5
	s_delay_alu instid0(VALU_DEP_1)
	v_dual_cndmask_b32 v14, v5, v15 :: v_dual_mov_b32 v15, v4
.LBB42_15:                              ;   in Loop: Header=BB42_11 Depth=2
	s_or_b32 exec_lo, exec_lo, s0
	s_delay_alu instid0(VALU_DEP_1)
	v_mul_u64_e32 v[20:21], s[36:37], v[14:15]
	s_load_b64 s[36:37], s[34:35], 0xc8
	s_add_co_i32 s31, s31, -1
	s_wait_xcnt 0x0
	s_add_nc_u64 s[34:35], s[34:35], -8
	s_cmp_gt_u32 s31, 2
	s_delay_alu instid0(VALU_DEP_1) | instskip(SKIP_1) | instid1(VALU_DEP_1)
	v_sub_nc_u64_e32 v[12:13], v[12:13], v[20:21]
	s_wait_kmcnt 0x0
	v_mad_nc_u64_u32 v[10:11], s36, v12, v[10:11]
	s_delay_alu instid0(VALU_DEP_1) | instskip(NEXT) | instid1(VALU_DEP_1)
	v_mad_u32 v5, s37, v12, v11
	v_mad_u32 v11, s36, v13, v5
	s_cbranch_scc0 .LBB42_17
; %bb.16:                               ;   in Loop: Header=BB42_11 Depth=2
	v_mov_b64_e32 v[12:13], v[14:15]
	s_branch .LBB42_11
.LBB42_17:                              ;   in Loop: Header=BB42_10 Depth=1
	s_delay_alu instid0(VALU_DEP_1) | instskip(NEXT) | instid1(VALU_DEP_1)
	v_mul_u64_e32 v[12:13], s[20:21], v[14:15]
	v_lshl_add_u64 v[12:13], v[12:13], 3, s[22:23]
	s_delay_alu instid0(VALU_DEP_1)
	v_lshl_add_u64 v[10:11], v[10:11], 3, v[12:13]
	global_load_b64 v[10:11], v[10:11], off
	s_wait_loadcnt 0x0
	v_cmp_le_i64_e32 vcc_lo, s[6:7], v[10:11]
	v_cmp_ge_i64_e64 s0, s[8:9], v[10:11]
	s_and_b32 s0, vcc_lo, s0
	s_wait_xcnt 0x0
	s_and_saveexec_b32 s36, s0
	s_cbranch_execz .LBB42_9
; %bb.18:                               ;   in Loop: Header=BB42_10 Depth=1
	v_sub_nc_u64_e64 v[10:11], v[10:11], s[6:7]
                                        ; implicit-def: $vgpr12_vgpr13
	s_mov_b32 s0, exec_lo
	s_delay_alu instid0(VALU_DEP_1) | instskip(NEXT) | instid1(VALU_DEP_1)
	v_mul_u64_e32 v[10:11], s[4:5], v[10:11]
	v_or_b32_e32 v5, s25, v11
	s_delay_alu instid0(VALU_DEP_1)
	v_cmpx_ne_u64_e32 0, v[4:5]
	s_xor_b32 s37, exec_lo, s0
	s_cbranch_execz .LBB42_20
; %bb.19:                               ;   in Loop: Header=BB42_10 Depth=1
	s_mov_b32 s31, s30
	v_dual_mov_b32 v15, v4 :: v_dual_ashrrev_i32 v12, 31, v11
	s_add_nc_u64 s[34:35], s[24:25], s[30:31]
	s_delay_alu instid0(SALU_CYCLE_1) | instskip(NEXT) | instid1(VALU_DEP_1)
	s_xor_b64 s[34:35], s[34:35], s[30:31]
	v_mov_b32_e32 v13, v12
	s_cvt_f32_u32 s0, s34
	s_cvt_f32_u32 s18, s35
	s_sub_nc_u64 s[40:41], 0, s[34:35]
	s_delay_alu instid0(VALU_DEP_1) | instskip(NEXT) | instid1(SALU_CYCLE_1)
	v_add_nc_u64_e32 v[10:11], v[10:11], v[12:13]
	s_fmamk_f32 s0, s18, 0x4f800000, s0
	v_mov_b32_e32 v23, v4
	s_delay_alu instid0(SALU_CYCLE_2) | instskip(NEXT) | instid1(VALU_DEP_2)
	v_s_rcp_f32 s0, s0
	v_xor_b32_e32 v14, v10, v12
	s_delay_alu instid0(VALU_DEP_3) | instskip(NEXT) | instid1(TRANS32_DEP_1)
	v_dual_mov_b32 v27, v4 :: v_dual_bitop2_b32 v22, v11, v12 bitop3:0x14
	s_mul_f32 s0, s0, 0x5f7ffffc
	s_delay_alu instid0(SALU_CYCLE_3) | instskip(NEXT) | instid1(SALU_CYCLE_3)
	s_mul_f32 s18, s0, 0x2f800000
	s_trunc_f32 s18, s18
	s_delay_alu instid0(SALU_CYCLE_3) | instskip(SKIP_1) | instid1(SALU_CYCLE_2)
	s_fmamk_f32 s0, s18, 0xcf800000, s0
	s_cvt_u32_f32 s39, s18
	s_cvt_u32_f32 s38, s0
	s_delay_alu instid0(SALU_CYCLE_3) | instskip(NEXT) | instid1(SALU_CYCLE_1)
	s_mul_u64 s[44:45], s[40:41], s[38:39]
	s_mul_hi_u32 s47, s38, s45
	s_mul_i32 s46, s38, s45
	s_mul_hi_u32 s18, s38, s44
	s_mul_i32 s31, s39, s44
	s_add_nc_u64 s[46:47], s[18:19], s[46:47]
	s_mul_hi_u32 s0, s39, s44
	s_mul_hi_u32 s43, s39, s45
	s_add_co_u32 s18, s46, s31
	s_add_co_ci_u32 s18, s47, s0
	s_mul_i32 s44, s39, s45
	s_add_co_ci_u32 s45, s43, 0
	s_delay_alu instid0(SALU_CYCLE_1) | instskip(NEXT) | instid1(SALU_CYCLE_1)
	s_add_nc_u64 s[44:45], s[18:19], s[44:45]
	s_add_co_u32 s38, s38, s44
	s_cselect_b32 s0, -1, 0
	s_delay_alu instid0(SALU_CYCLE_1) | instskip(SKIP_1) | instid1(SALU_CYCLE_1)
	s_cmp_lg_u32 s0, 0
	s_add_co_ci_u32 s39, s39, s45
	s_mul_u64 s[40:41], s[40:41], s[38:39]
	s_delay_alu instid0(SALU_CYCLE_1)
	s_mul_hi_u32 s45, s38, s41
	s_mul_i32 s44, s38, s41
	s_mul_hi_u32 s18, s38, s40
	s_mul_i32 s31, s39, s40
	s_add_nc_u64 s[44:45], s[18:19], s[44:45]
	s_mul_hi_u32 s0, s39, s40
	s_mul_hi_u32 s43, s39, s41
	s_add_co_u32 s18, s44, s31
	s_add_co_ci_u32 s18, s45, s0
	s_mul_i32 s40, s39, s41
	s_add_co_ci_u32 s41, s43, 0
	s_delay_alu instid0(SALU_CYCLE_1) | instskip(NEXT) | instid1(SALU_CYCLE_1)
	s_add_nc_u64 s[40:41], s[18:19], s[40:41]
	s_add_co_u32 s0, s38, s40
	s_cselect_b32 s18, -1, 0
	v_mul_hi_u32 v26, v14, s0
	s_cmp_lg_u32 s18, 0
	s_add_co_ci_u32 s18, s39, s41
	s_and_b64 s[38:39], s[0:1], s[26:27]
	v_mul_u64_e32 v[20:21], s[18:19], v[14:15]
	v_mul_u64_e32 v[10:11], s[38:39], v[22:23]
	;; [unrolled: 1-line block ×3, first 2 shown]
	s_delay_alu instid0(VALU_DEP_3) | instskip(NEXT) | instid1(VALU_DEP_1)
	v_add_nc_u64_e32 v[20:21], v[26:27], v[20:21]
	v_add_co_u32 v5, vcc_lo, v20, v10
	s_delay_alu instid0(VALU_DEP_2) | instskip(NEXT) | instid1(VALU_DEP_4)
	v_add_co_ci_u32_e32 v26, vcc_lo, v21, v11, vcc_lo
	v_add_co_ci_u32_e32 v25, vcc_lo, 0, v25, vcc_lo
	s_delay_alu instid0(VALU_DEP_1) | instskip(NEXT) | instid1(VALU_DEP_1)
	v_add_nc_u64_e32 v[10:11], v[26:27], v[24:25]
	v_mul_u64_e32 v[20:21], s[34:35], v[10:11]
	s_delay_alu instid0(VALU_DEP_1) | instskip(NEXT) | instid1(VALU_DEP_2)
	v_sub_nc_u32_e32 v5, v22, v21
	v_sub_co_u32 v13, vcc_lo, v14, v20
	s_delay_alu instid0(VALU_DEP_1) | instskip(NEXT) | instid1(VALU_DEP_3)
	v_sub_co_ci_u32_e64 v19, null, v22, v21, vcc_lo
	v_subrev_co_ci_u32_e64 v5, null, s35, v5, vcc_lo
	s_delay_alu instid0(VALU_DEP_3) | instskip(SKIP_1) | instid1(VALU_DEP_3)
	v_sub_co_u32 v14, s0, v13, s34
	v_add_nc_u64_e32 v[20:21], 1, v[10:11]
	v_subrev_co_ci_u32_e64 v5, null, 0, v5, s0
	s_delay_alu instid0(VALU_DEP_3) | instskip(SKIP_1) | instid1(VALU_DEP_3)
	v_cmp_le_u32_e32 vcc_lo, s34, v14
	v_cndmask_b32_e64 v14, 0, -1, vcc_lo
	v_cmp_le_u32_e32 vcc_lo, s35, v5
	v_cndmask_b32_e64 v15, 0, -1, vcc_lo
	;; [unrolled: 2-line block ×4, first 2 shown]
	v_cmp_eq_u32_e32 vcc_lo, s35, v5
	v_cndmask_b32_e32 v5, v15, v14, vcc_lo
	v_cmp_eq_u32_e32 vcc_lo, s35, v19
	v_add_nc_u64_e32 v[14:15], 2, v[10:11]
	v_cndmask_b32_e32 v13, v22, v13, vcc_lo
	s_delay_alu instid0(VALU_DEP_4) | instskip(NEXT) | instid1(VALU_DEP_2)
	v_cmp_ne_u32_e32 vcc_lo, 0, v5
	v_cmp_ne_u32_e64 s0, 0, v13
	s_delay_alu instid0(VALU_DEP_4) | instskip(NEXT) | instid1(VALU_DEP_1)
	v_dual_cndmask_b32 v5, v21, v15, vcc_lo :: v_dual_cndmask_b32 v13, v20, v14, vcc_lo
	v_dual_cndmask_b32 v5, v11, v5, s0 :: v_dual_bitop2_b32 v12, s30, v12 bitop3:0x14
	s_delay_alu instid0(VALU_DEP_1) | instskip(NEXT) | instid1(VALU_DEP_2)
	v_dual_cndmask_b32 v10, v10, v13, s0 :: v_dual_mov_b32 v13, v12
	v_xor_b32_e32 v11, v5, v12
	s_delay_alu instid0(VALU_DEP_2) | instskip(NEXT) | instid1(VALU_DEP_1)
	v_xor_b32_e32 v10, v10, v12
	v_sub_nc_u64_e32 v[12:13], v[10:11], v[12:13]
                                        ; implicit-def: $vgpr10_vgpr11
.LBB42_20:                              ;   in Loop: Header=BB42_10 Depth=1
	s_and_not1_saveexec_b32 s0, s37
	s_cbranch_execz .LBB42_8
; %bb.21:                               ;   in Loop: Header=BB42_10 Depth=1
	v_cvt_f32_u32_e32 v5, s24
	s_sub_co_i32 s18, 0, s24
	s_delay_alu instid0(VALU_DEP_1) | instskip(SKIP_1) | instid1(TRANS32_DEP_1)
	v_rcp_iflag_f32_e32 v5, v5
	v_nop
	v_mul_f32_e32 v5, 0x4f7ffffe, v5
	s_delay_alu instid0(VALU_DEP_1) | instskip(NEXT) | instid1(VALU_DEP_1)
	v_cvt_u32_f32_e32 v5, v5
	v_mul_lo_u32 v11, s18, v5
	s_delay_alu instid0(VALU_DEP_1) | instskip(NEXT) | instid1(VALU_DEP_1)
	v_mul_hi_u32 v11, v5, v11
	v_add_nc_u32_e32 v5, v5, v11
	s_delay_alu instid0(VALU_DEP_1) | instskip(NEXT) | instid1(VALU_DEP_1)
	v_mul_hi_u32 v5, v10, v5
	v_mul_lo_u32 v11, v5, s24
	s_delay_alu instid0(VALU_DEP_1) | instskip(NEXT) | instid1(VALU_DEP_1)
	v_dual_sub_nc_u32 v10, v10, v11 :: v_dual_add_nc_u32 v11, 1, v5
	v_subrev_nc_u32_e32 v12, s24, v10
	v_cmp_le_u32_e32 vcc_lo, s24, v10
	s_delay_alu instid0(VALU_DEP_2) | instskip(NEXT) | instid1(VALU_DEP_1)
	v_dual_cndmask_b32 v10, v10, v12 :: v_dual_cndmask_b32 v5, v5, v11
	v_cmp_le_u32_e32 vcc_lo, s24, v10
	s_delay_alu instid0(VALU_DEP_2) | instskip(NEXT) | instid1(VALU_DEP_1)
	v_add_nc_u32_e32 v11, 1, v5
	v_cndmask_b32_e32 v12, v5, v11, vcc_lo
	s_branch .LBB42_8
.LBB42_22:
	s_or_b32 exec_lo, exec_lo, s3
; %bb.23:
	s_wait_dscnt 0x0
	s_barrier_signal -1
	s_barrier_wait -1
	s_and_saveexec_b32 s0, s2
	s_cbranch_execz .LBB42_26
; %bb.24:
	s_mov_b32 s0, 0
	v_and_b32_e32 v2, 0xffff, v18
	v_dual_mov_b32 v3, s0 :: v_dual_lshlrev_b32 v8, 3, v17
	v_mul_u64_e32 v[6:7], s[16:17], v[0:1]
	s_delay_alu instid0(VALU_DEP_2) | instskip(NEXT) | instid1(VALU_DEP_2)
	v_mul_u64_e32 v[4:5], s[16:17], v[2:3]
	v_lshl_add_u64 v[6:7], v[6:7], 3, s[12:13]
	s_delay_alu instid0(VALU_DEP_2)
	v_lshlrev_b64_e32 v[4:5], 3, v[4:5]
.LBB42_25:                              ; =>This Inner Loop Header: Depth=1
	ds_load_b64 v[10:11], v16
	v_add_nc_u64_e32 v[0:1], v[0:1], v[2:3]
	v_add_nc_u32_e32 v16, v16, v8
	s_delay_alu instid0(VALU_DEP_2)
	v_cmp_le_i64_e32 vcc_lo, s[14:15], v[0:1]
	s_or_b32 s0, vcc_lo, s0
	s_wait_dscnt 0x0
	global_atomic_add_u64 v[6:7], v[10:11], off scope:SCOPE_SYS
	s_wait_xcnt 0x0
	v_add_nc_u64_e32 v[6:7], v[6:7], v[4:5]
	s_and_not1_b32 exec_lo, exec_lo, s0
	s_cbranch_execnz .LBB42_25
.LBB42_26:
	s_endpgm
	.section	.rodata,"a",@progbits
	.p2align	6, 0x0
	.amdhsa_kernel _ZN2at4cuda17kernelHistogram1DIlllLi1ELi2ELin1ELNS0_23CUDAHistogramMemoryTypeE0EZNS0_21CUDA_tensor_histogramIllLb0EEEbNS_6TensorES4_S4_lNS_14AccumulateTypeIT0_Lb1EE4typeES8_NS0_13TensorArgTypeES9_S9_EUllE0_EEvNS0_6detail10TensorInfoIT_T1_EESF_NSC_IKS6_SE_EElS8_S8_SE_T6_
		.amdhsa_group_segment_fixed_size 0
		.amdhsa_private_segment_fixed_size 0
		.amdhsa_kernarg_size 1544
		.amdhsa_user_sgpr_count 2
		.amdhsa_user_sgpr_dispatch_ptr 0
		.amdhsa_user_sgpr_queue_ptr 0
		.amdhsa_user_sgpr_kernarg_segment_ptr 1
		.amdhsa_user_sgpr_dispatch_id 0
		.amdhsa_user_sgpr_kernarg_preload_length 0
		.amdhsa_user_sgpr_kernarg_preload_offset 0
		.amdhsa_user_sgpr_private_segment_size 0
		.amdhsa_wavefront_size32 1
		.amdhsa_uses_dynamic_stack 0
		.amdhsa_enable_private_segment 0
		.amdhsa_system_sgpr_workgroup_id_x 1
		.amdhsa_system_sgpr_workgroup_id_y 0
		.amdhsa_system_sgpr_workgroup_id_z 0
		.amdhsa_system_sgpr_workgroup_info 0
		.amdhsa_system_vgpr_workitem_id 0
		.amdhsa_next_free_vgpr 32
		.amdhsa_next_free_sgpr 53
		.amdhsa_named_barrier_count 0
		.amdhsa_reserve_vcc 1
		.amdhsa_float_round_mode_32 0
		.amdhsa_float_round_mode_16_64 0
		.amdhsa_float_denorm_mode_32 3
		.amdhsa_float_denorm_mode_16_64 3
		.amdhsa_fp16_overflow 0
		.amdhsa_memory_ordered 1
		.amdhsa_forward_progress 1
		.amdhsa_inst_pref_size 19
		.amdhsa_round_robin_scheduling 0
		.amdhsa_exception_fp_ieee_invalid_op 0
		.amdhsa_exception_fp_denorm_src 0
		.amdhsa_exception_fp_ieee_div_zero 0
		.amdhsa_exception_fp_ieee_overflow 0
		.amdhsa_exception_fp_ieee_underflow 0
		.amdhsa_exception_fp_ieee_inexact 0
		.amdhsa_exception_int_div_zero 0
	.end_amdhsa_kernel
	.section	.text._ZN2at4cuda17kernelHistogram1DIlllLi1ELi2ELin1ELNS0_23CUDAHistogramMemoryTypeE0EZNS0_21CUDA_tensor_histogramIllLb0EEEbNS_6TensorES4_S4_lNS_14AccumulateTypeIT0_Lb1EE4typeES8_NS0_13TensorArgTypeES9_S9_EUllE0_EEvNS0_6detail10TensorInfoIT_T1_EESF_NSC_IKS6_SE_EElS8_S8_SE_T6_,"axG",@progbits,_ZN2at4cuda17kernelHistogram1DIlllLi1ELi2ELin1ELNS0_23CUDAHistogramMemoryTypeE0EZNS0_21CUDA_tensor_histogramIllLb0EEEbNS_6TensorES4_S4_lNS_14AccumulateTypeIT0_Lb1EE4typeES8_NS0_13TensorArgTypeES9_S9_EUllE0_EEvNS0_6detail10TensorInfoIT_T1_EESF_NSC_IKS6_SE_EElS8_S8_SE_T6_,comdat
.Lfunc_end42:
	.size	_ZN2at4cuda17kernelHistogram1DIlllLi1ELi2ELin1ELNS0_23CUDAHistogramMemoryTypeE0EZNS0_21CUDA_tensor_histogramIllLb0EEEbNS_6TensorES4_S4_lNS_14AccumulateTypeIT0_Lb1EE4typeES8_NS0_13TensorArgTypeES9_S9_EUllE0_EEvNS0_6detail10TensorInfoIT_T1_EESF_NSC_IKS6_SE_EElS8_S8_SE_T6_, .Lfunc_end42-_ZN2at4cuda17kernelHistogram1DIlllLi1ELi2ELin1ELNS0_23CUDAHistogramMemoryTypeE0EZNS0_21CUDA_tensor_histogramIllLb0EEEbNS_6TensorES4_S4_lNS_14AccumulateTypeIT0_Lb1EE4typeES8_NS0_13TensorArgTypeES9_S9_EUllE0_EEvNS0_6detail10TensorInfoIT_T1_EESF_NSC_IKS6_SE_EElS8_S8_SE_T6_
                                        ; -- End function
	.set _ZN2at4cuda17kernelHistogram1DIlllLi1ELi2ELin1ELNS0_23CUDAHistogramMemoryTypeE0EZNS0_21CUDA_tensor_histogramIllLb0EEEbNS_6TensorES4_S4_lNS_14AccumulateTypeIT0_Lb1EE4typeES8_NS0_13TensorArgTypeES9_S9_EUllE0_EEvNS0_6detail10TensorInfoIT_T1_EESF_NSC_IKS6_SE_EElS8_S8_SE_T6_.num_vgpr, 32
	.set _ZN2at4cuda17kernelHistogram1DIlllLi1ELi2ELin1ELNS0_23CUDAHistogramMemoryTypeE0EZNS0_21CUDA_tensor_histogramIllLb0EEEbNS_6TensorES4_S4_lNS_14AccumulateTypeIT0_Lb1EE4typeES8_NS0_13TensorArgTypeES9_S9_EUllE0_EEvNS0_6detail10TensorInfoIT_T1_EESF_NSC_IKS6_SE_EElS8_S8_SE_T6_.num_agpr, 0
	.set _ZN2at4cuda17kernelHistogram1DIlllLi1ELi2ELin1ELNS0_23CUDAHistogramMemoryTypeE0EZNS0_21CUDA_tensor_histogramIllLb0EEEbNS_6TensorES4_S4_lNS_14AccumulateTypeIT0_Lb1EE4typeES8_NS0_13TensorArgTypeES9_S9_EUllE0_EEvNS0_6detail10TensorInfoIT_T1_EESF_NSC_IKS6_SE_EElS8_S8_SE_T6_.numbered_sgpr, 53
	.set _ZN2at4cuda17kernelHistogram1DIlllLi1ELi2ELin1ELNS0_23CUDAHistogramMemoryTypeE0EZNS0_21CUDA_tensor_histogramIllLb0EEEbNS_6TensorES4_S4_lNS_14AccumulateTypeIT0_Lb1EE4typeES8_NS0_13TensorArgTypeES9_S9_EUllE0_EEvNS0_6detail10TensorInfoIT_T1_EESF_NSC_IKS6_SE_EElS8_S8_SE_T6_.num_named_barrier, 0
	.set _ZN2at4cuda17kernelHistogram1DIlllLi1ELi2ELin1ELNS0_23CUDAHistogramMemoryTypeE0EZNS0_21CUDA_tensor_histogramIllLb0EEEbNS_6TensorES4_S4_lNS_14AccumulateTypeIT0_Lb1EE4typeES8_NS0_13TensorArgTypeES9_S9_EUllE0_EEvNS0_6detail10TensorInfoIT_T1_EESF_NSC_IKS6_SE_EElS8_S8_SE_T6_.private_seg_size, 0
	.set _ZN2at4cuda17kernelHistogram1DIlllLi1ELi2ELin1ELNS0_23CUDAHistogramMemoryTypeE0EZNS0_21CUDA_tensor_histogramIllLb0EEEbNS_6TensorES4_S4_lNS_14AccumulateTypeIT0_Lb1EE4typeES8_NS0_13TensorArgTypeES9_S9_EUllE0_EEvNS0_6detail10TensorInfoIT_T1_EESF_NSC_IKS6_SE_EElS8_S8_SE_T6_.uses_vcc, 1
	.set _ZN2at4cuda17kernelHistogram1DIlllLi1ELi2ELin1ELNS0_23CUDAHistogramMemoryTypeE0EZNS0_21CUDA_tensor_histogramIllLb0EEEbNS_6TensorES4_S4_lNS_14AccumulateTypeIT0_Lb1EE4typeES8_NS0_13TensorArgTypeES9_S9_EUllE0_EEvNS0_6detail10TensorInfoIT_T1_EESF_NSC_IKS6_SE_EElS8_S8_SE_T6_.uses_flat_scratch, 0
	.set _ZN2at4cuda17kernelHistogram1DIlllLi1ELi2ELin1ELNS0_23CUDAHistogramMemoryTypeE0EZNS0_21CUDA_tensor_histogramIllLb0EEEbNS_6TensorES4_S4_lNS_14AccumulateTypeIT0_Lb1EE4typeES8_NS0_13TensorArgTypeES9_S9_EUllE0_EEvNS0_6detail10TensorInfoIT_T1_EESF_NSC_IKS6_SE_EElS8_S8_SE_T6_.has_dyn_sized_stack, 0
	.set _ZN2at4cuda17kernelHistogram1DIlllLi1ELi2ELin1ELNS0_23CUDAHistogramMemoryTypeE0EZNS0_21CUDA_tensor_histogramIllLb0EEEbNS_6TensorES4_S4_lNS_14AccumulateTypeIT0_Lb1EE4typeES8_NS0_13TensorArgTypeES9_S9_EUllE0_EEvNS0_6detail10TensorInfoIT_T1_EESF_NSC_IKS6_SE_EElS8_S8_SE_T6_.has_recursion, 0
	.set _ZN2at4cuda17kernelHistogram1DIlllLi1ELi2ELin1ELNS0_23CUDAHistogramMemoryTypeE0EZNS0_21CUDA_tensor_histogramIllLb0EEEbNS_6TensorES4_S4_lNS_14AccumulateTypeIT0_Lb1EE4typeES8_NS0_13TensorArgTypeES9_S9_EUllE0_EEvNS0_6detail10TensorInfoIT_T1_EESF_NSC_IKS6_SE_EElS8_S8_SE_T6_.has_indirect_call, 0
	.section	.AMDGPU.csdata,"",@progbits
; Kernel info:
; codeLenInByte = 2340
; TotalNumSgprs: 55
; NumVgprs: 32
; ScratchSize: 0
; MemoryBound: 0
; FloatMode: 240
; IeeeMode: 1
; LDSByteSize: 0 bytes/workgroup (compile time only)
; SGPRBlocks: 0
; VGPRBlocks: 1
; NumSGPRsForWavesPerEU: 55
; NumVGPRsForWavesPerEU: 32
; NamedBarCnt: 0
; Occupancy: 16
; WaveLimiterHint : 1
; COMPUTE_PGM_RSRC2:SCRATCH_EN: 0
; COMPUTE_PGM_RSRC2:USER_SGPR: 2
; COMPUTE_PGM_RSRC2:TRAP_HANDLER: 0
; COMPUTE_PGM_RSRC2:TGID_X_EN: 1
; COMPUTE_PGM_RSRC2:TGID_Y_EN: 0
; COMPUTE_PGM_RSRC2:TGID_Z_EN: 0
; COMPUTE_PGM_RSRC2:TIDIG_COMP_CNT: 0
	.section	.text._ZN2at4cuda17kernelHistogram1DIlllLi1ELi2ELin1ELNS0_23CUDAHistogramMemoryTypeE1EZNS0_21CUDA_tensor_histogramIllLb0EEEbNS_6TensorES4_S4_lNS_14AccumulateTypeIT0_Lb1EE4typeES8_NS0_13TensorArgTypeES9_S9_EUllE0_EEvNS0_6detail10TensorInfoIT_T1_EESF_NSC_IKS6_SE_EElS8_S8_SE_T6_,"axG",@progbits,_ZN2at4cuda17kernelHistogram1DIlllLi1ELi2ELin1ELNS0_23CUDAHistogramMemoryTypeE1EZNS0_21CUDA_tensor_histogramIllLb0EEEbNS_6TensorES4_S4_lNS_14AccumulateTypeIT0_Lb1EE4typeES8_NS0_13TensorArgTypeES9_S9_EUllE0_EEvNS0_6detail10TensorInfoIT_T1_EESF_NSC_IKS6_SE_EElS8_S8_SE_T6_,comdat
	.protected	_ZN2at4cuda17kernelHistogram1DIlllLi1ELi2ELin1ELNS0_23CUDAHistogramMemoryTypeE1EZNS0_21CUDA_tensor_histogramIllLb0EEEbNS_6TensorES4_S4_lNS_14AccumulateTypeIT0_Lb1EE4typeES8_NS0_13TensorArgTypeES9_S9_EUllE0_EEvNS0_6detail10TensorInfoIT_T1_EESF_NSC_IKS6_SE_EElS8_S8_SE_T6_ ; -- Begin function _ZN2at4cuda17kernelHistogram1DIlllLi1ELi2ELin1ELNS0_23CUDAHistogramMemoryTypeE1EZNS0_21CUDA_tensor_histogramIllLb0EEEbNS_6TensorES4_S4_lNS_14AccumulateTypeIT0_Lb1EE4typeES8_NS0_13TensorArgTypeES9_S9_EUllE0_EEvNS0_6detail10TensorInfoIT_T1_EESF_NSC_IKS6_SE_EElS8_S8_SE_T6_
	.globl	_ZN2at4cuda17kernelHistogram1DIlllLi1ELi2ELin1ELNS0_23CUDAHistogramMemoryTypeE1EZNS0_21CUDA_tensor_histogramIllLb0EEEbNS_6TensorES4_S4_lNS_14AccumulateTypeIT0_Lb1EE4typeES8_NS0_13TensorArgTypeES9_S9_EUllE0_EEvNS0_6detail10TensorInfoIT_T1_EESF_NSC_IKS6_SE_EElS8_S8_SE_T6_
	.p2align	8
	.type	_ZN2at4cuda17kernelHistogram1DIlllLi1ELi2ELin1ELNS0_23CUDAHistogramMemoryTypeE1EZNS0_21CUDA_tensor_histogramIllLb0EEEbNS_6TensorES4_S4_lNS_14AccumulateTypeIT0_Lb1EE4typeES8_NS0_13TensorArgTypeES9_S9_EUllE0_EEvNS0_6detail10TensorInfoIT_T1_EESF_NSC_IKS6_SE_EElS8_S8_SE_T6_,@function
_ZN2at4cuda17kernelHistogram1DIlllLi1ELi2ELin1ELNS0_23CUDAHistogramMemoryTypeE1EZNS0_21CUDA_tensor_histogramIllLb0EEEbNS_6TensorES4_S4_lNS_14AccumulateTypeIT0_Lb1EE4typeES8_NS0_13TensorArgTypeES9_S9_EUllE0_EEvNS0_6detail10TensorInfoIT_T1_EESF_NSC_IKS6_SE_EElS8_S8_SE_T6_: ; @_ZN2at4cuda17kernelHistogram1DIlllLi1ELi2ELin1ELNS0_23CUDAHistogramMemoryTypeE1EZNS0_21CUDA_tensor_histogramIllLb0EEEbNS_6TensorES4_S4_lNS_14AccumulateTypeIT0_Lb1EE4typeES8_NS0_13TensorArgTypeES9_S9_EUllE0_EEvNS0_6detail10TensorInfoIT_T1_EESF_NSC_IKS6_SE_EElS8_S8_SE_T6_
; %bb.0:
	s_load_b32 s2, s[0:1], 0x514
	s_bfe_u32 s12, ttmp6, 0x4000c
	s_load_b256 s[4:11], s[0:1], 0x4e0
	s_add_co_i32 s12, s12, 1
	s_and_b32 s3, ttmp6, 15
	s_mul_i32 s12, ttmp9, s12
	s_getreg_b32 s13, hwreg(HW_REG_IB_STS2, 6, 4)
	s_add_co_i32 s3, s3, s12
	v_mov_b32_e32 v2, 0
	s_mov_b32 s12, exec_lo
	s_delay_alu instid0(VALU_DEP_1) | instskip(SKIP_4) | instid1(SALU_CYCLE_1)
	v_mov_b32_e32 v1, v2
	s_wait_kmcnt 0x0
	s_and_b32 s2, s2, 0xffff
	s_cmp_eq_u32 s13, 0
	s_cselect_b32 s3, ttmp9, s3
	v_mad_u32 v0, s3, s2, v0
	s_mov_b32 s3, 0
	s_delay_alu instid0(VALU_DEP_1)
	v_cmpx_gt_i64_e64 s[10:11], v[0:1]
	s_cbranch_execz .LBB43_16
; %bb.1:
	s_load_b32 s28, s[0:1], 0x4d8
	s_add_nc_u64 s[20:21], s[0:1], 0x508
	s_load_b32 s22, s[20:21], 0x0
	s_clause 0x3
	s_load_b64 s[12:13], s[0:1], 0x0
	s_load_b64 s[14:15], s[0:1], 0xd0
	;; [unrolled: 1-line block ×4, first 2 shown]
	s_add_nc_u64 s[26:27], s[0:1], 0x340
	v_mov_b64_e32 v[4:5], 1
	s_wait_xcnt 0x0
	s_sub_nc_u64 s[20:21], s[8:9], s[6:7]
	s_mov_b32 s23, s3
	s_mov_b64 s[24:25], 0xffffffff
	s_mov_b32 s40, 0
	s_wait_kmcnt 0x0
	s_mul_i32 s22, s22, s2
	s_cmp_gt_i32 s28, 1
	s_cselect_b32 s1, -1, 0
	s_add_co_i32 s2, s28, -1
	s_add_co_i32 s33, s28, 1
	s_lshl_b64 s[28:29], s[2:3], 3
	s_delay_alu instid0(SALU_CYCLE_1)
	s_add_nc_u64 s[28:29], s[26:27], s[28:29]
	s_ashr_i32 s26, s21, 31
	s_add_nc_u64 s[28:29], s[28:29], 8
	s_branch .LBB43_4
.LBB43_2:                               ;   in Loop: Header=BB43_4 Depth=1
	s_or_b32 exec_lo, exec_lo, s0
	s_delay_alu instid0(VALU_DEP_1) | instskip(NEXT) | instid1(VALU_DEP_1)
	v_dual_ashrrev_i32 v9, 31, v8 :: v_dual_mov_b32 v7, s3
	v_cmp_eq_u64_e32 vcc_lo, s[4:5], v[8:9]
	v_cndmask_b32_e64 v6, 0, 1, vcc_lo
	s_delay_alu instid0(VALU_DEP_1) | instskip(NEXT) | instid1(VALU_DEP_1)
	v_sub_nc_u64_e32 v[6:7], v[8:9], v[6:7]
	v_mul_u64_e32 v[6:7], s[14:15], v[6:7]
	s_delay_alu instid0(VALU_DEP_1)
	v_lshl_add_u64 v[6:7], v[6:7], 3, s[12:13]
	global_atomic_add_u64 v[6:7], v[4:5], off scope:SCOPE_SYS
.LBB43_3:                               ;   in Loop: Header=BB43_4 Depth=1
	s_wait_xcnt 0x0
	s_or_b32 exec_lo, exec_lo, s34
	v_add_nc_u64_e32 v[0:1], s[22:23], v[0:1]
	s_delay_alu instid0(VALU_DEP_1) | instskip(SKIP_1) | instid1(SALU_CYCLE_1)
	v_cmp_le_i64_e32 vcc_lo, s[10:11], v[0:1]
	s_or_b32 s40, vcc_lo, s40
	s_and_not1_b32 exec_lo, exec_lo, s40
	s_cbranch_execz .LBB43_16
.LBB43_4:                               ; =>This Loop Header: Depth=1
                                        ;     Child Loop BB43_5 Depth 2
	v_mov_b64_e32 v[6:7], 0
	v_mov_b64_e32 v[8:9], v[0:1]
	v_mov_b64_e32 v[10:11], v[0:1]
	s_and_not1_b32 vcc_lo, exec_lo, s1
	s_mov_b64 s[30:31], s[28:29]
	s_mov_b32 s27, s33
	s_cbranch_vccnz .LBB43_11
.LBB43_5:                               ;   Parent Loop BB43_4 Depth=1
                                        ; =>  This Inner Loop Header: Depth=2
	s_load_b64 s[34:35], s[30:31], 0x0
                                        ; implicit-def: $vgpr10_vgpr11
	s_mov_b32 s0, exec_lo
	s_wait_kmcnt 0x0
	s_delay_alu instid0(VALU_DEP_1) | instskip(NEXT) | instid1(VALU_DEP_1)
	v_or_b32_e32 v3, s35, v9
	v_cmpx_ne_u64_e32 0, v[2:3]
	s_xor_b32 s41, exec_lo, s0
	s_cbranch_execz .LBB43_7
; %bb.6:                                ;   in Loop: Header=BB43_5 Depth=2
	s_ashr_i32 s36, s35, 31
	v_dual_mov_b32 v15, v2 :: v_dual_ashrrev_i32 v10, 31, v9
	s_mov_b32 s37, s36
	v_mov_b32_e32 v23, v2
	s_add_nc_u64 s[38:39], s[34:35], s[36:37]
	s_delay_alu instid0(VALU_DEP_2) | instskip(SKIP_1) | instid1(SALU_CYCLE_1)
	v_mov_b32_e32 v11, v10
	s_xor_b64 s[38:39], s[38:39], s[36:37]
	s_cvt_f32_u32 s0, s38
	s_cvt_f32_u32 s2, s39
	s_sub_nc_u64 s[44:45], 0, s[38:39]
	v_add_nc_u64_e32 v[12:13], v[8:9], v[10:11]
	v_mov_b32_e32 v19, v2
	s_fmamk_f32 s0, s2, 0x4f800000, s0
	s_delay_alu instid0(SALU_CYCLE_3) | instskip(NEXT) | instid1(VALU_DEP_2)
	v_s_rcp_f32 s0, s0
	v_xor_b32_e32 v14, v12, v10
	s_delay_alu instid0(VALU_DEP_3) | instskip(NEXT) | instid1(TRANS32_DEP_1)
	v_xor_b32_e32 v18, v13, v10
	s_mul_f32 s0, s0, 0x5f7ffffc
	s_delay_alu instid0(SALU_CYCLE_3) | instskip(NEXT) | instid1(SALU_CYCLE_3)
	s_mul_f32 s2, s0, 0x2f800000
	s_trunc_f32 s2, s2
	s_delay_alu instid0(SALU_CYCLE_3) | instskip(SKIP_1) | instid1(SALU_CYCLE_2)
	s_fmamk_f32 s0, s2, 0xcf800000, s0
	s_cvt_u32_f32 s43, s2
	s_cvt_u32_f32 s42, s0
	s_delay_alu instid0(SALU_CYCLE_3) | instskip(NEXT) | instid1(SALU_CYCLE_1)
	s_mul_u64 s[46:47], s[44:45], s[42:43]
	s_mul_hi_u32 s49, s42, s47
	s_mul_i32 s48, s42, s47
	s_mul_hi_u32 s2, s42, s46
	s_mul_i32 s37, s43, s46
	s_add_nc_u64 s[48:49], s[2:3], s[48:49]
	s_mul_hi_u32 s0, s43, s46
	s_mul_hi_u32 s50, s43, s47
	s_add_co_u32 s2, s48, s37
	s_add_co_ci_u32 s2, s49, s0
	s_mul_i32 s46, s43, s47
	s_add_co_ci_u32 s47, s50, 0
	s_delay_alu instid0(SALU_CYCLE_1) | instskip(NEXT) | instid1(SALU_CYCLE_1)
	s_add_nc_u64 s[46:47], s[2:3], s[46:47]
	s_add_co_u32 s42, s42, s46
	s_cselect_b32 s0, -1, 0
	s_delay_alu instid0(SALU_CYCLE_1) | instskip(SKIP_1) | instid1(SALU_CYCLE_1)
	s_cmp_lg_u32 s0, 0
	s_add_co_ci_u32 s43, s43, s47
	s_mul_u64 s[44:45], s[44:45], s[42:43]
	s_delay_alu instid0(SALU_CYCLE_1)
	s_mul_hi_u32 s47, s42, s45
	s_mul_i32 s46, s42, s45
	s_mul_hi_u32 s2, s42, s44
	s_mul_i32 s37, s43, s44
	s_add_nc_u64 s[46:47], s[2:3], s[46:47]
	s_mul_hi_u32 s0, s43, s44
	s_mul_hi_u32 s48, s43, s45
	s_add_co_u32 s2, s46, s37
	s_add_co_ci_u32 s2, s47, s0
	s_mul_i32 s44, s43, s45
	s_add_co_ci_u32 s45, s48, 0
	s_delay_alu instid0(SALU_CYCLE_1) | instskip(NEXT) | instid1(SALU_CYCLE_1)
	s_add_nc_u64 s[44:45], s[2:3], s[44:45]
	s_add_co_u32 s0, s42, s44
	s_cselect_b32 s2, -1, 0
	v_mul_hi_u32 v22, v14, s0
	s_cmp_lg_u32 s2, 0
	s_add_co_ci_u32 s2, s43, s45
	s_and_b64 s[42:43], s[0:1], s[24:25]
	v_mul_u64_e32 v[16:17], s[2:3], v[14:15]
	v_mul_u64_e32 v[12:13], s[42:43], v[18:19]
	;; [unrolled: 1-line block ×3, first 2 shown]
	s_delay_alu instid0(VALU_DEP_3) | instskip(NEXT) | instid1(VALU_DEP_1)
	v_add_nc_u64_e32 v[16:17], v[22:23], v[16:17]
	v_add_co_u32 v3, vcc_lo, v16, v12
	s_delay_alu instid0(VALU_DEP_2) | instskip(NEXT) | instid1(VALU_DEP_4)
	v_add_co_ci_u32_e32 v22, vcc_lo, v17, v13, vcc_lo
	v_add_co_ci_u32_e32 v21, vcc_lo, 0, v21, vcc_lo
	s_delay_alu instid0(VALU_DEP_1) | instskip(NEXT) | instid1(VALU_DEP_1)
	v_add_nc_u64_e32 v[12:13], v[22:23], v[20:21]
	v_mul_u64_e32 v[16:17], s[38:39], v[12:13]
	s_delay_alu instid0(VALU_DEP_1) | instskip(NEXT) | instid1(VALU_DEP_2)
	v_sub_nc_u32_e32 v3, v18, v17
	v_sub_co_u32 v11, vcc_lo, v14, v16
	s_delay_alu instid0(VALU_DEP_1) | instskip(NEXT) | instid1(VALU_DEP_3)
	v_sub_co_ci_u32_e64 v18, null, v18, v17, vcc_lo
	v_subrev_co_ci_u32_e64 v3, null, s39, v3, vcc_lo
	s_delay_alu instid0(VALU_DEP_3) | instskip(SKIP_1) | instid1(VALU_DEP_3)
	v_sub_co_u32 v14, s0, v11, s38
	v_add_nc_u64_e32 v[16:17], 1, v[12:13]
	v_subrev_co_ci_u32_e64 v3, null, 0, v3, s0
	s_delay_alu instid0(VALU_DEP_3) | instskip(SKIP_1) | instid1(VALU_DEP_3)
	v_cmp_le_u32_e32 vcc_lo, s38, v14
	v_cndmask_b32_e64 v14, 0, -1, vcc_lo
	v_cmp_le_u32_e32 vcc_lo, s39, v3
	v_cndmask_b32_e64 v15, 0, -1, vcc_lo
	;; [unrolled: 2-line block ×4, first 2 shown]
	v_cmp_eq_u32_e32 vcc_lo, s39, v3
	v_cndmask_b32_e32 v3, v15, v14, vcc_lo
	v_cmp_eq_u32_e32 vcc_lo, s39, v18
	v_add_nc_u64_e32 v[14:15], 2, v[12:13]
	v_cndmask_b32_e32 v11, v19, v11, vcc_lo
	s_delay_alu instid0(VALU_DEP_4) | instskip(NEXT) | instid1(VALU_DEP_2)
	v_cmp_ne_u32_e32 vcc_lo, 0, v3
	v_cmp_ne_u32_e64 s0, 0, v11
	s_delay_alu instid0(VALU_DEP_4) | instskip(NEXT) | instid1(VALU_DEP_1)
	v_dual_cndmask_b32 v3, v17, v15, vcc_lo :: v_dual_cndmask_b32 v11, v16, v14, vcc_lo
	v_dual_cndmask_b32 v3, v13, v3, s0 :: v_dual_bitop2_b32 v10, s36, v10 bitop3:0x14
	s_delay_alu instid0(VALU_DEP_1) | instskip(NEXT) | instid1(VALU_DEP_2)
	v_dual_cndmask_b32 v12, v12, v11, s0 :: v_dual_mov_b32 v11, v10
	v_xor_b32_e32 v13, v3, v10
	s_delay_alu instid0(VALU_DEP_2) | instskip(NEXT) | instid1(VALU_DEP_1)
	v_xor_b32_e32 v12, v12, v10
	v_sub_nc_u64_e32 v[10:11], v[12:13], v[10:11]
.LBB43_7:                               ;   in Loop: Header=BB43_5 Depth=2
	s_and_not1_saveexec_b32 s0, s41
	s_cbranch_execz .LBB43_9
; %bb.8:                                ;   in Loop: Header=BB43_5 Depth=2
	v_cvt_f32_u32_e32 v3, s34
	s_sub_co_i32 s2, 0, s34
	s_delay_alu instid0(VALU_DEP_1) | instskip(SKIP_1) | instid1(TRANS32_DEP_1)
	v_rcp_iflag_f32_e32 v3, v3
	v_nop
	v_mul_f32_e32 v3, 0x4f7ffffe, v3
	s_delay_alu instid0(VALU_DEP_1) | instskip(NEXT) | instid1(VALU_DEP_1)
	v_cvt_u32_f32_e32 v3, v3
	v_mul_lo_u32 v10, s2, v3
	s_delay_alu instid0(VALU_DEP_1) | instskip(NEXT) | instid1(VALU_DEP_1)
	v_mul_hi_u32 v10, v3, v10
	v_add_nc_u32_e32 v3, v3, v10
	s_delay_alu instid0(VALU_DEP_1) | instskip(NEXT) | instid1(VALU_DEP_1)
	v_mul_hi_u32 v3, v8, v3
	v_mul_lo_u32 v10, v3, s34
	s_delay_alu instid0(VALU_DEP_1) | instskip(NEXT) | instid1(VALU_DEP_1)
	v_dual_add_nc_u32 v11, 1, v3 :: v_dual_sub_nc_u32 v10, v8, v10
	v_subrev_nc_u32_e32 v12, s34, v10
	v_cmp_le_u32_e32 vcc_lo, s34, v10
	s_delay_alu instid0(VALU_DEP_2) | instskip(NEXT) | instid1(VALU_DEP_1)
	v_dual_cndmask_b32 v10, v10, v12 :: v_dual_cndmask_b32 v3, v3, v11
	v_cmp_le_u32_e32 vcc_lo, s34, v10
	s_delay_alu instid0(VALU_DEP_2) | instskip(NEXT) | instid1(VALU_DEP_1)
	v_add_nc_u32_e32 v11, 1, v3
	v_dual_cndmask_b32 v10, v3, v11 :: v_dual_mov_b32 v11, v2
.LBB43_9:                               ;   in Loop: Header=BB43_5 Depth=2
	s_or_b32 exec_lo, exec_lo, s0
	s_delay_alu instid0(VALU_DEP_1)
	v_mul_u64_e32 v[12:13], s[34:35], v[10:11]
	s_load_b64 s[34:35], s[30:31], 0xc8
	s_add_co_i32 s27, s27, -1
	s_wait_xcnt 0x0
	s_add_nc_u64 s[30:31], s[30:31], -8
	s_cmp_gt_u32 s27, 2
	s_delay_alu instid0(VALU_DEP_1) | instskip(SKIP_1) | instid1(VALU_DEP_1)
	v_sub_nc_u64_e32 v[8:9], v[8:9], v[12:13]
	s_wait_kmcnt 0x0
	v_mad_nc_u64_u32 v[6:7], s34, v8, v[6:7]
	s_delay_alu instid0(VALU_DEP_1) | instskip(NEXT) | instid1(VALU_DEP_1)
	v_mad_u32 v3, s35, v8, v7
	v_mad_u32 v7, s34, v9, v3
	s_cbranch_scc0 .LBB43_11
; %bb.10:                               ;   in Loop: Header=BB43_5 Depth=2
	v_mov_b64_e32 v[8:9], v[10:11]
	s_branch .LBB43_5
.LBB43_11:                              ;   in Loop: Header=BB43_4 Depth=1
	s_delay_alu instid0(VALU_DEP_1) | instskip(NEXT) | instid1(VALU_DEP_1)
	v_mul_u64_e32 v[8:9], s[16:17], v[10:11]
	v_lshl_add_u64 v[8:9], v[8:9], 3, s[18:19]
	s_delay_alu instid0(VALU_DEP_1)
	v_lshl_add_u64 v[6:7], v[6:7], 3, v[8:9]
	global_load_b64 v[6:7], v[6:7], off
	s_wait_loadcnt 0x0
	v_cmp_le_i64_e32 vcc_lo, s[6:7], v[6:7]
	v_cmp_ge_i64_e64 s0, s[8:9], v[6:7]
	s_and_b32 s0, vcc_lo, s0
	s_wait_xcnt 0x0
	s_and_saveexec_b32 s34, s0
	s_cbranch_execz .LBB43_3
; %bb.12:                               ;   in Loop: Header=BB43_4 Depth=1
	v_sub_nc_u64_e64 v[6:7], v[6:7], s[6:7]
                                        ; implicit-def: $vgpr8_vgpr9
	s_mov_b32 s0, exec_lo
	s_delay_alu instid0(VALU_DEP_1) | instskip(NEXT) | instid1(VALU_DEP_1)
	v_mul_u64_e32 v[6:7], s[4:5], v[6:7]
	v_or_b32_e32 v3, s21, v7
	s_delay_alu instid0(VALU_DEP_1)
	v_cmpx_ne_u64_e32 0, v[2:3]
	s_xor_b32 s35, exec_lo, s0
	s_cbranch_execz .LBB43_14
; %bb.13:                               ;   in Loop: Header=BB43_4 Depth=1
	s_mov_b32 s27, s26
	v_dual_mov_b32 v11, v2 :: v_dual_ashrrev_i32 v8, 31, v7
	s_add_nc_u64 s[30:31], s[20:21], s[26:27]
	v_mov_b32_e32 v19, v2
	s_xor_b64 s[30:31], s[30:31], s[26:27]
	s_delay_alu instid0(VALU_DEP_2) | instskip(SKIP_3) | instid1(VALU_DEP_1)
	v_mov_b32_e32 v9, v8
	s_cvt_f32_u32 s0, s30
	s_cvt_f32_u32 s2, s31
	s_sub_nc_u64 s[38:39], 0, s[30:31]
	v_add_nc_u64_e32 v[6:7], v[6:7], v[8:9]
	s_delay_alu instid0(SALU_CYCLE_1) | instskip(SKIP_1) | instid1(SALU_CYCLE_2)
	s_fmamk_f32 s0, s2, 0x4f800000, s0
	v_mov_b32_e32 v15, v2
	v_s_rcp_f32 s0, s0
	s_delay_alu instid0(VALU_DEP_2) | instskip(NEXT) | instid1(VALU_DEP_3)
	v_xor_b32_e32 v10, v6, v8
	v_xor_b32_e32 v14, v7, v8
	s_delay_alu instid0(TRANS32_DEP_1) | instskip(NEXT) | instid1(SALU_CYCLE_3)
	s_mul_f32 s0, s0, 0x5f7ffffc
	s_mul_f32 s2, s0, 0x2f800000
	s_delay_alu instid0(SALU_CYCLE_3) | instskip(NEXT) | instid1(SALU_CYCLE_3)
	s_trunc_f32 s2, s2
	s_fmamk_f32 s0, s2, 0xcf800000, s0
	s_cvt_u32_f32 s37, s2
	s_delay_alu instid0(SALU_CYCLE_2) | instskip(NEXT) | instid1(SALU_CYCLE_3)
	s_cvt_u32_f32 s36, s0
	s_mul_u64 s[42:43], s[38:39], s[36:37]
	s_delay_alu instid0(SALU_CYCLE_1)
	s_mul_hi_u32 s45, s36, s43
	s_mul_i32 s44, s36, s43
	s_mul_hi_u32 s2, s36, s42
	s_mul_i32 s27, s37, s42
	s_add_nc_u64 s[44:45], s[2:3], s[44:45]
	s_mul_hi_u32 s0, s37, s42
	s_mul_hi_u32 s41, s37, s43
	s_add_co_u32 s2, s44, s27
	s_add_co_ci_u32 s2, s45, s0
	s_mul_i32 s42, s37, s43
	s_add_co_ci_u32 s43, s41, 0
	s_delay_alu instid0(SALU_CYCLE_1) | instskip(NEXT) | instid1(SALU_CYCLE_1)
	s_add_nc_u64 s[42:43], s[2:3], s[42:43]
	s_add_co_u32 s36, s36, s42
	s_cselect_b32 s0, -1, 0
	s_delay_alu instid0(SALU_CYCLE_1) | instskip(SKIP_1) | instid1(SALU_CYCLE_1)
	s_cmp_lg_u32 s0, 0
	s_add_co_ci_u32 s37, s37, s43
	s_mul_u64 s[38:39], s[38:39], s[36:37]
	s_delay_alu instid0(SALU_CYCLE_1)
	s_mul_hi_u32 s43, s36, s39
	s_mul_i32 s42, s36, s39
	s_mul_hi_u32 s2, s36, s38
	s_mul_i32 s27, s37, s38
	s_add_nc_u64 s[42:43], s[2:3], s[42:43]
	s_mul_hi_u32 s0, s37, s38
	s_mul_hi_u32 s41, s37, s39
	s_add_co_u32 s2, s42, s27
	s_add_co_ci_u32 s2, s43, s0
	s_mul_i32 s38, s37, s39
	s_add_co_ci_u32 s39, s41, 0
	s_delay_alu instid0(SALU_CYCLE_1) | instskip(NEXT) | instid1(SALU_CYCLE_1)
	s_add_nc_u64 s[38:39], s[2:3], s[38:39]
	s_add_co_u32 s0, s36, s38
	s_cselect_b32 s2, -1, 0
	v_mul_hi_u32 v18, v10, s0
	s_cmp_lg_u32 s2, 0
	s_add_co_ci_u32 s2, s37, s39
	s_and_b64 s[36:37], s[0:1], s[24:25]
	v_mul_u64_e32 v[12:13], s[2:3], v[10:11]
	v_mul_u64_e32 v[6:7], s[36:37], v[14:15]
	;; [unrolled: 1-line block ×3, first 2 shown]
	s_delay_alu instid0(VALU_DEP_3) | instskip(NEXT) | instid1(VALU_DEP_1)
	v_add_nc_u64_e32 v[12:13], v[18:19], v[12:13]
	v_add_co_u32 v3, vcc_lo, v12, v6
	s_delay_alu instid0(VALU_DEP_2) | instskip(NEXT) | instid1(VALU_DEP_4)
	v_add_co_ci_u32_e32 v18, vcc_lo, v13, v7, vcc_lo
	v_add_co_ci_u32_e32 v17, vcc_lo, 0, v17, vcc_lo
	s_delay_alu instid0(VALU_DEP_1) | instskip(NEXT) | instid1(VALU_DEP_1)
	v_add_nc_u64_e32 v[6:7], v[18:19], v[16:17]
	v_mul_u64_e32 v[12:13], s[30:31], v[6:7]
	s_delay_alu instid0(VALU_DEP_1) | instskip(NEXT) | instid1(VALU_DEP_2)
	v_sub_nc_u32_e32 v3, v14, v13
	v_sub_co_u32 v9, vcc_lo, v10, v12
	s_delay_alu instid0(VALU_DEP_1) | instskip(NEXT) | instid1(VALU_DEP_3)
	v_sub_co_ci_u32_e64 v14, null, v14, v13, vcc_lo
	v_subrev_co_ci_u32_e64 v3, null, s31, v3, vcc_lo
	s_delay_alu instid0(VALU_DEP_3) | instskip(SKIP_1) | instid1(VALU_DEP_3)
	v_sub_co_u32 v10, s0, v9, s30
	v_add_nc_u64_e32 v[12:13], 1, v[6:7]
	v_subrev_co_ci_u32_e64 v3, null, 0, v3, s0
	s_delay_alu instid0(VALU_DEP_3) | instskip(SKIP_1) | instid1(VALU_DEP_3)
	v_cmp_le_u32_e32 vcc_lo, s30, v10
	v_cndmask_b32_e64 v10, 0, -1, vcc_lo
	v_cmp_le_u32_e32 vcc_lo, s31, v3
	v_cndmask_b32_e64 v11, 0, -1, vcc_lo
	;; [unrolled: 2-line block ×4, first 2 shown]
	v_cmp_eq_u32_e32 vcc_lo, s31, v3
	v_cndmask_b32_e32 v3, v11, v10, vcc_lo
	v_cmp_eq_u32_e32 vcc_lo, s31, v14
	v_add_nc_u64_e32 v[10:11], 2, v[6:7]
	v_cndmask_b32_e32 v9, v15, v9, vcc_lo
	s_delay_alu instid0(VALU_DEP_4) | instskip(NEXT) | instid1(VALU_DEP_3)
	v_cmp_ne_u32_e32 vcc_lo, 0, v3
	v_cndmask_b32_e32 v3, v13, v11, vcc_lo
	s_delay_alu instid0(VALU_DEP_3) | instskip(SKIP_1) | instid1(VALU_DEP_1)
	v_cmp_ne_u32_e64 s0, 0, v9
	v_dual_cndmask_b32 v9, v12, v10, vcc_lo :: v_dual_bitop2_b32 v8, s26, v8 bitop3:0x14
	v_dual_cndmask_b32 v3, v7, v3, s0 :: v_dual_cndmask_b32 v6, v6, v9, s0
	s_delay_alu instid0(VALU_DEP_1) | instskip(NEXT) | instid1(VALU_DEP_2)
	v_dual_mov_b32 v9, v8 :: v_dual_bitop2_b32 v7, v3, v8 bitop3:0x14
	v_xor_b32_e32 v6, v6, v8
	s_delay_alu instid0(VALU_DEP_1)
	v_sub_nc_u64_e32 v[8:9], v[6:7], v[8:9]
                                        ; implicit-def: $vgpr6_vgpr7
.LBB43_14:                              ;   in Loop: Header=BB43_4 Depth=1
	s_and_not1_saveexec_b32 s0, s35
	s_cbranch_execz .LBB43_2
; %bb.15:                               ;   in Loop: Header=BB43_4 Depth=1
	v_cvt_f32_u32_e32 v3, s20
	s_sub_co_i32 s2, 0, s20
	s_delay_alu instid0(VALU_DEP_1) | instskip(SKIP_1) | instid1(TRANS32_DEP_1)
	v_rcp_iflag_f32_e32 v3, v3
	v_nop
	v_mul_f32_e32 v3, 0x4f7ffffe, v3
	s_delay_alu instid0(VALU_DEP_1) | instskip(NEXT) | instid1(VALU_DEP_1)
	v_cvt_u32_f32_e32 v3, v3
	v_mul_lo_u32 v7, s2, v3
	s_delay_alu instid0(VALU_DEP_1) | instskip(NEXT) | instid1(VALU_DEP_1)
	v_mul_hi_u32 v7, v3, v7
	v_add_nc_u32_e32 v3, v3, v7
	s_delay_alu instid0(VALU_DEP_1) | instskip(NEXT) | instid1(VALU_DEP_1)
	v_mul_hi_u32 v3, v6, v3
	v_mul_lo_u32 v7, v3, s20
	s_delay_alu instid0(VALU_DEP_1) | instskip(SKIP_1) | instid1(VALU_DEP_2)
	v_sub_nc_u32_e32 v6, v6, v7
	v_add_nc_u32_e32 v7, 1, v3
	v_subrev_nc_u32_e32 v8, s20, v6
	v_cmp_le_u32_e32 vcc_lo, s20, v6
	s_delay_alu instid0(VALU_DEP_2) | instskip(NEXT) | instid1(VALU_DEP_1)
	v_dual_cndmask_b32 v6, v6, v8 :: v_dual_cndmask_b32 v3, v3, v7
	v_cmp_le_u32_e32 vcc_lo, s20, v6
	s_delay_alu instid0(VALU_DEP_2) | instskip(NEXT) | instid1(VALU_DEP_1)
	v_add_nc_u32_e32 v7, 1, v3
	v_cndmask_b32_e32 v8, v3, v7, vcc_lo
	s_branch .LBB43_2
.LBB43_16:
	s_endpgm
	.section	.rodata,"a",@progbits
	.p2align	6, 0x0
	.amdhsa_kernel _ZN2at4cuda17kernelHistogram1DIlllLi1ELi2ELin1ELNS0_23CUDAHistogramMemoryTypeE1EZNS0_21CUDA_tensor_histogramIllLb0EEEbNS_6TensorES4_S4_lNS_14AccumulateTypeIT0_Lb1EE4typeES8_NS0_13TensorArgTypeES9_S9_EUllE0_EEvNS0_6detail10TensorInfoIT_T1_EESF_NSC_IKS6_SE_EElS8_S8_SE_T6_
		.amdhsa_group_segment_fixed_size 0
		.amdhsa_private_segment_fixed_size 0
		.amdhsa_kernarg_size 1544
		.amdhsa_user_sgpr_count 2
		.amdhsa_user_sgpr_dispatch_ptr 0
		.amdhsa_user_sgpr_queue_ptr 0
		.amdhsa_user_sgpr_kernarg_segment_ptr 1
		.amdhsa_user_sgpr_dispatch_id 0
		.amdhsa_user_sgpr_kernarg_preload_length 0
		.amdhsa_user_sgpr_kernarg_preload_offset 0
		.amdhsa_user_sgpr_private_segment_size 0
		.amdhsa_wavefront_size32 1
		.amdhsa_uses_dynamic_stack 0
		.amdhsa_enable_private_segment 0
		.amdhsa_system_sgpr_workgroup_id_x 1
		.amdhsa_system_sgpr_workgroup_id_y 0
		.amdhsa_system_sgpr_workgroup_id_z 0
		.amdhsa_system_sgpr_workgroup_info 0
		.amdhsa_system_vgpr_workitem_id 0
		.amdhsa_next_free_vgpr 24
		.amdhsa_next_free_sgpr 51
		.amdhsa_named_barrier_count 0
		.amdhsa_reserve_vcc 1
		.amdhsa_float_round_mode_32 0
		.amdhsa_float_round_mode_16_64 0
		.amdhsa_float_denorm_mode_32 3
		.amdhsa_float_denorm_mode_16_64 3
		.amdhsa_fp16_overflow 0
		.amdhsa_memory_ordered 1
		.amdhsa_forward_progress 1
		.amdhsa_inst_pref_size 16
		.amdhsa_round_robin_scheduling 0
		.amdhsa_exception_fp_ieee_invalid_op 0
		.amdhsa_exception_fp_denorm_src 0
		.amdhsa_exception_fp_ieee_div_zero 0
		.amdhsa_exception_fp_ieee_overflow 0
		.amdhsa_exception_fp_ieee_underflow 0
		.amdhsa_exception_fp_ieee_inexact 0
		.amdhsa_exception_int_div_zero 0
	.end_amdhsa_kernel
	.section	.text._ZN2at4cuda17kernelHistogram1DIlllLi1ELi2ELin1ELNS0_23CUDAHistogramMemoryTypeE1EZNS0_21CUDA_tensor_histogramIllLb0EEEbNS_6TensorES4_S4_lNS_14AccumulateTypeIT0_Lb1EE4typeES8_NS0_13TensorArgTypeES9_S9_EUllE0_EEvNS0_6detail10TensorInfoIT_T1_EESF_NSC_IKS6_SE_EElS8_S8_SE_T6_,"axG",@progbits,_ZN2at4cuda17kernelHistogram1DIlllLi1ELi2ELin1ELNS0_23CUDAHistogramMemoryTypeE1EZNS0_21CUDA_tensor_histogramIllLb0EEEbNS_6TensorES4_S4_lNS_14AccumulateTypeIT0_Lb1EE4typeES8_NS0_13TensorArgTypeES9_S9_EUllE0_EEvNS0_6detail10TensorInfoIT_T1_EESF_NSC_IKS6_SE_EElS8_S8_SE_T6_,comdat
.Lfunc_end43:
	.size	_ZN2at4cuda17kernelHistogram1DIlllLi1ELi2ELin1ELNS0_23CUDAHistogramMemoryTypeE1EZNS0_21CUDA_tensor_histogramIllLb0EEEbNS_6TensorES4_S4_lNS_14AccumulateTypeIT0_Lb1EE4typeES8_NS0_13TensorArgTypeES9_S9_EUllE0_EEvNS0_6detail10TensorInfoIT_T1_EESF_NSC_IKS6_SE_EElS8_S8_SE_T6_, .Lfunc_end43-_ZN2at4cuda17kernelHistogram1DIlllLi1ELi2ELin1ELNS0_23CUDAHistogramMemoryTypeE1EZNS0_21CUDA_tensor_histogramIllLb0EEEbNS_6TensorES4_S4_lNS_14AccumulateTypeIT0_Lb1EE4typeES8_NS0_13TensorArgTypeES9_S9_EUllE0_EEvNS0_6detail10TensorInfoIT_T1_EESF_NSC_IKS6_SE_EElS8_S8_SE_T6_
                                        ; -- End function
	.set _ZN2at4cuda17kernelHistogram1DIlllLi1ELi2ELin1ELNS0_23CUDAHistogramMemoryTypeE1EZNS0_21CUDA_tensor_histogramIllLb0EEEbNS_6TensorES4_S4_lNS_14AccumulateTypeIT0_Lb1EE4typeES8_NS0_13TensorArgTypeES9_S9_EUllE0_EEvNS0_6detail10TensorInfoIT_T1_EESF_NSC_IKS6_SE_EElS8_S8_SE_T6_.num_vgpr, 24
	.set _ZN2at4cuda17kernelHistogram1DIlllLi1ELi2ELin1ELNS0_23CUDAHistogramMemoryTypeE1EZNS0_21CUDA_tensor_histogramIllLb0EEEbNS_6TensorES4_S4_lNS_14AccumulateTypeIT0_Lb1EE4typeES8_NS0_13TensorArgTypeES9_S9_EUllE0_EEvNS0_6detail10TensorInfoIT_T1_EESF_NSC_IKS6_SE_EElS8_S8_SE_T6_.num_agpr, 0
	.set _ZN2at4cuda17kernelHistogram1DIlllLi1ELi2ELin1ELNS0_23CUDAHistogramMemoryTypeE1EZNS0_21CUDA_tensor_histogramIllLb0EEEbNS_6TensorES4_S4_lNS_14AccumulateTypeIT0_Lb1EE4typeES8_NS0_13TensorArgTypeES9_S9_EUllE0_EEvNS0_6detail10TensorInfoIT_T1_EESF_NSC_IKS6_SE_EElS8_S8_SE_T6_.numbered_sgpr, 51
	.set _ZN2at4cuda17kernelHistogram1DIlllLi1ELi2ELin1ELNS0_23CUDAHistogramMemoryTypeE1EZNS0_21CUDA_tensor_histogramIllLb0EEEbNS_6TensorES4_S4_lNS_14AccumulateTypeIT0_Lb1EE4typeES8_NS0_13TensorArgTypeES9_S9_EUllE0_EEvNS0_6detail10TensorInfoIT_T1_EESF_NSC_IKS6_SE_EElS8_S8_SE_T6_.num_named_barrier, 0
	.set _ZN2at4cuda17kernelHistogram1DIlllLi1ELi2ELin1ELNS0_23CUDAHistogramMemoryTypeE1EZNS0_21CUDA_tensor_histogramIllLb0EEEbNS_6TensorES4_S4_lNS_14AccumulateTypeIT0_Lb1EE4typeES8_NS0_13TensorArgTypeES9_S9_EUllE0_EEvNS0_6detail10TensorInfoIT_T1_EESF_NSC_IKS6_SE_EElS8_S8_SE_T6_.private_seg_size, 0
	.set _ZN2at4cuda17kernelHistogram1DIlllLi1ELi2ELin1ELNS0_23CUDAHistogramMemoryTypeE1EZNS0_21CUDA_tensor_histogramIllLb0EEEbNS_6TensorES4_S4_lNS_14AccumulateTypeIT0_Lb1EE4typeES8_NS0_13TensorArgTypeES9_S9_EUllE0_EEvNS0_6detail10TensorInfoIT_T1_EESF_NSC_IKS6_SE_EElS8_S8_SE_T6_.uses_vcc, 1
	.set _ZN2at4cuda17kernelHistogram1DIlllLi1ELi2ELin1ELNS0_23CUDAHistogramMemoryTypeE1EZNS0_21CUDA_tensor_histogramIllLb0EEEbNS_6TensorES4_S4_lNS_14AccumulateTypeIT0_Lb1EE4typeES8_NS0_13TensorArgTypeES9_S9_EUllE0_EEvNS0_6detail10TensorInfoIT_T1_EESF_NSC_IKS6_SE_EElS8_S8_SE_T6_.uses_flat_scratch, 0
	.set _ZN2at4cuda17kernelHistogram1DIlllLi1ELi2ELin1ELNS0_23CUDAHistogramMemoryTypeE1EZNS0_21CUDA_tensor_histogramIllLb0EEEbNS_6TensorES4_S4_lNS_14AccumulateTypeIT0_Lb1EE4typeES8_NS0_13TensorArgTypeES9_S9_EUllE0_EEvNS0_6detail10TensorInfoIT_T1_EESF_NSC_IKS6_SE_EElS8_S8_SE_T6_.has_dyn_sized_stack, 0
	.set _ZN2at4cuda17kernelHistogram1DIlllLi1ELi2ELin1ELNS0_23CUDAHistogramMemoryTypeE1EZNS0_21CUDA_tensor_histogramIllLb0EEEbNS_6TensorES4_S4_lNS_14AccumulateTypeIT0_Lb1EE4typeES8_NS0_13TensorArgTypeES9_S9_EUllE0_EEvNS0_6detail10TensorInfoIT_T1_EESF_NSC_IKS6_SE_EElS8_S8_SE_T6_.has_recursion, 0
	.set _ZN2at4cuda17kernelHistogram1DIlllLi1ELi2ELin1ELNS0_23CUDAHistogramMemoryTypeE1EZNS0_21CUDA_tensor_histogramIllLb0EEEbNS_6TensorES4_S4_lNS_14AccumulateTypeIT0_Lb1EE4typeES8_NS0_13TensorArgTypeES9_S9_EUllE0_EEvNS0_6detail10TensorInfoIT_T1_EESF_NSC_IKS6_SE_EElS8_S8_SE_T6_.has_indirect_call, 0
	.section	.AMDGPU.csdata,"",@progbits
; Kernel info:
; codeLenInByte = 2024
; TotalNumSgprs: 53
; NumVgprs: 24
; ScratchSize: 0
; MemoryBound: 0
; FloatMode: 240
; IeeeMode: 1
; LDSByteSize: 0 bytes/workgroup (compile time only)
; SGPRBlocks: 0
; VGPRBlocks: 1
; NumSGPRsForWavesPerEU: 53
; NumVGPRsForWavesPerEU: 24
; NamedBarCnt: 0
; Occupancy: 16
; WaveLimiterHint : 1
; COMPUTE_PGM_RSRC2:SCRATCH_EN: 0
; COMPUTE_PGM_RSRC2:USER_SGPR: 2
; COMPUTE_PGM_RSRC2:TRAP_HANDLER: 0
; COMPUTE_PGM_RSRC2:TGID_X_EN: 1
; COMPUTE_PGM_RSRC2:TGID_Y_EN: 0
; COMPUTE_PGM_RSRC2:TGID_Z_EN: 0
; COMPUTE_PGM_RSRC2:TIDIG_COMP_CNT: 0
	.section	.text._ZN2at4cuda17kernelHistogram1DIdllLi1ELi2ELin1ELNS0_23CUDAHistogramMemoryTypeE0EZNS0_21CUDA_tensor_histogramIdlLb1EEEbNS_6TensorES4_S4_lNS_14AccumulateTypeIT0_Lb1EE4typeES8_NS0_13TensorArgTypeES9_S9_EUllE_EEvNS0_6detail10TensorInfoIT_T1_EESF_NSC_IKS6_SE_EElS8_S8_SE_T6_,"axG",@progbits,_ZN2at4cuda17kernelHistogram1DIdllLi1ELi2ELin1ELNS0_23CUDAHistogramMemoryTypeE0EZNS0_21CUDA_tensor_histogramIdlLb1EEEbNS_6TensorES4_S4_lNS_14AccumulateTypeIT0_Lb1EE4typeES8_NS0_13TensorArgTypeES9_S9_EUllE_EEvNS0_6detail10TensorInfoIT_T1_EESF_NSC_IKS6_SE_EElS8_S8_SE_T6_,comdat
	.protected	_ZN2at4cuda17kernelHistogram1DIdllLi1ELi2ELin1ELNS0_23CUDAHistogramMemoryTypeE0EZNS0_21CUDA_tensor_histogramIdlLb1EEEbNS_6TensorES4_S4_lNS_14AccumulateTypeIT0_Lb1EE4typeES8_NS0_13TensorArgTypeES9_S9_EUllE_EEvNS0_6detail10TensorInfoIT_T1_EESF_NSC_IKS6_SE_EElS8_S8_SE_T6_ ; -- Begin function _ZN2at4cuda17kernelHistogram1DIdllLi1ELi2ELin1ELNS0_23CUDAHistogramMemoryTypeE0EZNS0_21CUDA_tensor_histogramIdlLb1EEEbNS_6TensorES4_S4_lNS_14AccumulateTypeIT0_Lb1EE4typeES8_NS0_13TensorArgTypeES9_S9_EUllE_EEvNS0_6detail10TensorInfoIT_T1_EESF_NSC_IKS6_SE_EElS8_S8_SE_T6_
	.globl	_ZN2at4cuda17kernelHistogram1DIdllLi1ELi2ELin1ELNS0_23CUDAHistogramMemoryTypeE0EZNS0_21CUDA_tensor_histogramIdlLb1EEEbNS_6TensorES4_S4_lNS_14AccumulateTypeIT0_Lb1EE4typeES8_NS0_13TensorArgTypeES9_S9_EUllE_EEvNS0_6detail10TensorInfoIT_T1_EESF_NSC_IKS6_SE_EElS8_S8_SE_T6_
	.p2align	8
	.type	_ZN2at4cuda17kernelHistogram1DIdllLi1ELi2ELin1ELNS0_23CUDAHistogramMemoryTypeE0EZNS0_21CUDA_tensor_histogramIdlLb1EEEbNS_6TensorES4_S4_lNS_14AccumulateTypeIT0_Lb1EE4typeES8_NS0_13TensorArgTypeES9_S9_EUllE_EEvNS0_6detail10TensorInfoIT_T1_EESF_NSC_IKS6_SE_EElS8_S8_SE_T6_,@function
_ZN2at4cuda17kernelHistogram1DIdllLi1ELi2ELin1ELNS0_23CUDAHistogramMemoryTypeE0EZNS0_21CUDA_tensor_histogramIdlLb1EEEbNS_6TensorES4_S4_lNS_14AccumulateTypeIT0_Lb1EE4typeES8_NS0_13TensorArgTypeES9_S9_EUllE_EEvNS0_6detail10TensorInfoIT_T1_EESF_NSC_IKS6_SE_EElS8_S8_SE_T6_: ; @_ZN2at4cuda17kernelHistogram1DIdllLi1ELi2ELin1ELNS0_23CUDAHistogramMemoryTypeE0EZNS0_21CUDA_tensor_histogramIdlLb1EEEbNS_6TensorES4_S4_lNS_14AccumulateTypeIT0_Lb1EE4typeES8_NS0_13TensorArgTypeES9_S9_EUllE_EEvNS0_6detail10TensorInfoIT_T1_EESF_NSC_IKS6_SE_EElS8_S8_SE_T6_
; %bb.0:
	s_clause 0x2
	s_load_b128 s[12:15], s[0:1], 0x0
	s_load_b64 s[16:17], s[0:1], 0x500
	s_load_b256 s[4:11], s[0:1], 0x4e0
	v_mov_b32_e32 v1, 0
	s_add_nc_u64 s[28:29], s[0:1], 0x6a0
	s_mov_b32 s3, exec_lo
                                        ; implicit-def: $sgpr18
                                        ; implicit-def: $sgpr19
	s_wait_kmcnt 0x0
	s_delay_alu instid0(VALU_DEP_1)
	v_cmp_gt_i64_e64 s2, s[14:15], v[0:1]
	v_cmpx_le_i64_e64 s[14:15], v[0:1]
	s_xor_b32 s3, exec_lo, s3
	s_cbranch_execz .LBB44_2
; %bb.1:
	s_load_b32 s18, s[28:29], 0xc
	s_wait_kmcnt 0x0
	s_and_b32 s19, s18, 0xffff
.LBB44_2:
	s_or_saveexec_b32 s3, s3
	v_dual_mov_b32 v16, s18 :: v_dual_mov_b32 v15, s19
	v_lshl_add_u32 v14, v0, 3, 0
	s_xor_b32 exec_lo, exec_lo, s3
	s_cbranch_execz .LBB44_6
; %bb.3:
	s_load_b32 s20, s[28:29], 0xc
	v_mov_b64_e32 v[2:3], 0
	v_mov_b64_e32 v[4:5], v[0:1]
	v_lshl_add_u32 v6, v0, 3, 0
	s_mov_b32 s19, 0
	s_delay_alu instid0(SALU_CYCLE_1) | instskip(SKIP_2) | instid1(SALU_CYCLE_1)
	s_mov_b32 s21, s19
	s_wait_kmcnt 0x0
	s_and_b32 s18, s20, 0xffff
	s_lshl_b32 s22, s18, 3
.LBB44_4:                               ; =>This Inner Loop Header: Depth=1
	v_add_nc_u64_e32 v[4:5], s[18:19], v[4:5]
	ds_store_b64 v6, v[2:3]
	v_add_nc_u32_e32 v6, s22, v6
	v_cmp_le_i64_e32 vcc_lo, s[14:15], v[4:5]
	s_or_b32 s21, vcc_lo, s21
	s_delay_alu instid0(SALU_CYCLE_1)
	s_and_not1_b32 exec_lo, exec_lo, s21
	s_cbranch_execnz .LBB44_4
; %bb.5:
	s_or_b32 exec_lo, exec_lo, s21
	v_dual_mov_b32 v16, s20 :: v_dual_mov_b32 v15, s18
.LBB44_6:
	s_or_b32 exec_lo, exec_lo, s3
	s_bfe_u32 s3, ttmp6, 0x4000c
	s_clause 0x1
	s_load_b64 s[18:19], s[0:1], 0xd0
	s_load_b64 s[20:21], s[0:1], 0x5d0
	s_add_co_i32 s3, s3, 1
	s_and_b32 s22, ttmp6, 15
	s_mul_i32 s3, ttmp9, s3
	s_getreg_b32 s23, hwreg(HW_REG_IB_STS2, 6, 4)
	s_add_co_i32 s22, s22, s3
	s_cmp_eq_u32 s23, 0
	v_mov_b32_e32 v4, 0
	s_cselect_b32 s3, ttmp9, s22
	s_mov_b32 s23, 0
	v_mad_u32 v2, s3, v15, v0
	s_mov_b32 s3, exec_lo
	v_mov_b32_e32 v3, v4
	s_wait_dscnt 0x0
	s_barrier_signal -1
	s_barrier_wait -1
	s_delay_alu instid0(VALU_DEP_1)
	v_cmpx_gt_i64_e64 s[10:11], v[2:3]
	s_cbranch_execz .LBB44_22
; %bb.7:
	s_load_b32 s33, s[0:1], 0x4d8
	s_load_b32 s22, s[28:29], 0x0
	s_clause 0x1
	s_load_b64 s[24:25], s[0:1], 0x410
	s_load_b64 s[26:27], s[0:1], 0x340
	s_add_nc_u64 s[34:35], s[0:1], 0x340
	v_mov_b32_e32 v7, v4
	s_wait_xcnt 0x0
	s_sub_nc_u64 s[28:29], s[8:9], s[6:7]
	s_mov_b64 s[30:31], 0xffffffff
	s_mov_b32 s46, 0
	s_wait_kmcnt 0x0
	s_cmp_gt_i32 s33, 1
	v_mul_lo_u32 v6, s22, v15
	s_cselect_b32 s1, -1, 0
	s_add_co_i32 s22, s33, -1
	s_add_co_i32 s33, s33, 1
	s_lshl_b64 s[36:37], s[22:23], 3
	s_delay_alu instid0(SALU_CYCLE_1)
	s_add_nc_u64 s[34:35], s[34:35], s[36:37]
	s_ashr_i32 s36, s29, 31
	s_add_nc_u64 s[34:35], s[34:35], 8
	s_branch .LBB44_10
.LBB44_8:                               ;   in Loop: Header=BB44_10 Depth=1
	s_or_b32 exec_lo, exec_lo, s0
	v_mul_u64_e32 v[8:9], s[20:21], v[2:3]
	s_delay_alu instid0(VALU_DEP_2) | instskip(NEXT) | instid1(VALU_DEP_1)
	v_ashrrev_i32_e32 v11, 31, v10
	v_cmp_eq_u64_e32 vcc_lo, s[4:5], v[10:11]
	v_subrev_co_ci_u32_e64 v5, null, 0, v10, vcc_lo
	s_delay_alu instid0(VALU_DEP_1)
	v_lshl_add_u32 v5, v5, 3, 0
	v_lshl_add_u64 v[8:9], v[8:9], 3, s[16:17]
	global_load_b64 v[8:9], v[8:9], off
	s_wait_loadcnt 0x0
	ds_add_f64 v5, v[8:9]
.LBB44_9:                               ;   in Loop: Header=BB44_10 Depth=1
	s_wait_xcnt 0x0
	s_or_b32 exec_lo, exec_lo, s40
	v_add_nc_u64_e32 v[2:3], v[2:3], v[6:7]
	s_delay_alu instid0(VALU_DEP_1) | instskip(SKIP_1) | instid1(SALU_CYCLE_1)
	v_cmp_le_i64_e32 vcc_lo, s[10:11], v[2:3]
	s_or_b32 s46, vcc_lo, s46
	s_and_not1_b32 exec_lo, exec_lo, s46
	s_cbranch_execz .LBB44_22
.LBB44_10:                              ; =>This Loop Header: Depth=1
                                        ;     Child Loop BB44_11 Depth 2
	v_mov_b64_e32 v[8:9], 0
	v_mov_b64_e32 v[10:11], v[2:3]
	;; [unrolled: 1-line block ×3, first 2 shown]
	s_and_not1_b32 vcc_lo, exec_lo, s1
	s_mov_b64 s[38:39], s[34:35]
	s_mov_b32 s37, s33
	s_cbranch_vccnz .LBB44_17
.LBB44_11:                              ;   Parent Loop BB44_10 Depth=1
                                        ; =>  This Inner Loop Header: Depth=2
	s_load_b64 s[40:41], s[38:39], 0x0
                                        ; implicit-def: $vgpr12_vgpr13
	s_mov_b32 s0, exec_lo
	s_wait_kmcnt 0x0
	s_delay_alu instid0(VALU_DEP_1) | instskip(NEXT) | instid1(VALU_DEP_1)
	v_or_b32_e32 v5, s41, v11
	v_cmpx_ne_u64_e32 0, v[4:5]
	s_xor_b32 s47, exec_lo, s0
	s_cbranch_execz .LBB44_13
; %bb.12:                               ;   in Loop: Header=BB44_11 Depth=2
	s_ashr_i32 s42, s41, 31
	v_dual_mov_b32 v21, v4 :: v_dual_ashrrev_i32 v12, 31, v11
	s_mov_b32 s43, s42
	v_mov_b32_e32 v29, v4
	s_add_nc_u64 s[44:45], s[40:41], s[42:43]
	s_delay_alu instid0(VALU_DEP_2) | instskip(SKIP_1) | instid1(SALU_CYCLE_1)
	v_mov_b32_e32 v13, v12
	s_xor_b64 s[44:45], s[44:45], s[42:43]
	s_cvt_f32_u32 s0, s44
	s_cvt_f32_u32 s22, s45
	s_sub_nc_u64 s[50:51], 0, s[44:45]
	v_add_nc_u64_e32 v[18:19], v[10:11], v[12:13]
	v_mov_b32_e32 v25, v4
	s_fmamk_f32 s0, s22, 0x4f800000, s0
	s_delay_alu instid0(SALU_CYCLE_3) | instskip(NEXT) | instid1(VALU_DEP_2)
	v_s_rcp_f32 s0, s0
	v_xor_b32_e32 v20, v18, v12
	s_delay_alu instid0(VALU_DEP_3) | instskip(SKIP_1) | instid1(TRANS32_DEP_1)
	v_xor_b32_e32 v24, v19, v12
	v_xor_b32_e32 v12, s42, v12
	s_mul_f32 s0, s0, 0x5f7ffffc
	s_delay_alu instid0(SALU_CYCLE_3) | instskip(NEXT) | instid1(SALU_CYCLE_3)
	s_mul_f32 s22, s0, 0x2f800000
	s_trunc_f32 s22, s22
	s_delay_alu instid0(SALU_CYCLE_3) | instskip(SKIP_1) | instid1(SALU_CYCLE_2)
	s_fmamk_f32 s0, s22, 0xcf800000, s0
	s_cvt_u32_f32 s49, s22
	s_cvt_u32_f32 s48, s0
	s_delay_alu instid0(SALU_CYCLE_3) | instskip(NEXT) | instid1(SALU_CYCLE_1)
	s_mul_u64 s[52:53], s[50:51], s[48:49]
	s_mul_hi_u32 s55, s48, s53
	s_mul_i32 s54, s48, s53
	s_mul_hi_u32 s22, s48, s52
	s_mul_i32 s43, s49, s52
	s_add_nc_u64 s[54:55], s[22:23], s[54:55]
	s_mul_hi_u32 s0, s49, s52
	s_mul_hi_u32 s56, s49, s53
	s_add_co_u32 s22, s54, s43
	s_add_co_ci_u32 s22, s55, s0
	s_mul_i32 s52, s49, s53
	s_add_co_ci_u32 s53, s56, 0
	s_delay_alu instid0(SALU_CYCLE_1) | instskip(NEXT) | instid1(SALU_CYCLE_1)
	s_add_nc_u64 s[52:53], s[22:23], s[52:53]
	s_add_co_u32 s48, s48, s52
	s_cselect_b32 s0, -1, 0
	s_delay_alu instid0(SALU_CYCLE_1) | instskip(SKIP_1) | instid1(SALU_CYCLE_1)
	s_cmp_lg_u32 s0, 0
	s_add_co_ci_u32 s49, s49, s53
	s_mul_u64 s[50:51], s[50:51], s[48:49]
	s_delay_alu instid0(SALU_CYCLE_1)
	s_mul_hi_u32 s53, s48, s51
	s_mul_i32 s52, s48, s51
	s_mul_hi_u32 s22, s48, s50
	s_mul_i32 s43, s49, s50
	s_add_nc_u64 s[52:53], s[22:23], s[52:53]
	s_mul_hi_u32 s0, s49, s50
	s_mul_hi_u32 s54, s49, s51
	s_add_co_u32 s22, s52, s43
	s_add_co_ci_u32 s22, s53, s0
	s_mul_i32 s50, s49, s51
	s_add_co_ci_u32 s51, s54, 0
	s_delay_alu instid0(SALU_CYCLE_1) | instskip(NEXT) | instid1(SALU_CYCLE_1)
	s_add_nc_u64 s[50:51], s[22:23], s[50:51]
	s_add_co_u32 s0, s48, s50
	s_cselect_b32 s22, -1, 0
	v_mul_hi_u32 v28, v20, s0
	s_cmp_lg_u32 s22, 0
	s_add_co_ci_u32 s22, s49, s51
	s_and_b64 s[48:49], s[0:1], s[30:31]
	v_mul_u64_e32 v[22:23], s[22:23], v[20:21]
	v_mul_u64_e32 v[18:19], s[48:49], v[24:25]
	;; [unrolled: 1-line block ×3, first 2 shown]
	s_delay_alu instid0(VALU_DEP_3) | instskip(NEXT) | instid1(VALU_DEP_1)
	v_add_nc_u64_e32 v[22:23], v[28:29], v[22:23]
	v_add_co_u32 v5, vcc_lo, v22, v18
	s_delay_alu instid0(VALU_DEP_2) | instskip(NEXT) | instid1(VALU_DEP_4)
	v_add_co_ci_u32_e32 v28, vcc_lo, v23, v19, vcc_lo
	v_add_co_ci_u32_e32 v27, vcc_lo, 0, v27, vcc_lo
	s_delay_alu instid0(VALU_DEP_1) | instskip(NEXT) | instid1(VALU_DEP_1)
	v_add_nc_u64_e32 v[18:19], v[28:29], v[26:27]
	v_mul_u64_e32 v[22:23], s[44:45], v[18:19]
	s_delay_alu instid0(VALU_DEP_1) | instskip(NEXT) | instid1(VALU_DEP_2)
	v_sub_nc_u32_e32 v5, v24, v23
	v_sub_co_u32 v13, vcc_lo, v20, v22
	s_delay_alu instid0(VALU_DEP_1) | instskip(NEXT) | instid1(VALU_DEP_3)
	v_sub_co_ci_u32_e64 v24, null, v24, v23, vcc_lo
	v_subrev_co_ci_u32_e64 v5, null, s45, v5, vcc_lo
	s_delay_alu instid0(VALU_DEP_3) | instskip(SKIP_1) | instid1(VALU_DEP_3)
	v_sub_co_u32 v17, s0, v13, s44
	v_add_nc_u64_e32 v[22:23], 1, v[18:19]
	v_subrev_co_ci_u32_e64 v5, null, 0, v5, s0
	s_delay_alu instid0(VALU_DEP_3) | instskip(SKIP_1) | instid1(VALU_DEP_3)
	v_cmp_le_u32_e32 vcc_lo, s44, v17
	v_cndmask_b32_e64 v17, 0, -1, vcc_lo
	v_cmp_le_u32_e32 vcc_lo, s45, v5
	v_cndmask_b32_e64 v20, 0, -1, vcc_lo
	;; [unrolled: 2-line block ×4, first 2 shown]
	v_cmp_eq_u32_e32 vcc_lo, s45, v5
	v_cndmask_b32_e32 v5, v20, v17, vcc_lo
	v_cmp_eq_u32_e32 vcc_lo, s45, v24
	v_add_nc_u64_e32 v[20:21], 2, v[18:19]
	v_cndmask_b32_e32 v13, v25, v13, vcc_lo
	s_delay_alu instid0(VALU_DEP_4) | instskip(NEXT) | instid1(VALU_DEP_2)
	v_cmp_ne_u32_e32 vcc_lo, 0, v5
	v_cmp_ne_u32_e64 s0, 0, v13
	s_delay_alu instid0(VALU_DEP_4) | instskip(NEXT) | instid1(VALU_DEP_1)
	v_dual_cndmask_b32 v5, v23, v21, vcc_lo :: v_dual_cndmask_b32 v13, v22, v20, vcc_lo
	v_dual_cndmask_b32 v17, v18, v13, s0 :: v_dual_mov_b32 v13, v12
	s_delay_alu instid0(VALU_DEP_1) | instskip(NEXT) | instid1(VALU_DEP_1)
	v_dual_cndmask_b32 v5, v19, v5, s0 :: v_dual_bitop2_b32 v18, v17, v12 bitop3:0x14
	v_xor_b32_e32 v19, v5, v12
	s_delay_alu instid0(VALU_DEP_1)
	v_sub_nc_u64_e32 v[12:13], v[18:19], v[12:13]
.LBB44_13:                              ;   in Loop: Header=BB44_11 Depth=2
	s_and_not1_saveexec_b32 s0, s47
	s_cbranch_execz .LBB44_15
; %bb.14:                               ;   in Loop: Header=BB44_11 Depth=2
	v_cvt_f32_u32_e32 v5, s40
	s_sub_co_i32 s22, 0, s40
	s_delay_alu instid0(VALU_DEP_1) | instskip(SKIP_1) | instid1(TRANS32_DEP_1)
	v_rcp_iflag_f32_e32 v5, v5
	v_nop
	v_mul_f32_e32 v5, 0x4f7ffffe, v5
	s_delay_alu instid0(VALU_DEP_1) | instskip(NEXT) | instid1(VALU_DEP_1)
	v_cvt_u32_f32_e32 v5, v5
	v_mul_lo_u32 v12, s22, v5
	s_delay_alu instid0(VALU_DEP_1) | instskip(NEXT) | instid1(VALU_DEP_1)
	v_mul_hi_u32 v12, v5, v12
	v_add_nc_u32_e32 v5, v5, v12
	s_delay_alu instid0(VALU_DEP_1) | instskip(NEXT) | instid1(VALU_DEP_1)
	v_mul_hi_u32 v5, v10, v5
	v_mul_lo_u32 v12, v5, s40
	s_delay_alu instid0(VALU_DEP_1) | instskip(NEXT) | instid1(VALU_DEP_1)
	v_dual_add_nc_u32 v13, 1, v5 :: v_dual_sub_nc_u32 v12, v10, v12
	v_subrev_nc_u32_e32 v17, s40, v12
	v_cmp_le_u32_e32 vcc_lo, s40, v12
	s_delay_alu instid0(VALU_DEP_2) | instskip(NEXT) | instid1(VALU_DEP_4)
	v_cndmask_b32_e32 v12, v12, v17, vcc_lo
	v_cndmask_b32_e32 v5, v5, v13, vcc_lo
	s_delay_alu instid0(VALU_DEP_2) | instskip(NEXT) | instid1(VALU_DEP_2)
	v_cmp_le_u32_e32 vcc_lo, s40, v12
	v_add_nc_u32_e32 v13, 1, v5
	s_delay_alu instid0(VALU_DEP_1)
	v_dual_cndmask_b32 v12, v5, v13 :: v_dual_mov_b32 v13, v4
.LBB44_15:                              ;   in Loop: Header=BB44_11 Depth=2
	s_or_b32 exec_lo, exec_lo, s0
	s_delay_alu instid0(VALU_DEP_1)
	v_mul_u64_e32 v[18:19], s[40:41], v[12:13]
	s_load_b64 s[40:41], s[38:39], 0xc8
	s_add_co_i32 s37, s37, -1
	s_wait_xcnt 0x0
	s_add_nc_u64 s[38:39], s[38:39], -8
	s_cmp_gt_u32 s37, 2
	s_delay_alu instid0(VALU_DEP_1) | instskip(SKIP_1) | instid1(VALU_DEP_1)
	v_sub_nc_u64_e32 v[10:11], v[10:11], v[18:19]
	s_wait_kmcnt 0x0
	v_mad_nc_u64_u32 v[8:9], s40, v10, v[8:9]
	s_delay_alu instid0(VALU_DEP_1) | instskip(NEXT) | instid1(VALU_DEP_1)
	v_mad_u32 v5, s41, v10, v9
	v_mad_u32 v9, s40, v11, v5
	s_cbranch_scc0 .LBB44_17
; %bb.16:                               ;   in Loop: Header=BB44_11 Depth=2
	v_mov_b64_e32 v[10:11], v[12:13]
	s_branch .LBB44_11
.LBB44_17:                              ;   in Loop: Header=BB44_10 Depth=1
	s_delay_alu instid0(VALU_DEP_1) | instskip(NEXT) | instid1(VALU_DEP_1)
	v_mul_u64_e32 v[10:11], s[24:25], v[12:13]
	v_lshl_add_u64 v[10:11], v[10:11], 3, s[26:27]
	s_delay_alu instid0(VALU_DEP_1)
	v_lshl_add_u64 v[8:9], v[8:9], 3, v[10:11]
	global_load_b64 v[8:9], v[8:9], off
	s_wait_loadcnt 0x0
	v_cmp_le_i64_e32 vcc_lo, s[6:7], v[8:9]
	v_cmp_ge_i64_e64 s0, s[8:9], v[8:9]
	s_and_b32 s0, vcc_lo, s0
	s_wait_xcnt 0x0
	s_and_saveexec_b32 s40, s0
	s_cbranch_execz .LBB44_9
; %bb.18:                               ;   in Loop: Header=BB44_10 Depth=1
	v_sub_nc_u64_e64 v[8:9], v[8:9], s[6:7]
                                        ; implicit-def: $vgpr10_vgpr11
	s_mov_b32 s0, exec_lo
	s_delay_alu instid0(VALU_DEP_1) | instskip(NEXT) | instid1(VALU_DEP_1)
	v_mul_u64_e32 v[8:9], s[4:5], v[8:9]
	v_or_b32_e32 v5, s29, v9
	s_delay_alu instid0(VALU_DEP_1)
	v_cmpx_ne_u64_e32 0, v[4:5]
	s_xor_b32 s41, exec_lo, s0
	s_cbranch_execz .LBB44_20
; %bb.19:                               ;   in Loop: Header=BB44_10 Depth=1
	s_mov_b32 s37, s36
	v_dual_mov_b32 v13, v4 :: v_dual_ashrrev_i32 v10, 31, v9
	s_add_nc_u64 s[38:39], s[28:29], s[36:37]
	v_mov_b32_e32 v25, v4
	s_xor_b64 s[38:39], s[38:39], s[36:37]
	s_delay_alu instid0(VALU_DEP_2) | instskip(SKIP_3) | instid1(VALU_DEP_1)
	v_mov_b32_e32 v11, v10
	s_cvt_f32_u32 s0, s38
	s_cvt_f32_u32 s22, s39
	s_sub_nc_u64 s[44:45], 0, s[38:39]
	v_add_nc_u64_e32 v[8:9], v[8:9], v[10:11]
	s_delay_alu instid0(SALU_CYCLE_1) | instskip(SKIP_1) | instid1(SALU_CYCLE_2)
	s_fmamk_f32 s0, s22, 0x4f800000, s0
	v_mov_b32_e32 v21, v4
	v_s_rcp_f32 s0, s0
	s_delay_alu instid0(VALU_DEP_2) | instskip(NEXT) | instid1(VALU_DEP_3)
	v_xor_b32_e32 v12, v8, v10
	v_xor_b32_e32 v20, v9, v10
	s_delay_alu instid0(TRANS32_DEP_1) | instskip(NEXT) | instid1(SALU_CYCLE_3)
	s_mul_f32 s0, s0, 0x5f7ffffc
	s_mul_f32 s22, s0, 0x2f800000
	s_delay_alu instid0(SALU_CYCLE_3) | instskip(NEXT) | instid1(SALU_CYCLE_3)
	s_trunc_f32 s22, s22
	s_fmamk_f32 s0, s22, 0xcf800000, s0
	s_cvt_u32_f32 s43, s22
	s_delay_alu instid0(SALU_CYCLE_2) | instskip(NEXT) | instid1(SALU_CYCLE_3)
	s_cvt_u32_f32 s42, s0
	s_mul_u64 s[48:49], s[44:45], s[42:43]
	s_delay_alu instid0(SALU_CYCLE_1)
	s_mul_hi_u32 s51, s42, s49
	s_mul_i32 s50, s42, s49
	s_mul_hi_u32 s22, s42, s48
	s_mul_i32 s37, s43, s48
	s_add_nc_u64 s[50:51], s[22:23], s[50:51]
	s_mul_hi_u32 s0, s43, s48
	s_mul_hi_u32 s47, s43, s49
	s_add_co_u32 s22, s50, s37
	s_add_co_ci_u32 s22, s51, s0
	s_mul_i32 s48, s43, s49
	s_add_co_ci_u32 s49, s47, 0
	s_delay_alu instid0(SALU_CYCLE_1) | instskip(NEXT) | instid1(SALU_CYCLE_1)
	s_add_nc_u64 s[48:49], s[22:23], s[48:49]
	s_add_co_u32 s42, s42, s48
	s_cselect_b32 s0, -1, 0
	s_delay_alu instid0(SALU_CYCLE_1) | instskip(SKIP_1) | instid1(SALU_CYCLE_1)
	s_cmp_lg_u32 s0, 0
	s_add_co_ci_u32 s43, s43, s49
	s_mul_u64 s[44:45], s[44:45], s[42:43]
	s_delay_alu instid0(SALU_CYCLE_1)
	s_mul_hi_u32 s49, s42, s45
	s_mul_i32 s48, s42, s45
	s_mul_hi_u32 s22, s42, s44
	s_mul_i32 s37, s43, s44
	s_add_nc_u64 s[48:49], s[22:23], s[48:49]
	s_mul_hi_u32 s0, s43, s44
	s_mul_hi_u32 s47, s43, s45
	s_add_co_u32 s22, s48, s37
	s_add_co_ci_u32 s22, s49, s0
	s_mul_i32 s44, s43, s45
	s_add_co_ci_u32 s45, s47, 0
	s_delay_alu instid0(SALU_CYCLE_1) | instskip(NEXT) | instid1(SALU_CYCLE_1)
	s_add_nc_u64 s[44:45], s[22:23], s[44:45]
	s_add_co_u32 s0, s42, s44
	s_cselect_b32 s22, -1, 0
	v_mul_hi_u32 v24, v12, s0
	s_cmp_lg_u32 s22, 0
	s_add_co_ci_u32 s22, s43, s45
	s_and_b64 s[42:43], s[0:1], s[30:31]
	v_mul_u64_e32 v[18:19], s[22:23], v[12:13]
	v_mul_u64_e32 v[8:9], s[42:43], v[20:21]
	;; [unrolled: 1-line block ×3, first 2 shown]
	s_delay_alu instid0(VALU_DEP_3) | instskip(NEXT) | instid1(VALU_DEP_1)
	v_add_nc_u64_e32 v[18:19], v[24:25], v[18:19]
	v_add_co_u32 v5, vcc_lo, v18, v8
	s_delay_alu instid0(VALU_DEP_2) | instskip(NEXT) | instid1(VALU_DEP_4)
	v_add_co_ci_u32_e32 v24, vcc_lo, v19, v9, vcc_lo
	v_add_co_ci_u32_e32 v23, vcc_lo, 0, v23, vcc_lo
	s_delay_alu instid0(VALU_DEP_1) | instskip(NEXT) | instid1(VALU_DEP_1)
	v_add_nc_u64_e32 v[8:9], v[24:25], v[22:23]
	v_mul_u64_e32 v[18:19], s[38:39], v[8:9]
	s_delay_alu instid0(VALU_DEP_1) | instskip(NEXT) | instid1(VALU_DEP_2)
	v_sub_nc_u32_e32 v5, v20, v19
	v_sub_co_u32 v11, vcc_lo, v12, v18
	s_delay_alu instid0(VALU_DEP_1) | instskip(NEXT) | instid1(VALU_DEP_3)
	v_sub_co_ci_u32_e64 v17, null, v20, v19, vcc_lo
	v_subrev_co_ci_u32_e64 v5, null, s39, v5, vcc_lo
	s_delay_alu instid0(VALU_DEP_3) | instskip(SKIP_1) | instid1(VALU_DEP_3)
	v_sub_co_u32 v12, s0, v11, s38
	v_add_nc_u64_e32 v[18:19], 1, v[8:9]
	v_subrev_co_ci_u32_e64 v5, null, 0, v5, s0
	s_delay_alu instid0(VALU_DEP_3) | instskip(SKIP_1) | instid1(VALU_DEP_3)
	v_cmp_le_u32_e32 vcc_lo, s38, v12
	v_cndmask_b32_e64 v12, 0, -1, vcc_lo
	v_cmp_le_u32_e32 vcc_lo, s39, v5
	v_cndmask_b32_e64 v13, 0, -1, vcc_lo
	;; [unrolled: 2-line block ×4, first 2 shown]
	v_cmp_eq_u32_e32 vcc_lo, s39, v5
	v_cndmask_b32_e32 v5, v13, v12, vcc_lo
	v_cmp_eq_u32_e32 vcc_lo, s39, v17
	v_add_nc_u64_e32 v[12:13], 2, v[8:9]
	v_cndmask_b32_e32 v11, v20, v11, vcc_lo
	s_delay_alu instid0(VALU_DEP_4) | instskip(NEXT) | instid1(VALU_DEP_3)
	v_cmp_ne_u32_e32 vcc_lo, 0, v5
	v_cndmask_b32_e32 v5, v19, v13, vcc_lo
	s_delay_alu instid0(VALU_DEP_3) | instskip(SKIP_1) | instid1(VALU_DEP_1)
	v_cmp_ne_u32_e64 s0, 0, v11
	v_dual_cndmask_b32 v11, v18, v12, vcc_lo :: v_dual_bitop2_b32 v10, s36, v10 bitop3:0x14
	v_dual_cndmask_b32 v5, v9, v5, s0 :: v_dual_cndmask_b32 v8, v8, v11, s0
	s_delay_alu instid0(VALU_DEP_1) | instskip(NEXT) | instid1(VALU_DEP_2)
	v_dual_mov_b32 v11, v10 :: v_dual_bitop2_b32 v9, v5, v10 bitop3:0x14
	v_xor_b32_e32 v8, v8, v10
	s_delay_alu instid0(VALU_DEP_1)
	v_sub_nc_u64_e32 v[10:11], v[8:9], v[10:11]
                                        ; implicit-def: $vgpr8_vgpr9
.LBB44_20:                              ;   in Loop: Header=BB44_10 Depth=1
	s_and_not1_saveexec_b32 s0, s41
	s_cbranch_execz .LBB44_8
; %bb.21:                               ;   in Loop: Header=BB44_10 Depth=1
	v_cvt_f32_u32_e32 v5, s28
	s_sub_co_i32 s22, 0, s28
	s_delay_alu instid0(VALU_DEP_1) | instskip(SKIP_1) | instid1(TRANS32_DEP_1)
	v_rcp_iflag_f32_e32 v5, v5
	v_nop
	v_mul_f32_e32 v5, 0x4f7ffffe, v5
	s_delay_alu instid0(VALU_DEP_1) | instskip(NEXT) | instid1(VALU_DEP_1)
	v_cvt_u32_f32_e32 v5, v5
	v_mul_lo_u32 v9, s22, v5
	s_delay_alu instid0(VALU_DEP_1) | instskip(NEXT) | instid1(VALU_DEP_1)
	v_mul_hi_u32 v9, v5, v9
	v_add_nc_u32_e32 v5, v5, v9
	s_delay_alu instid0(VALU_DEP_1) | instskip(NEXT) | instid1(VALU_DEP_1)
	v_mul_hi_u32 v5, v8, v5
	v_mul_lo_u32 v9, v5, s28
	s_delay_alu instid0(VALU_DEP_1) | instskip(SKIP_1) | instid1(VALU_DEP_2)
	v_sub_nc_u32_e32 v8, v8, v9
	v_add_nc_u32_e32 v9, 1, v5
	v_subrev_nc_u32_e32 v10, s28, v8
	v_cmp_le_u32_e32 vcc_lo, s28, v8
	s_delay_alu instid0(VALU_DEP_2) | instskip(NEXT) | instid1(VALU_DEP_1)
	v_dual_cndmask_b32 v8, v8, v10 :: v_dual_cndmask_b32 v5, v5, v9
	v_cmp_le_u32_e32 vcc_lo, s28, v8
	s_delay_alu instid0(VALU_DEP_2) | instskip(NEXT) | instid1(VALU_DEP_1)
	v_add_nc_u32_e32 v9, 1, v5
	v_cndmask_b32_e32 v10, v5, v9, vcc_lo
	s_branch .LBB44_8
.LBB44_22:
	s_or_b32 exec_lo, exec_lo, s3
; %bb.23:
	s_wait_dscnt 0x0
	s_barrier_signal -1
	s_barrier_wait -1
	s_wait_xcnt 0x0
	s_and_saveexec_b32 s0, s2
	s_cbranch_execz .LBB44_26
; %bb.24:
	s_mov_b32 s0, 0
	v_and_b32_e32 v2, 0xffff, v16
	v_dual_mov_b32 v3, s0 :: v_dual_lshlrev_b32 v8, 3, v15
	s_wait_kmcnt 0x0
	v_mul_u64_e32 v[6:7], s[18:19], v[0:1]
	s_delay_alu instid0(VALU_DEP_2) | instskip(NEXT) | instid1(VALU_DEP_2)
	v_mul_u64_e32 v[4:5], s[18:19], v[2:3]
	v_lshl_add_u64 v[6:7], v[6:7], 3, s[12:13]
	s_delay_alu instid0(VALU_DEP_2)
	v_lshlrev_b64_e32 v[4:5], 3, v[4:5]
.LBB44_25:                              ; =>This Inner Loop Header: Depth=1
	ds_load_b64 v[10:11], v14
	v_add_nc_u64_e32 v[0:1], v[0:1], v[2:3]
	v_add_nc_u32_e32 v14, v14, v8
	s_delay_alu instid0(VALU_DEP_2)
	v_cmp_le_i64_e32 vcc_lo, s[14:15], v[0:1]
	s_or_b32 s0, vcc_lo, s0
	s_wait_dscnt 0x0
	global_atomic_add_f64 v[6:7], v[10:11], off scope:SCOPE_DEV
	s_wait_xcnt 0x0
	v_add_nc_u64_e32 v[6:7], v[6:7], v[4:5]
	s_and_not1_b32 exec_lo, exec_lo, s0
	s_cbranch_execnz .LBB44_25
.LBB44_26:
	s_endpgm
	.section	.rodata,"a",@progbits
	.p2align	6, 0x0
	.amdhsa_kernel _ZN2at4cuda17kernelHistogram1DIdllLi1ELi2ELin1ELNS0_23CUDAHistogramMemoryTypeE0EZNS0_21CUDA_tensor_histogramIdlLb1EEEbNS_6TensorES4_S4_lNS_14AccumulateTypeIT0_Lb1EE4typeES8_NS0_13TensorArgTypeES9_S9_EUllE_EEvNS0_6detail10TensorInfoIT_T1_EESF_NSC_IKS6_SE_EElS8_S8_SE_T6_
		.amdhsa_group_segment_fixed_size 0
		.amdhsa_private_segment_fixed_size 0
		.amdhsa_kernarg_size 1952
		.amdhsa_user_sgpr_count 2
		.amdhsa_user_sgpr_dispatch_ptr 0
		.amdhsa_user_sgpr_queue_ptr 0
		.amdhsa_user_sgpr_kernarg_segment_ptr 1
		.amdhsa_user_sgpr_dispatch_id 0
		.amdhsa_user_sgpr_kernarg_preload_length 0
		.amdhsa_user_sgpr_kernarg_preload_offset 0
		.amdhsa_user_sgpr_private_segment_size 0
		.amdhsa_wavefront_size32 1
		.amdhsa_uses_dynamic_stack 0
		.amdhsa_enable_private_segment 0
		.amdhsa_system_sgpr_workgroup_id_x 1
		.amdhsa_system_sgpr_workgroup_id_y 0
		.amdhsa_system_sgpr_workgroup_id_z 0
		.amdhsa_system_sgpr_workgroup_info 0
		.amdhsa_system_vgpr_workitem_id 0
		.amdhsa_next_free_vgpr 30
		.amdhsa_next_free_sgpr 57
		.amdhsa_named_barrier_count 0
		.amdhsa_reserve_vcc 1
		.amdhsa_float_round_mode_32 0
		.amdhsa_float_round_mode_16_64 0
		.amdhsa_float_denorm_mode_32 3
		.amdhsa_float_denorm_mode_16_64 3
		.amdhsa_fp16_overflow 0
		.amdhsa_memory_ordered 1
		.amdhsa_forward_progress 1
		.amdhsa_inst_pref_size 19
		.amdhsa_round_robin_scheduling 0
		.amdhsa_exception_fp_ieee_invalid_op 0
		.amdhsa_exception_fp_denorm_src 0
		.amdhsa_exception_fp_ieee_div_zero 0
		.amdhsa_exception_fp_ieee_overflow 0
		.amdhsa_exception_fp_ieee_underflow 0
		.amdhsa_exception_fp_ieee_inexact 0
		.amdhsa_exception_int_div_zero 0
	.end_amdhsa_kernel
	.section	.text._ZN2at4cuda17kernelHistogram1DIdllLi1ELi2ELin1ELNS0_23CUDAHistogramMemoryTypeE0EZNS0_21CUDA_tensor_histogramIdlLb1EEEbNS_6TensorES4_S4_lNS_14AccumulateTypeIT0_Lb1EE4typeES8_NS0_13TensorArgTypeES9_S9_EUllE_EEvNS0_6detail10TensorInfoIT_T1_EESF_NSC_IKS6_SE_EElS8_S8_SE_T6_,"axG",@progbits,_ZN2at4cuda17kernelHistogram1DIdllLi1ELi2ELin1ELNS0_23CUDAHistogramMemoryTypeE0EZNS0_21CUDA_tensor_histogramIdlLb1EEEbNS_6TensorES4_S4_lNS_14AccumulateTypeIT0_Lb1EE4typeES8_NS0_13TensorArgTypeES9_S9_EUllE_EEvNS0_6detail10TensorInfoIT_T1_EESF_NSC_IKS6_SE_EElS8_S8_SE_T6_,comdat
.Lfunc_end44:
	.size	_ZN2at4cuda17kernelHistogram1DIdllLi1ELi2ELin1ELNS0_23CUDAHistogramMemoryTypeE0EZNS0_21CUDA_tensor_histogramIdlLb1EEEbNS_6TensorES4_S4_lNS_14AccumulateTypeIT0_Lb1EE4typeES8_NS0_13TensorArgTypeES9_S9_EUllE_EEvNS0_6detail10TensorInfoIT_T1_EESF_NSC_IKS6_SE_EElS8_S8_SE_T6_, .Lfunc_end44-_ZN2at4cuda17kernelHistogram1DIdllLi1ELi2ELin1ELNS0_23CUDAHistogramMemoryTypeE0EZNS0_21CUDA_tensor_histogramIdlLb1EEEbNS_6TensorES4_S4_lNS_14AccumulateTypeIT0_Lb1EE4typeES8_NS0_13TensorArgTypeES9_S9_EUllE_EEvNS0_6detail10TensorInfoIT_T1_EESF_NSC_IKS6_SE_EElS8_S8_SE_T6_
                                        ; -- End function
	.set _ZN2at4cuda17kernelHistogram1DIdllLi1ELi2ELin1ELNS0_23CUDAHistogramMemoryTypeE0EZNS0_21CUDA_tensor_histogramIdlLb1EEEbNS_6TensorES4_S4_lNS_14AccumulateTypeIT0_Lb1EE4typeES8_NS0_13TensorArgTypeES9_S9_EUllE_EEvNS0_6detail10TensorInfoIT_T1_EESF_NSC_IKS6_SE_EElS8_S8_SE_T6_.num_vgpr, 30
	.set _ZN2at4cuda17kernelHistogram1DIdllLi1ELi2ELin1ELNS0_23CUDAHistogramMemoryTypeE0EZNS0_21CUDA_tensor_histogramIdlLb1EEEbNS_6TensorES4_S4_lNS_14AccumulateTypeIT0_Lb1EE4typeES8_NS0_13TensorArgTypeES9_S9_EUllE_EEvNS0_6detail10TensorInfoIT_T1_EESF_NSC_IKS6_SE_EElS8_S8_SE_T6_.num_agpr, 0
	.set _ZN2at4cuda17kernelHistogram1DIdllLi1ELi2ELin1ELNS0_23CUDAHistogramMemoryTypeE0EZNS0_21CUDA_tensor_histogramIdlLb1EEEbNS_6TensorES4_S4_lNS_14AccumulateTypeIT0_Lb1EE4typeES8_NS0_13TensorArgTypeES9_S9_EUllE_EEvNS0_6detail10TensorInfoIT_T1_EESF_NSC_IKS6_SE_EElS8_S8_SE_T6_.numbered_sgpr, 57
	.set _ZN2at4cuda17kernelHistogram1DIdllLi1ELi2ELin1ELNS0_23CUDAHistogramMemoryTypeE0EZNS0_21CUDA_tensor_histogramIdlLb1EEEbNS_6TensorES4_S4_lNS_14AccumulateTypeIT0_Lb1EE4typeES8_NS0_13TensorArgTypeES9_S9_EUllE_EEvNS0_6detail10TensorInfoIT_T1_EESF_NSC_IKS6_SE_EElS8_S8_SE_T6_.num_named_barrier, 0
	.set _ZN2at4cuda17kernelHistogram1DIdllLi1ELi2ELin1ELNS0_23CUDAHistogramMemoryTypeE0EZNS0_21CUDA_tensor_histogramIdlLb1EEEbNS_6TensorES4_S4_lNS_14AccumulateTypeIT0_Lb1EE4typeES8_NS0_13TensorArgTypeES9_S9_EUllE_EEvNS0_6detail10TensorInfoIT_T1_EESF_NSC_IKS6_SE_EElS8_S8_SE_T6_.private_seg_size, 0
	.set _ZN2at4cuda17kernelHistogram1DIdllLi1ELi2ELin1ELNS0_23CUDAHistogramMemoryTypeE0EZNS0_21CUDA_tensor_histogramIdlLb1EEEbNS_6TensorES4_S4_lNS_14AccumulateTypeIT0_Lb1EE4typeES8_NS0_13TensorArgTypeES9_S9_EUllE_EEvNS0_6detail10TensorInfoIT_T1_EESF_NSC_IKS6_SE_EElS8_S8_SE_T6_.uses_vcc, 1
	.set _ZN2at4cuda17kernelHistogram1DIdllLi1ELi2ELin1ELNS0_23CUDAHistogramMemoryTypeE0EZNS0_21CUDA_tensor_histogramIdlLb1EEEbNS_6TensorES4_S4_lNS_14AccumulateTypeIT0_Lb1EE4typeES8_NS0_13TensorArgTypeES9_S9_EUllE_EEvNS0_6detail10TensorInfoIT_T1_EESF_NSC_IKS6_SE_EElS8_S8_SE_T6_.uses_flat_scratch, 0
	.set _ZN2at4cuda17kernelHistogram1DIdllLi1ELi2ELin1ELNS0_23CUDAHistogramMemoryTypeE0EZNS0_21CUDA_tensor_histogramIdlLb1EEEbNS_6TensorES4_S4_lNS_14AccumulateTypeIT0_Lb1EE4typeES8_NS0_13TensorArgTypeES9_S9_EUllE_EEvNS0_6detail10TensorInfoIT_T1_EESF_NSC_IKS6_SE_EElS8_S8_SE_T6_.has_dyn_sized_stack, 0
	.set _ZN2at4cuda17kernelHistogram1DIdllLi1ELi2ELin1ELNS0_23CUDAHistogramMemoryTypeE0EZNS0_21CUDA_tensor_histogramIdlLb1EEEbNS_6TensorES4_S4_lNS_14AccumulateTypeIT0_Lb1EE4typeES8_NS0_13TensorArgTypeES9_S9_EUllE_EEvNS0_6detail10TensorInfoIT_T1_EESF_NSC_IKS6_SE_EElS8_S8_SE_T6_.has_recursion, 0
	.set _ZN2at4cuda17kernelHistogram1DIdllLi1ELi2ELin1ELNS0_23CUDAHistogramMemoryTypeE0EZNS0_21CUDA_tensor_histogramIdlLb1EEEbNS_6TensorES4_S4_lNS_14AccumulateTypeIT0_Lb1EE4typeES8_NS0_13TensorArgTypeES9_S9_EUllE_EEvNS0_6detail10TensorInfoIT_T1_EESF_NSC_IKS6_SE_EElS8_S8_SE_T6_.has_indirect_call, 0
	.section	.AMDGPU.csdata,"",@progbits
; Kernel info:
; codeLenInByte = 2376
; TotalNumSgprs: 59
; NumVgprs: 30
; ScratchSize: 0
; MemoryBound: 0
; FloatMode: 240
; IeeeMode: 1
; LDSByteSize: 0 bytes/workgroup (compile time only)
; SGPRBlocks: 0
; VGPRBlocks: 1
; NumSGPRsForWavesPerEU: 59
; NumVGPRsForWavesPerEU: 30
; NamedBarCnt: 0
; Occupancy: 16
; WaveLimiterHint : 1
; COMPUTE_PGM_RSRC2:SCRATCH_EN: 0
; COMPUTE_PGM_RSRC2:USER_SGPR: 2
; COMPUTE_PGM_RSRC2:TRAP_HANDLER: 0
; COMPUTE_PGM_RSRC2:TGID_X_EN: 1
; COMPUTE_PGM_RSRC2:TGID_Y_EN: 0
; COMPUTE_PGM_RSRC2:TGID_Z_EN: 0
; COMPUTE_PGM_RSRC2:TIDIG_COMP_CNT: 0
	.section	.text._ZN2at4cuda17kernelHistogram1DIdllLi1ELi2ELin1ELNS0_23CUDAHistogramMemoryTypeE1EZNS0_21CUDA_tensor_histogramIdlLb1EEEbNS_6TensorES4_S4_lNS_14AccumulateTypeIT0_Lb1EE4typeES8_NS0_13TensorArgTypeES9_S9_EUllE_EEvNS0_6detail10TensorInfoIT_T1_EESF_NSC_IKS6_SE_EElS8_S8_SE_T6_,"axG",@progbits,_ZN2at4cuda17kernelHistogram1DIdllLi1ELi2ELin1ELNS0_23CUDAHistogramMemoryTypeE1EZNS0_21CUDA_tensor_histogramIdlLb1EEEbNS_6TensorES4_S4_lNS_14AccumulateTypeIT0_Lb1EE4typeES8_NS0_13TensorArgTypeES9_S9_EUllE_EEvNS0_6detail10TensorInfoIT_T1_EESF_NSC_IKS6_SE_EElS8_S8_SE_T6_,comdat
	.protected	_ZN2at4cuda17kernelHistogram1DIdllLi1ELi2ELin1ELNS0_23CUDAHistogramMemoryTypeE1EZNS0_21CUDA_tensor_histogramIdlLb1EEEbNS_6TensorES4_S4_lNS_14AccumulateTypeIT0_Lb1EE4typeES8_NS0_13TensorArgTypeES9_S9_EUllE_EEvNS0_6detail10TensorInfoIT_T1_EESF_NSC_IKS6_SE_EElS8_S8_SE_T6_ ; -- Begin function _ZN2at4cuda17kernelHistogram1DIdllLi1ELi2ELin1ELNS0_23CUDAHistogramMemoryTypeE1EZNS0_21CUDA_tensor_histogramIdlLb1EEEbNS_6TensorES4_S4_lNS_14AccumulateTypeIT0_Lb1EE4typeES8_NS0_13TensorArgTypeES9_S9_EUllE_EEvNS0_6detail10TensorInfoIT_T1_EESF_NSC_IKS6_SE_EElS8_S8_SE_T6_
	.globl	_ZN2at4cuda17kernelHistogram1DIdllLi1ELi2ELin1ELNS0_23CUDAHistogramMemoryTypeE1EZNS0_21CUDA_tensor_histogramIdlLb1EEEbNS_6TensorES4_S4_lNS_14AccumulateTypeIT0_Lb1EE4typeES8_NS0_13TensorArgTypeES9_S9_EUllE_EEvNS0_6detail10TensorInfoIT_T1_EESF_NSC_IKS6_SE_EElS8_S8_SE_T6_
	.p2align	8
	.type	_ZN2at4cuda17kernelHistogram1DIdllLi1ELi2ELin1ELNS0_23CUDAHistogramMemoryTypeE1EZNS0_21CUDA_tensor_histogramIdlLb1EEEbNS_6TensorES4_S4_lNS_14AccumulateTypeIT0_Lb1EE4typeES8_NS0_13TensorArgTypeES9_S9_EUllE_EEvNS0_6detail10TensorInfoIT_T1_EESF_NSC_IKS6_SE_EElS8_S8_SE_T6_,@function
_ZN2at4cuda17kernelHistogram1DIdllLi1ELi2ELin1ELNS0_23CUDAHistogramMemoryTypeE1EZNS0_21CUDA_tensor_histogramIdlLb1EEEbNS_6TensorES4_S4_lNS_14AccumulateTypeIT0_Lb1EE4typeES8_NS0_13TensorArgTypeES9_S9_EUllE_EEvNS0_6detail10TensorInfoIT_T1_EESF_NSC_IKS6_SE_EElS8_S8_SE_T6_: ; @_ZN2at4cuda17kernelHistogram1DIdllLi1ELi2ELin1ELNS0_23CUDAHistogramMemoryTypeE1EZNS0_21CUDA_tensor_histogramIdlLb1EEEbNS_6TensorES4_S4_lNS_14AccumulateTypeIT0_Lb1EE4typeES8_NS0_13TensorArgTypeES9_S9_EUllE_EEvNS0_6detail10TensorInfoIT_T1_EESF_NSC_IKS6_SE_EElS8_S8_SE_T6_
; %bb.0:
	s_load_b32 s2, s[0:1], 0x6ac
	s_bfe_u32 s12, ttmp6, 0x4000c
	s_load_b256 s[4:11], s[0:1], 0x4e0
	s_add_co_i32 s12, s12, 1
	s_and_b32 s3, ttmp6, 15
	s_mul_i32 s12, ttmp9, s12
	s_getreg_b32 s13, hwreg(HW_REG_IB_STS2, 6, 4)
	s_add_co_i32 s3, s3, s12
	v_mov_b32_e32 v2, 0
	s_mov_b32 s12, exec_lo
	s_delay_alu instid0(VALU_DEP_1) | instskip(SKIP_4) | instid1(SALU_CYCLE_1)
	v_mov_b32_e32 v1, v2
	s_wait_kmcnt 0x0
	s_and_b32 s2, s2, 0xffff
	s_cmp_eq_u32 s13, 0
	s_cselect_b32 s3, ttmp9, s3
	v_mad_u32 v0, s3, s2, v0
	s_mov_b32 s3, 0
	s_delay_alu instid0(VALU_DEP_1)
	v_cmpx_gt_i64_e64 s[10:11], v[0:1]
	s_cbranch_execz .LBB45_16
; %bb.1:
	s_clause 0x1
	s_load_b64 s[12:13], s[0:1], 0x5d0
	s_load_b32 s33, s[0:1], 0x4d8
	s_add_nc_u64 s[24:25], s[0:1], 0x6a0
	s_load_b32 s26, s[24:25], 0x0
	s_clause 0x4
	s_load_b64 s[14:15], s[0:1], 0x500
	s_load_b64 s[16:17], s[0:1], 0x0
	;; [unrolled: 1-line block ×5, first 2 shown]
	s_add_nc_u64 s[30:31], s[0:1], 0x340
	s_wait_xcnt 0x0
	s_sub_nc_u64 s[24:25], s[8:9], s[6:7]
	s_mov_b32 s27, s3
	s_mov_b64 s[28:29], 0xffffffff
	s_mov_b32 s44, 0
	s_wait_kmcnt 0x0
	s_mul_i32 s26, s26, s2
	s_cmp_gt_i32 s33, 1
	s_cselect_b32 s1, -1, 0
	s_add_co_i32 s2, s33, -1
	s_add_co_i32 s33, s33, 1
	s_lshl_b64 s[34:35], s[2:3], 3
	s_delay_alu instid0(SALU_CYCLE_1)
	s_add_nc_u64 s[34:35], s[30:31], s[34:35]
	s_ashr_i32 s30, s25, 31
	s_add_nc_u64 s[34:35], s[34:35], 8
	s_branch .LBB45_4
.LBB45_2:                               ;   in Loop: Header=BB45_4 Depth=1
	s_or_b32 exec_lo, exec_lo, s0
	v_mul_u64_e32 v[4:5], s[12:13], v[0:1]
	s_delay_alu instid0(VALU_DEP_2) | instskip(NEXT) | instid1(VALU_DEP_1)
	v_dual_ashrrev_i32 v7, 31, v6 :: v_dual_mov_b32 v9, s3
	v_cmp_eq_u64_e32 vcc_lo, s[4:5], v[6:7]
	v_cndmask_b32_e64 v8, 0, 1, vcc_lo
	s_delay_alu instid0(VALU_DEP_1) | instskip(NEXT) | instid1(VALU_DEP_1)
	v_sub_nc_u64_e32 v[6:7], v[6:7], v[8:9]
	v_mul_u64_e32 v[6:7], s[18:19], v[6:7]
	v_lshl_add_u64 v[4:5], v[4:5], 3, s[14:15]
	global_load_b64 v[4:5], v[4:5], off
	v_lshl_add_u64 v[6:7], v[6:7], 3, s[16:17]
	s_wait_xcnt 0x0
	s_wait_loadcnt 0x0
	global_atomic_add_f64 v[6:7], v[4:5], off scope:SCOPE_DEV
.LBB45_3:                               ;   in Loop: Header=BB45_4 Depth=1
	s_wait_xcnt 0x0
	s_or_b32 exec_lo, exec_lo, s38
	v_add_nc_u64_e32 v[0:1], s[26:27], v[0:1]
	s_delay_alu instid0(VALU_DEP_1) | instskip(SKIP_1) | instid1(SALU_CYCLE_1)
	v_cmp_le_i64_e32 vcc_lo, s[10:11], v[0:1]
	s_or_b32 s44, vcc_lo, s44
	s_and_not1_b32 exec_lo, exec_lo, s44
	s_cbranch_execz .LBB45_16
.LBB45_4:                               ; =>This Loop Header: Depth=1
                                        ;     Child Loop BB45_5 Depth 2
	v_mov_b64_e32 v[4:5], 0
	v_mov_b64_e32 v[6:7], v[0:1]
	;; [unrolled: 1-line block ×3, first 2 shown]
	s_and_not1_b32 vcc_lo, exec_lo, s1
	s_mov_b64 s[36:37], s[34:35]
	s_mov_b32 s31, s33
	s_cbranch_vccnz .LBB45_11
.LBB45_5:                               ;   Parent Loop BB45_4 Depth=1
                                        ; =>  This Inner Loop Header: Depth=2
	s_load_b64 s[38:39], s[36:37], 0x0
                                        ; implicit-def: $vgpr8_vgpr9
	s_mov_b32 s0, exec_lo
	s_wait_kmcnt 0x0
	s_delay_alu instid0(VALU_DEP_1) | instskip(NEXT) | instid1(VALU_DEP_1)
	v_or_b32_e32 v3, s39, v7
	v_cmpx_ne_u64_e32 0, v[2:3]
	s_xor_b32 s45, exec_lo, s0
	s_cbranch_execz .LBB45_7
; %bb.6:                                ;   in Loop: Header=BB45_5 Depth=2
	s_ashr_i32 s40, s39, 31
	v_dual_mov_b32 v13, v2 :: v_dual_ashrrev_i32 v8, 31, v7
	s_mov_b32 s41, s40
	s_delay_alu instid0(SALU_CYCLE_1) | instskip(NEXT) | instid1(VALU_DEP_1)
	s_add_nc_u64 s[42:43], s[38:39], s[40:41]
	v_mov_b32_e32 v9, v8
	s_xor_b64 s[42:43], s[42:43], s[40:41]
	s_delay_alu instid0(SALU_CYCLE_1)
	s_cvt_f32_u32 s0, s42
	s_cvt_f32_u32 s2, s43
	s_sub_nc_u64 s[48:49], 0, s[42:43]
	v_add_nc_u64_e32 v[10:11], v[6:7], v[8:9]
	v_mov_b32_e32 v17, v2
	s_fmamk_f32 s0, s2, 0x4f800000, s0
	s_delay_alu instid0(SALU_CYCLE_3) | instskip(NEXT) | instid1(VALU_DEP_2)
	v_s_rcp_f32 s0, s0
	v_xor_b32_e32 v12, v10, v8
	s_delay_alu instid0(VALU_DEP_3) | instskip(SKIP_1) | instid1(TRANS32_DEP_1)
	v_dual_mov_b32 v21, v2 :: v_dual_bitop2_b32 v16, v11, v8 bitop3:0x14
	v_xor_b32_e32 v8, s40, v8
	s_mul_f32 s0, s0, 0x5f7ffffc
	s_delay_alu instid0(SALU_CYCLE_3) | instskip(NEXT) | instid1(SALU_CYCLE_3)
	s_mul_f32 s2, s0, 0x2f800000
	s_trunc_f32 s2, s2
	s_delay_alu instid0(SALU_CYCLE_3) | instskip(SKIP_1) | instid1(SALU_CYCLE_2)
	s_fmamk_f32 s0, s2, 0xcf800000, s0
	s_cvt_u32_f32 s47, s2
	s_cvt_u32_f32 s46, s0
	s_delay_alu instid0(SALU_CYCLE_3) | instskip(NEXT) | instid1(SALU_CYCLE_1)
	s_mul_u64 s[50:51], s[48:49], s[46:47]
	s_mul_hi_u32 s53, s46, s51
	s_mul_i32 s52, s46, s51
	s_mul_hi_u32 s2, s46, s50
	s_mul_i32 s41, s47, s50
	s_add_nc_u64 s[52:53], s[2:3], s[52:53]
	s_mul_hi_u32 s0, s47, s50
	s_mul_hi_u32 s54, s47, s51
	s_add_co_u32 s2, s52, s41
	s_add_co_ci_u32 s2, s53, s0
	s_mul_i32 s50, s47, s51
	s_add_co_ci_u32 s51, s54, 0
	s_delay_alu instid0(SALU_CYCLE_1) | instskip(NEXT) | instid1(SALU_CYCLE_1)
	s_add_nc_u64 s[50:51], s[2:3], s[50:51]
	s_add_co_u32 s46, s46, s50
	s_cselect_b32 s0, -1, 0
	s_delay_alu instid0(SALU_CYCLE_1) | instskip(SKIP_1) | instid1(SALU_CYCLE_1)
	s_cmp_lg_u32 s0, 0
	s_add_co_ci_u32 s47, s47, s51
	s_mul_u64 s[48:49], s[48:49], s[46:47]
	s_delay_alu instid0(SALU_CYCLE_1)
	s_mul_hi_u32 s51, s46, s49
	s_mul_i32 s50, s46, s49
	s_mul_hi_u32 s2, s46, s48
	s_mul_i32 s41, s47, s48
	s_add_nc_u64 s[50:51], s[2:3], s[50:51]
	s_mul_hi_u32 s0, s47, s48
	s_mul_hi_u32 s52, s47, s49
	s_add_co_u32 s2, s50, s41
	s_add_co_ci_u32 s2, s51, s0
	s_mul_i32 s48, s47, s49
	s_add_co_ci_u32 s49, s52, 0
	s_delay_alu instid0(SALU_CYCLE_1) | instskip(NEXT) | instid1(SALU_CYCLE_1)
	s_add_nc_u64 s[48:49], s[2:3], s[48:49]
	s_add_co_u32 s0, s46, s48
	s_cselect_b32 s2, -1, 0
	v_mul_hi_u32 v20, v12, s0
	s_cmp_lg_u32 s2, 0
	s_add_co_ci_u32 s2, s47, s49
	s_and_b64 s[46:47], s[0:1], s[28:29]
	v_mul_u64_e32 v[14:15], s[2:3], v[12:13]
	v_mul_u64_e32 v[10:11], s[46:47], v[16:17]
	v_mul_u64_e32 v[18:19], s[2:3], v[16:17]
	s_delay_alu instid0(VALU_DEP_3) | instskip(NEXT) | instid1(VALU_DEP_1)
	v_add_nc_u64_e32 v[14:15], v[20:21], v[14:15]
	v_add_co_u32 v3, vcc_lo, v14, v10
	s_delay_alu instid0(VALU_DEP_2) | instskip(NEXT) | instid1(VALU_DEP_4)
	v_add_co_ci_u32_e32 v20, vcc_lo, v15, v11, vcc_lo
	v_add_co_ci_u32_e32 v19, vcc_lo, 0, v19, vcc_lo
	s_delay_alu instid0(VALU_DEP_1) | instskip(NEXT) | instid1(VALU_DEP_1)
	v_add_nc_u64_e32 v[10:11], v[20:21], v[18:19]
	v_mul_u64_e32 v[14:15], s[42:43], v[10:11]
	s_delay_alu instid0(VALU_DEP_1) | instskip(NEXT) | instid1(VALU_DEP_2)
	v_sub_nc_u32_e32 v3, v16, v15
	v_sub_co_u32 v9, vcc_lo, v12, v14
	s_delay_alu instid0(VALU_DEP_1) | instskip(NEXT) | instid1(VALU_DEP_3)
	v_sub_co_ci_u32_e64 v16, null, v16, v15, vcc_lo
	v_subrev_co_ci_u32_e64 v3, null, s43, v3, vcc_lo
	s_delay_alu instid0(VALU_DEP_3) | instskip(SKIP_1) | instid1(VALU_DEP_3)
	v_sub_co_u32 v12, s0, v9, s42
	v_add_nc_u64_e32 v[14:15], 1, v[10:11]
	v_subrev_co_ci_u32_e64 v3, null, 0, v3, s0
	s_delay_alu instid0(VALU_DEP_3) | instskip(SKIP_1) | instid1(VALU_DEP_3)
	v_cmp_le_u32_e32 vcc_lo, s42, v12
	v_cndmask_b32_e64 v12, 0, -1, vcc_lo
	v_cmp_le_u32_e32 vcc_lo, s43, v3
	v_cndmask_b32_e64 v13, 0, -1, vcc_lo
	;; [unrolled: 2-line block ×4, first 2 shown]
	v_cmp_eq_u32_e32 vcc_lo, s43, v3
	v_cndmask_b32_e32 v3, v13, v12, vcc_lo
	v_cmp_eq_u32_e32 vcc_lo, s43, v16
	v_add_nc_u64_e32 v[12:13], 2, v[10:11]
	v_cndmask_b32_e32 v9, v17, v9, vcc_lo
	s_delay_alu instid0(VALU_DEP_4) | instskip(NEXT) | instid1(VALU_DEP_2)
	v_cmp_ne_u32_e32 vcc_lo, 0, v3
	v_cmp_ne_u32_e64 s0, 0, v9
	s_delay_alu instid0(VALU_DEP_4) | instskip(NEXT) | instid1(VALU_DEP_1)
	v_dual_cndmask_b32 v3, v15, v13, vcc_lo :: v_dual_cndmask_b32 v9, v14, v12, vcc_lo
	v_dual_cndmask_b32 v10, v10, v9, s0 :: v_dual_mov_b32 v9, v8
	s_delay_alu instid0(VALU_DEP_1) | instskip(NEXT) | instid1(VALU_DEP_1)
	v_dual_cndmask_b32 v3, v11, v3, s0 :: v_dual_bitop2_b32 v10, v10, v8 bitop3:0x14
	v_xor_b32_e32 v11, v3, v8
	s_delay_alu instid0(VALU_DEP_1)
	v_sub_nc_u64_e32 v[8:9], v[10:11], v[8:9]
.LBB45_7:                               ;   in Loop: Header=BB45_5 Depth=2
	s_and_not1_saveexec_b32 s0, s45
	s_cbranch_execz .LBB45_9
; %bb.8:                                ;   in Loop: Header=BB45_5 Depth=2
	v_cvt_f32_u32_e32 v3, s38
	s_sub_co_i32 s2, 0, s38
	s_delay_alu instid0(VALU_DEP_1) | instskip(SKIP_1) | instid1(TRANS32_DEP_1)
	v_rcp_iflag_f32_e32 v3, v3
	v_nop
	v_mul_f32_e32 v3, 0x4f7ffffe, v3
	s_delay_alu instid0(VALU_DEP_1) | instskip(NEXT) | instid1(VALU_DEP_1)
	v_cvt_u32_f32_e32 v3, v3
	v_mul_lo_u32 v8, s2, v3
	s_delay_alu instid0(VALU_DEP_1) | instskip(NEXT) | instid1(VALU_DEP_1)
	v_mul_hi_u32 v8, v3, v8
	v_add_nc_u32_e32 v3, v3, v8
	s_delay_alu instid0(VALU_DEP_1) | instskip(NEXT) | instid1(VALU_DEP_1)
	v_mul_hi_u32 v3, v6, v3
	v_mul_lo_u32 v8, v3, s38
	s_delay_alu instid0(VALU_DEP_1) | instskip(NEXT) | instid1(VALU_DEP_1)
	v_dual_add_nc_u32 v9, 1, v3 :: v_dual_sub_nc_u32 v8, v6, v8
	v_subrev_nc_u32_e32 v10, s38, v8
	v_cmp_le_u32_e32 vcc_lo, s38, v8
	s_delay_alu instid0(VALU_DEP_2) | instskip(NEXT) | instid1(VALU_DEP_1)
	v_dual_cndmask_b32 v8, v8, v10 :: v_dual_cndmask_b32 v3, v3, v9
	v_cmp_le_u32_e32 vcc_lo, s38, v8
	s_delay_alu instid0(VALU_DEP_2) | instskip(NEXT) | instid1(VALU_DEP_1)
	v_add_nc_u32_e32 v9, 1, v3
	v_dual_cndmask_b32 v8, v3, v9 :: v_dual_mov_b32 v9, v2
.LBB45_9:                               ;   in Loop: Header=BB45_5 Depth=2
	s_or_b32 exec_lo, exec_lo, s0
	s_delay_alu instid0(VALU_DEP_1)
	v_mul_u64_e32 v[10:11], s[38:39], v[8:9]
	s_load_b64 s[38:39], s[36:37], 0xc8
	s_add_co_i32 s31, s31, -1
	s_wait_xcnt 0x0
	s_add_nc_u64 s[36:37], s[36:37], -8
	s_cmp_gt_u32 s31, 2
	s_delay_alu instid0(VALU_DEP_1) | instskip(SKIP_1) | instid1(VALU_DEP_1)
	v_sub_nc_u64_e32 v[6:7], v[6:7], v[10:11]
	s_wait_kmcnt 0x0
	v_mad_nc_u64_u32 v[4:5], s38, v6, v[4:5]
	s_delay_alu instid0(VALU_DEP_1) | instskip(NEXT) | instid1(VALU_DEP_1)
	v_mad_u32 v3, s39, v6, v5
	v_mad_u32 v5, s38, v7, v3
	s_cbranch_scc0 .LBB45_11
; %bb.10:                               ;   in Loop: Header=BB45_5 Depth=2
	v_mov_b64_e32 v[6:7], v[8:9]
	s_branch .LBB45_5
.LBB45_11:                              ;   in Loop: Header=BB45_4 Depth=1
	s_delay_alu instid0(VALU_DEP_1) | instskip(NEXT) | instid1(VALU_DEP_1)
	v_mul_u64_e32 v[6:7], s[20:21], v[8:9]
	v_lshl_add_u64 v[6:7], v[6:7], 3, s[22:23]
	s_delay_alu instid0(VALU_DEP_1)
	v_lshl_add_u64 v[4:5], v[4:5], 3, v[6:7]
	global_load_b64 v[4:5], v[4:5], off
	s_wait_loadcnt 0x0
	v_cmp_le_i64_e32 vcc_lo, s[6:7], v[4:5]
	v_cmp_ge_i64_e64 s0, s[8:9], v[4:5]
	s_and_b32 s0, vcc_lo, s0
	s_wait_xcnt 0x0
	s_and_saveexec_b32 s38, s0
	s_cbranch_execz .LBB45_3
; %bb.12:                               ;   in Loop: Header=BB45_4 Depth=1
	v_sub_nc_u64_e64 v[4:5], v[4:5], s[6:7]
                                        ; implicit-def: $vgpr6_vgpr7
	s_mov_b32 s0, exec_lo
	s_delay_alu instid0(VALU_DEP_1) | instskip(NEXT) | instid1(VALU_DEP_1)
	v_mul_u64_e32 v[4:5], s[4:5], v[4:5]
	v_or_b32_e32 v3, s25, v5
	s_delay_alu instid0(VALU_DEP_1)
	v_cmpx_ne_u64_e32 0, v[2:3]
	s_xor_b32 s39, exec_lo, s0
	s_cbranch_execz .LBB45_14
; %bb.13:                               ;   in Loop: Header=BB45_4 Depth=1
	s_mov_b32 s31, s30
	v_dual_mov_b32 v9, v2 :: v_dual_ashrrev_i32 v6, 31, v5
	s_add_nc_u64 s[36:37], s[24:25], s[30:31]
	s_delay_alu instid0(SALU_CYCLE_1) | instskip(NEXT) | instid1(VALU_DEP_1)
	s_xor_b64 s[36:37], s[36:37], s[30:31]
	v_mov_b32_e32 v7, v6
	s_cvt_f32_u32 s0, s36
	s_cvt_f32_u32 s2, s37
	s_sub_nc_u64 s[42:43], 0, s[36:37]
	s_delay_alu instid0(VALU_DEP_1) | instskip(NEXT) | instid1(SALU_CYCLE_1)
	v_add_nc_u64_e32 v[4:5], v[4:5], v[6:7]
	s_fmamk_f32 s0, s2, 0x4f800000, s0
	v_mov_b32_e32 v13, v2
	s_delay_alu instid0(SALU_CYCLE_2) | instskip(NEXT) | instid1(VALU_DEP_2)
	v_s_rcp_f32 s0, s0
	v_xor_b32_e32 v8, v4, v6
	s_delay_alu instid0(VALU_DEP_3) | instskip(NEXT) | instid1(TRANS32_DEP_1)
	v_dual_mov_b32 v17, v2 :: v_dual_bitop2_b32 v12, v5, v6 bitop3:0x14
	s_mul_f32 s0, s0, 0x5f7ffffc
	s_delay_alu instid0(SALU_CYCLE_3) | instskip(NEXT) | instid1(SALU_CYCLE_3)
	s_mul_f32 s2, s0, 0x2f800000
	s_trunc_f32 s2, s2
	s_delay_alu instid0(SALU_CYCLE_3) | instskip(SKIP_1) | instid1(SALU_CYCLE_2)
	s_fmamk_f32 s0, s2, 0xcf800000, s0
	s_cvt_u32_f32 s41, s2
	s_cvt_u32_f32 s40, s0
	s_delay_alu instid0(SALU_CYCLE_3) | instskip(NEXT) | instid1(SALU_CYCLE_1)
	s_mul_u64 s[46:47], s[42:43], s[40:41]
	s_mul_hi_u32 s49, s40, s47
	s_mul_i32 s48, s40, s47
	s_mul_hi_u32 s2, s40, s46
	s_mul_i32 s31, s41, s46
	s_add_nc_u64 s[48:49], s[2:3], s[48:49]
	s_mul_hi_u32 s0, s41, s46
	s_mul_hi_u32 s45, s41, s47
	s_add_co_u32 s2, s48, s31
	s_add_co_ci_u32 s2, s49, s0
	s_mul_i32 s46, s41, s47
	s_add_co_ci_u32 s47, s45, 0
	s_delay_alu instid0(SALU_CYCLE_1) | instskip(NEXT) | instid1(SALU_CYCLE_1)
	s_add_nc_u64 s[46:47], s[2:3], s[46:47]
	s_add_co_u32 s40, s40, s46
	s_cselect_b32 s0, -1, 0
	s_delay_alu instid0(SALU_CYCLE_1) | instskip(SKIP_1) | instid1(SALU_CYCLE_1)
	s_cmp_lg_u32 s0, 0
	s_add_co_ci_u32 s41, s41, s47
	s_mul_u64 s[42:43], s[42:43], s[40:41]
	s_delay_alu instid0(SALU_CYCLE_1)
	s_mul_hi_u32 s47, s40, s43
	s_mul_i32 s46, s40, s43
	s_mul_hi_u32 s2, s40, s42
	s_mul_i32 s31, s41, s42
	s_add_nc_u64 s[46:47], s[2:3], s[46:47]
	s_mul_hi_u32 s0, s41, s42
	s_mul_hi_u32 s45, s41, s43
	s_add_co_u32 s2, s46, s31
	s_add_co_ci_u32 s2, s47, s0
	s_mul_i32 s42, s41, s43
	s_add_co_ci_u32 s43, s45, 0
	s_delay_alu instid0(SALU_CYCLE_1) | instskip(NEXT) | instid1(SALU_CYCLE_1)
	s_add_nc_u64 s[42:43], s[2:3], s[42:43]
	s_add_co_u32 s0, s40, s42
	s_cselect_b32 s2, -1, 0
	v_mul_hi_u32 v16, v8, s0
	s_cmp_lg_u32 s2, 0
	s_add_co_ci_u32 s2, s41, s43
	s_and_b64 s[40:41], s[0:1], s[28:29]
	v_mul_u64_e32 v[10:11], s[2:3], v[8:9]
	v_mul_u64_e32 v[4:5], s[40:41], v[12:13]
	;; [unrolled: 1-line block ×3, first 2 shown]
	s_delay_alu instid0(VALU_DEP_3) | instskip(NEXT) | instid1(VALU_DEP_1)
	v_add_nc_u64_e32 v[10:11], v[16:17], v[10:11]
	v_add_co_u32 v3, vcc_lo, v10, v4
	s_delay_alu instid0(VALU_DEP_2) | instskip(NEXT) | instid1(VALU_DEP_4)
	v_add_co_ci_u32_e32 v16, vcc_lo, v11, v5, vcc_lo
	v_add_co_ci_u32_e32 v15, vcc_lo, 0, v15, vcc_lo
	s_delay_alu instid0(VALU_DEP_1) | instskip(NEXT) | instid1(VALU_DEP_1)
	v_add_nc_u64_e32 v[4:5], v[16:17], v[14:15]
	v_mul_u64_e32 v[10:11], s[36:37], v[4:5]
	s_delay_alu instid0(VALU_DEP_1) | instskip(NEXT) | instid1(VALU_DEP_2)
	v_sub_nc_u32_e32 v3, v12, v11
	v_sub_co_u32 v7, vcc_lo, v8, v10
	s_delay_alu instid0(VALU_DEP_1) | instskip(NEXT) | instid1(VALU_DEP_3)
	v_sub_co_ci_u32_e64 v12, null, v12, v11, vcc_lo
	v_subrev_co_ci_u32_e64 v3, null, s37, v3, vcc_lo
	s_delay_alu instid0(VALU_DEP_3) | instskip(SKIP_1) | instid1(VALU_DEP_3)
	v_sub_co_u32 v8, s0, v7, s36
	v_add_nc_u64_e32 v[10:11], 1, v[4:5]
	v_subrev_co_ci_u32_e64 v3, null, 0, v3, s0
	s_delay_alu instid0(VALU_DEP_3) | instskip(SKIP_1) | instid1(VALU_DEP_3)
	v_cmp_le_u32_e32 vcc_lo, s36, v8
	v_cndmask_b32_e64 v8, 0, -1, vcc_lo
	v_cmp_le_u32_e32 vcc_lo, s37, v3
	v_cndmask_b32_e64 v9, 0, -1, vcc_lo
	;; [unrolled: 2-line block ×4, first 2 shown]
	v_cmp_eq_u32_e32 vcc_lo, s37, v3
	v_cndmask_b32_e32 v3, v9, v8, vcc_lo
	v_cmp_eq_u32_e32 vcc_lo, s37, v12
	v_add_nc_u64_e32 v[8:9], 2, v[4:5]
	v_cndmask_b32_e32 v7, v13, v7, vcc_lo
	s_delay_alu instid0(VALU_DEP_4) | instskip(NEXT) | instid1(VALU_DEP_3)
	v_cmp_ne_u32_e32 vcc_lo, 0, v3
	v_cndmask_b32_e32 v3, v11, v9, vcc_lo
	s_delay_alu instid0(VALU_DEP_3) | instskip(SKIP_1) | instid1(VALU_DEP_2)
	v_cmp_ne_u32_e64 s0, 0, v7
	v_dual_cndmask_b32 v7, v10, v8, vcc_lo :: v_dual_bitop2_b32 v6, s30, v6 bitop3:0x14
	v_cndmask_b32_e64 v3, v5, v3, s0
	s_delay_alu instid0(VALU_DEP_2) | instskip(NEXT) | instid1(VALU_DEP_2)
	v_dual_cndmask_b32 v4, v4, v7, s0 :: v_dual_mov_b32 v7, v6
	v_xor_b32_e32 v5, v3, v6
	s_delay_alu instid0(VALU_DEP_2) | instskip(NEXT) | instid1(VALU_DEP_1)
	v_xor_b32_e32 v4, v4, v6
	v_sub_nc_u64_e32 v[6:7], v[4:5], v[6:7]
                                        ; implicit-def: $vgpr4_vgpr5
.LBB45_14:                              ;   in Loop: Header=BB45_4 Depth=1
	s_and_not1_saveexec_b32 s0, s39
	s_cbranch_execz .LBB45_2
; %bb.15:                               ;   in Loop: Header=BB45_4 Depth=1
	v_cvt_f32_u32_e32 v3, s24
	s_sub_co_i32 s2, 0, s24
	s_delay_alu instid0(VALU_DEP_1) | instskip(SKIP_1) | instid1(TRANS32_DEP_1)
	v_rcp_iflag_f32_e32 v3, v3
	v_nop
	v_mul_f32_e32 v3, 0x4f7ffffe, v3
	s_delay_alu instid0(VALU_DEP_1) | instskip(NEXT) | instid1(VALU_DEP_1)
	v_cvt_u32_f32_e32 v3, v3
	v_mul_lo_u32 v5, s2, v3
	s_delay_alu instid0(VALU_DEP_1) | instskip(NEXT) | instid1(VALU_DEP_1)
	v_mul_hi_u32 v5, v3, v5
	v_add_nc_u32_e32 v3, v3, v5
	s_delay_alu instid0(VALU_DEP_1) | instskip(NEXT) | instid1(VALU_DEP_1)
	v_mul_hi_u32 v3, v4, v3
	v_mul_lo_u32 v5, v3, s24
	s_delay_alu instid0(VALU_DEP_1) | instskip(NEXT) | instid1(VALU_DEP_1)
	v_dual_sub_nc_u32 v4, v4, v5 :: v_dual_add_nc_u32 v5, 1, v3
	v_subrev_nc_u32_e32 v6, s24, v4
	v_cmp_le_u32_e32 vcc_lo, s24, v4
	s_delay_alu instid0(VALU_DEP_2) | instskip(NEXT) | instid1(VALU_DEP_1)
	v_dual_cndmask_b32 v4, v4, v6 :: v_dual_cndmask_b32 v3, v3, v5
	v_cmp_le_u32_e32 vcc_lo, s24, v4
	s_delay_alu instid0(VALU_DEP_2) | instskip(NEXT) | instid1(VALU_DEP_1)
	v_add_nc_u32_e32 v5, 1, v3
	v_cndmask_b32_e32 v6, v3, v5, vcc_lo
	s_branch .LBB45_2
.LBB45_16:
	s_endpgm
	.section	.rodata,"a",@progbits
	.p2align	6, 0x0
	.amdhsa_kernel _ZN2at4cuda17kernelHistogram1DIdllLi1ELi2ELin1ELNS0_23CUDAHistogramMemoryTypeE1EZNS0_21CUDA_tensor_histogramIdlLb1EEEbNS_6TensorES4_S4_lNS_14AccumulateTypeIT0_Lb1EE4typeES8_NS0_13TensorArgTypeES9_S9_EUllE_EEvNS0_6detail10TensorInfoIT_T1_EESF_NSC_IKS6_SE_EElS8_S8_SE_T6_
		.amdhsa_group_segment_fixed_size 0
		.amdhsa_private_segment_fixed_size 0
		.amdhsa_kernarg_size 1952
		.amdhsa_user_sgpr_count 2
		.amdhsa_user_sgpr_dispatch_ptr 0
		.amdhsa_user_sgpr_queue_ptr 0
		.amdhsa_user_sgpr_kernarg_segment_ptr 1
		.amdhsa_user_sgpr_dispatch_id 0
		.amdhsa_user_sgpr_kernarg_preload_length 0
		.amdhsa_user_sgpr_kernarg_preload_offset 0
		.amdhsa_user_sgpr_private_segment_size 0
		.amdhsa_wavefront_size32 1
		.amdhsa_uses_dynamic_stack 0
		.amdhsa_enable_private_segment 0
		.amdhsa_system_sgpr_workgroup_id_x 1
		.amdhsa_system_sgpr_workgroup_id_y 0
		.amdhsa_system_sgpr_workgroup_id_z 0
		.amdhsa_system_sgpr_workgroup_info 0
		.amdhsa_system_vgpr_workitem_id 0
		.amdhsa_next_free_vgpr 22
		.amdhsa_next_free_sgpr 55
		.amdhsa_named_barrier_count 0
		.amdhsa_reserve_vcc 1
		.amdhsa_float_round_mode_32 0
		.amdhsa_float_round_mode_16_64 0
		.amdhsa_float_denorm_mode_32 3
		.amdhsa_float_denorm_mode_16_64 3
		.amdhsa_fp16_overflow 0
		.amdhsa_memory_ordered 1
		.amdhsa_forward_progress 1
		.amdhsa_inst_pref_size 17
		.amdhsa_round_robin_scheduling 0
		.amdhsa_exception_fp_ieee_invalid_op 0
		.amdhsa_exception_fp_denorm_src 0
		.amdhsa_exception_fp_ieee_div_zero 0
		.amdhsa_exception_fp_ieee_overflow 0
		.amdhsa_exception_fp_ieee_underflow 0
		.amdhsa_exception_fp_ieee_inexact 0
		.amdhsa_exception_int_div_zero 0
	.end_amdhsa_kernel
	.section	.text._ZN2at4cuda17kernelHistogram1DIdllLi1ELi2ELin1ELNS0_23CUDAHistogramMemoryTypeE1EZNS0_21CUDA_tensor_histogramIdlLb1EEEbNS_6TensorES4_S4_lNS_14AccumulateTypeIT0_Lb1EE4typeES8_NS0_13TensorArgTypeES9_S9_EUllE_EEvNS0_6detail10TensorInfoIT_T1_EESF_NSC_IKS6_SE_EElS8_S8_SE_T6_,"axG",@progbits,_ZN2at4cuda17kernelHistogram1DIdllLi1ELi2ELin1ELNS0_23CUDAHistogramMemoryTypeE1EZNS0_21CUDA_tensor_histogramIdlLb1EEEbNS_6TensorES4_S4_lNS_14AccumulateTypeIT0_Lb1EE4typeES8_NS0_13TensorArgTypeES9_S9_EUllE_EEvNS0_6detail10TensorInfoIT_T1_EESF_NSC_IKS6_SE_EElS8_S8_SE_T6_,comdat
.Lfunc_end45:
	.size	_ZN2at4cuda17kernelHistogram1DIdllLi1ELi2ELin1ELNS0_23CUDAHistogramMemoryTypeE1EZNS0_21CUDA_tensor_histogramIdlLb1EEEbNS_6TensorES4_S4_lNS_14AccumulateTypeIT0_Lb1EE4typeES8_NS0_13TensorArgTypeES9_S9_EUllE_EEvNS0_6detail10TensorInfoIT_T1_EESF_NSC_IKS6_SE_EElS8_S8_SE_T6_, .Lfunc_end45-_ZN2at4cuda17kernelHistogram1DIdllLi1ELi2ELin1ELNS0_23CUDAHistogramMemoryTypeE1EZNS0_21CUDA_tensor_histogramIdlLb1EEEbNS_6TensorES4_S4_lNS_14AccumulateTypeIT0_Lb1EE4typeES8_NS0_13TensorArgTypeES9_S9_EUllE_EEvNS0_6detail10TensorInfoIT_T1_EESF_NSC_IKS6_SE_EElS8_S8_SE_T6_
                                        ; -- End function
	.set _ZN2at4cuda17kernelHistogram1DIdllLi1ELi2ELin1ELNS0_23CUDAHistogramMemoryTypeE1EZNS0_21CUDA_tensor_histogramIdlLb1EEEbNS_6TensorES4_S4_lNS_14AccumulateTypeIT0_Lb1EE4typeES8_NS0_13TensorArgTypeES9_S9_EUllE_EEvNS0_6detail10TensorInfoIT_T1_EESF_NSC_IKS6_SE_EElS8_S8_SE_T6_.num_vgpr, 22
	.set _ZN2at4cuda17kernelHistogram1DIdllLi1ELi2ELin1ELNS0_23CUDAHistogramMemoryTypeE1EZNS0_21CUDA_tensor_histogramIdlLb1EEEbNS_6TensorES4_S4_lNS_14AccumulateTypeIT0_Lb1EE4typeES8_NS0_13TensorArgTypeES9_S9_EUllE_EEvNS0_6detail10TensorInfoIT_T1_EESF_NSC_IKS6_SE_EElS8_S8_SE_T6_.num_agpr, 0
	.set _ZN2at4cuda17kernelHistogram1DIdllLi1ELi2ELin1ELNS0_23CUDAHistogramMemoryTypeE1EZNS0_21CUDA_tensor_histogramIdlLb1EEEbNS_6TensorES4_S4_lNS_14AccumulateTypeIT0_Lb1EE4typeES8_NS0_13TensorArgTypeES9_S9_EUllE_EEvNS0_6detail10TensorInfoIT_T1_EESF_NSC_IKS6_SE_EElS8_S8_SE_T6_.numbered_sgpr, 55
	.set _ZN2at4cuda17kernelHistogram1DIdllLi1ELi2ELin1ELNS0_23CUDAHistogramMemoryTypeE1EZNS0_21CUDA_tensor_histogramIdlLb1EEEbNS_6TensorES4_S4_lNS_14AccumulateTypeIT0_Lb1EE4typeES8_NS0_13TensorArgTypeES9_S9_EUllE_EEvNS0_6detail10TensorInfoIT_T1_EESF_NSC_IKS6_SE_EElS8_S8_SE_T6_.num_named_barrier, 0
	.set _ZN2at4cuda17kernelHistogram1DIdllLi1ELi2ELin1ELNS0_23CUDAHistogramMemoryTypeE1EZNS0_21CUDA_tensor_histogramIdlLb1EEEbNS_6TensorES4_S4_lNS_14AccumulateTypeIT0_Lb1EE4typeES8_NS0_13TensorArgTypeES9_S9_EUllE_EEvNS0_6detail10TensorInfoIT_T1_EESF_NSC_IKS6_SE_EElS8_S8_SE_T6_.private_seg_size, 0
	.set _ZN2at4cuda17kernelHistogram1DIdllLi1ELi2ELin1ELNS0_23CUDAHistogramMemoryTypeE1EZNS0_21CUDA_tensor_histogramIdlLb1EEEbNS_6TensorES4_S4_lNS_14AccumulateTypeIT0_Lb1EE4typeES8_NS0_13TensorArgTypeES9_S9_EUllE_EEvNS0_6detail10TensorInfoIT_T1_EESF_NSC_IKS6_SE_EElS8_S8_SE_T6_.uses_vcc, 1
	.set _ZN2at4cuda17kernelHistogram1DIdllLi1ELi2ELin1ELNS0_23CUDAHistogramMemoryTypeE1EZNS0_21CUDA_tensor_histogramIdlLb1EEEbNS_6TensorES4_S4_lNS_14AccumulateTypeIT0_Lb1EE4typeES8_NS0_13TensorArgTypeES9_S9_EUllE_EEvNS0_6detail10TensorInfoIT_T1_EESF_NSC_IKS6_SE_EElS8_S8_SE_T6_.uses_flat_scratch, 0
	.set _ZN2at4cuda17kernelHistogram1DIdllLi1ELi2ELin1ELNS0_23CUDAHistogramMemoryTypeE1EZNS0_21CUDA_tensor_histogramIdlLb1EEEbNS_6TensorES4_S4_lNS_14AccumulateTypeIT0_Lb1EE4typeES8_NS0_13TensorArgTypeES9_S9_EUllE_EEvNS0_6detail10TensorInfoIT_T1_EESF_NSC_IKS6_SE_EElS8_S8_SE_T6_.has_dyn_sized_stack, 0
	.set _ZN2at4cuda17kernelHistogram1DIdllLi1ELi2ELin1ELNS0_23CUDAHistogramMemoryTypeE1EZNS0_21CUDA_tensor_histogramIdlLb1EEEbNS_6TensorES4_S4_lNS_14AccumulateTypeIT0_Lb1EE4typeES8_NS0_13TensorArgTypeES9_S9_EUllE_EEvNS0_6detail10TensorInfoIT_T1_EESF_NSC_IKS6_SE_EElS8_S8_SE_T6_.has_recursion, 0
	.set _ZN2at4cuda17kernelHistogram1DIdllLi1ELi2ELin1ELNS0_23CUDAHistogramMemoryTypeE1EZNS0_21CUDA_tensor_histogramIdlLb1EEEbNS_6TensorES4_S4_lNS_14AccumulateTypeIT0_Lb1EE4typeES8_NS0_13TensorArgTypeES9_S9_EUllE_EEvNS0_6detail10TensorInfoIT_T1_EESF_NSC_IKS6_SE_EElS8_S8_SE_T6_.has_indirect_call, 0
	.section	.AMDGPU.csdata,"",@progbits
; Kernel info:
; codeLenInByte = 2084
; TotalNumSgprs: 57
; NumVgprs: 22
; ScratchSize: 0
; MemoryBound: 0
; FloatMode: 240
; IeeeMode: 1
; LDSByteSize: 0 bytes/workgroup (compile time only)
; SGPRBlocks: 0
; VGPRBlocks: 1
; NumSGPRsForWavesPerEU: 57
; NumVGPRsForWavesPerEU: 22
; NamedBarCnt: 0
; Occupancy: 16
; WaveLimiterHint : 1
; COMPUTE_PGM_RSRC2:SCRATCH_EN: 0
; COMPUTE_PGM_RSRC2:USER_SGPR: 2
; COMPUTE_PGM_RSRC2:TRAP_HANDLER: 0
; COMPUTE_PGM_RSRC2:TGID_X_EN: 1
; COMPUTE_PGM_RSRC2:TGID_Y_EN: 0
; COMPUTE_PGM_RSRC2:TGID_Z_EN: 0
; COMPUTE_PGM_RSRC2:TIDIG_COMP_CNT: 0
	.section	.text._ZN2at4cuda17kernelHistogram1DIdllLi1ELi2ELin1ELNS0_23CUDAHistogramMemoryTypeE0EZNS0_21CUDA_tensor_histogramIdlLb1EEEbNS_6TensorES4_S4_lNS_14AccumulateTypeIT0_Lb1EE4typeES8_NS0_13TensorArgTypeES9_S9_EUllE0_EEvNS0_6detail10TensorInfoIT_T1_EESF_NSC_IKS6_SE_EElS8_S8_SE_T6_,"axG",@progbits,_ZN2at4cuda17kernelHistogram1DIdllLi1ELi2ELin1ELNS0_23CUDAHistogramMemoryTypeE0EZNS0_21CUDA_tensor_histogramIdlLb1EEEbNS_6TensorES4_S4_lNS_14AccumulateTypeIT0_Lb1EE4typeES8_NS0_13TensorArgTypeES9_S9_EUllE0_EEvNS0_6detail10TensorInfoIT_T1_EESF_NSC_IKS6_SE_EElS8_S8_SE_T6_,comdat
	.protected	_ZN2at4cuda17kernelHistogram1DIdllLi1ELi2ELin1ELNS0_23CUDAHistogramMemoryTypeE0EZNS0_21CUDA_tensor_histogramIdlLb1EEEbNS_6TensorES4_S4_lNS_14AccumulateTypeIT0_Lb1EE4typeES8_NS0_13TensorArgTypeES9_S9_EUllE0_EEvNS0_6detail10TensorInfoIT_T1_EESF_NSC_IKS6_SE_EElS8_S8_SE_T6_ ; -- Begin function _ZN2at4cuda17kernelHistogram1DIdllLi1ELi2ELin1ELNS0_23CUDAHistogramMemoryTypeE0EZNS0_21CUDA_tensor_histogramIdlLb1EEEbNS_6TensorES4_S4_lNS_14AccumulateTypeIT0_Lb1EE4typeES8_NS0_13TensorArgTypeES9_S9_EUllE0_EEvNS0_6detail10TensorInfoIT_T1_EESF_NSC_IKS6_SE_EElS8_S8_SE_T6_
	.globl	_ZN2at4cuda17kernelHistogram1DIdllLi1ELi2ELin1ELNS0_23CUDAHistogramMemoryTypeE0EZNS0_21CUDA_tensor_histogramIdlLb1EEEbNS_6TensorES4_S4_lNS_14AccumulateTypeIT0_Lb1EE4typeES8_NS0_13TensorArgTypeES9_S9_EUllE0_EEvNS0_6detail10TensorInfoIT_T1_EESF_NSC_IKS6_SE_EElS8_S8_SE_T6_
	.p2align	8
	.type	_ZN2at4cuda17kernelHistogram1DIdllLi1ELi2ELin1ELNS0_23CUDAHistogramMemoryTypeE0EZNS0_21CUDA_tensor_histogramIdlLb1EEEbNS_6TensorES4_S4_lNS_14AccumulateTypeIT0_Lb1EE4typeES8_NS0_13TensorArgTypeES9_S9_EUllE0_EEvNS0_6detail10TensorInfoIT_T1_EESF_NSC_IKS6_SE_EElS8_S8_SE_T6_,@function
_ZN2at4cuda17kernelHistogram1DIdllLi1ELi2ELin1ELNS0_23CUDAHistogramMemoryTypeE0EZNS0_21CUDA_tensor_histogramIdlLb1EEEbNS_6TensorES4_S4_lNS_14AccumulateTypeIT0_Lb1EE4typeES8_NS0_13TensorArgTypeES9_S9_EUllE0_EEvNS0_6detail10TensorInfoIT_T1_EESF_NSC_IKS6_SE_EElS8_S8_SE_T6_: ; @_ZN2at4cuda17kernelHistogram1DIdllLi1ELi2ELin1ELNS0_23CUDAHistogramMemoryTypeE0EZNS0_21CUDA_tensor_histogramIdlLb1EEEbNS_6TensorES4_S4_lNS_14AccumulateTypeIT0_Lb1EE4typeES8_NS0_13TensorArgTypeES9_S9_EUllE0_EEvNS0_6detail10TensorInfoIT_T1_EESF_NSC_IKS6_SE_EElS8_S8_SE_T6_
; %bb.0:
	s_load_b128 s[12:15], s[0:1], 0x0
	v_mov_b32_e32 v1, 0
	s_add_nc_u64 s[24:25], s[0:1], 0x508
	s_mov_b32 s3, exec_lo
                                        ; implicit-def: $sgpr4
                                        ; implicit-def: $sgpr5
	s_wait_kmcnt 0x0
	s_delay_alu instid0(VALU_DEP_1)
	v_cmp_gt_i64_e64 s2, s[14:15], v[0:1]
	v_cmpx_le_i64_e64 s[14:15], v[0:1]
	s_xor_b32 s3, exec_lo, s3
	s_cbranch_execz .LBB46_2
; %bb.1:
	s_load_b32 s4, s[24:25], 0xc
	s_wait_kmcnt 0x0
	s_and_b32 s5, s4, 0xffff
.LBB46_2:
	s_or_saveexec_b32 s3, s3
	v_dual_mov_b32 v18, s4 :: v_dual_mov_b32 v17, s5
	v_lshl_add_u32 v16, v0, 3, 0
	s_xor_b32 exec_lo, exec_lo, s3
	s_cbranch_execz .LBB46_6
; %bb.3:
	s_load_b32 s6, s[24:25], 0xc
	v_mov_b64_e32 v[2:3], 0
	v_mov_b64_e32 v[4:5], v[0:1]
	v_lshl_add_u32 v6, v0, 3, 0
	s_mov_b32 s5, 0
	s_delay_alu instid0(SALU_CYCLE_1) | instskip(SKIP_2) | instid1(SALU_CYCLE_1)
	s_mov_b32 s7, s5
	s_wait_kmcnt 0x0
	s_and_b32 s4, s6, 0xffff
	s_lshl_b32 s8, s4, 3
.LBB46_4:                               ; =>This Inner Loop Header: Depth=1
	v_add_nc_u64_e32 v[4:5], s[4:5], v[4:5]
	ds_store_b64 v6, v[2:3]
	v_add_nc_u32_e32 v6, s8, v6
	v_cmp_le_i64_e32 vcc_lo, s[14:15], v[4:5]
	s_or_b32 s7, vcc_lo, s7
	s_delay_alu instid0(SALU_CYCLE_1)
	s_and_not1_b32 exec_lo, exec_lo, s7
	s_cbranch_execnz .LBB46_4
; %bb.5:
	s_or_b32 exec_lo, exec_lo, s7
	v_dual_mov_b32 v18, s6 :: v_dual_mov_b32 v17, s4
.LBB46_6:
	s_or_b32 exec_lo, exec_lo, s3
	s_bfe_u32 s3, ttmp6, 0x4000c
	s_clause 0x1
	s_load_b64 s[16:17], s[0:1], 0xd0
	s_load_b256 s[4:11], s[0:1], 0x4e0
	s_add_co_i32 s3, s3, 1
	s_and_b32 s18, ttmp6, 15
	s_mul_i32 s3, ttmp9, s3
	s_getreg_b32 s19, hwreg(HW_REG_IB_STS2, 6, 4)
	s_add_co_i32 s18, s18, s3
	s_cmp_eq_u32 s19, 0
	v_mov_b32_e32 v4, 0
	s_cselect_b32 s3, ttmp9, s18
	s_mov_b32 s19, 0
	v_mad_u32 v2, s3, v17, v0
	s_mov_b32 s3, exec_lo
	v_mov_b32_e32 v3, v4
	s_wait_dscnt 0x0
	s_barrier_signal -1
	s_barrier_wait -1
	s_wait_kmcnt 0x0
	s_delay_alu instid0(VALU_DEP_2)
	v_cmpx_gt_i64_e64 s[10:11], v[2:3]
	s_cbranch_execz .LBB46_22
; %bb.7:
	s_load_b32 s33, s[0:1], 0x4d8
	s_load_b32 s18, s[24:25], 0x0
	s_clause 0x1
	s_load_b64 s[20:21], s[0:1], 0x410
	s_load_b64 s[22:23], s[0:1], 0x340
	s_add_nc_u64 s[28:29], s[0:1], 0x340
	v_mov_b64_e32 v[8:9], 1.0
	v_mov_b32_e32 v7, v4
	s_wait_xcnt 0x0
	s_sub_nc_u64 s[24:25], s[8:9], s[6:7]
	s_mov_b64 s[26:27], 0xffffffff
	s_mov_b32 s42, 0
	s_wait_kmcnt 0x0
	s_cmp_gt_i32 s33, 1
	v_mul_lo_u32 v6, s18, v17
	s_cselect_b32 s1, -1, 0
	s_add_co_i32 s18, s33, -1
	s_add_co_i32 s33, s33, 1
	s_lshl_b64 s[30:31], s[18:19], 3
	s_delay_alu instid0(SALU_CYCLE_1)
	s_add_nc_u64 s[28:29], s[28:29], s[30:31]
	s_ashr_i32 s30, s25, 31
	s_add_nc_u64 s[28:29], s[28:29], 8
	s_branch .LBB46_10
.LBB46_8:                               ;   in Loop: Header=BB46_10 Depth=1
	s_or_b32 exec_lo, exec_lo, s0
	s_delay_alu instid0(VALU_DEP_1) | instskip(NEXT) | instid1(VALU_DEP_1)
	v_ashrrev_i32_e32 v13, 31, v12
	v_cmp_eq_u64_e32 vcc_lo, s[4:5], v[12:13]
	v_subrev_co_ci_u32_e64 v5, null, 0, v12, vcc_lo
	s_delay_alu instid0(VALU_DEP_1)
	v_lshl_add_u32 v5, v5, 3, 0
	ds_add_f64 v5, v[8:9]
.LBB46_9:                               ;   in Loop: Header=BB46_10 Depth=1
	s_or_b32 exec_lo, exec_lo, s36
	v_add_nc_u64_e32 v[2:3], v[2:3], v[6:7]
	s_delay_alu instid0(VALU_DEP_1) | instskip(SKIP_1) | instid1(SALU_CYCLE_1)
	v_cmp_le_i64_e32 vcc_lo, s[10:11], v[2:3]
	s_or_b32 s42, vcc_lo, s42
	s_and_not1_b32 exec_lo, exec_lo, s42
	s_cbranch_execz .LBB46_22
.LBB46_10:                              ; =>This Loop Header: Depth=1
                                        ;     Child Loop BB46_11 Depth 2
	v_mov_b64_e32 v[10:11], 0
	v_mov_b64_e32 v[12:13], v[2:3]
	;; [unrolled: 1-line block ×3, first 2 shown]
	s_and_not1_b32 vcc_lo, exec_lo, s1
	s_mov_b64 s[34:35], s[28:29]
	s_mov_b32 s31, s33
	s_cbranch_vccnz .LBB46_17
.LBB46_11:                              ;   Parent Loop BB46_10 Depth=1
                                        ; =>  This Inner Loop Header: Depth=2
	s_load_b64 s[36:37], s[34:35], 0x0
                                        ; implicit-def: $vgpr14_vgpr15
	s_mov_b32 s0, exec_lo
	s_wait_kmcnt 0x0
	s_delay_alu instid0(VALU_DEP_1) | instskip(NEXT) | instid1(VALU_DEP_1)
	v_or_b32_e32 v5, s37, v13
	v_cmpx_ne_u64_e32 0, v[4:5]
	s_xor_b32 s43, exec_lo, s0
	s_cbranch_execz .LBB46_13
; %bb.12:                               ;   in Loop: Header=BB46_11 Depth=2
	s_ashr_i32 s38, s37, 31
	v_dual_mov_b32 v23, v4 :: v_dual_ashrrev_i32 v14, 31, v13
	s_mov_b32 s39, s38
	s_delay_alu instid0(SALU_CYCLE_1) | instskip(NEXT) | instid1(VALU_DEP_1)
	s_add_nc_u64 s[40:41], s[36:37], s[38:39]
	v_mov_b32_e32 v15, v14
	s_xor_b64 s[40:41], s[40:41], s[38:39]
	s_delay_alu instid0(SALU_CYCLE_1)
	s_cvt_f32_u32 s0, s40
	s_cvt_f32_u32 s18, s41
	s_sub_nc_u64 s[46:47], 0, s[40:41]
	v_add_nc_u64_e32 v[20:21], v[12:13], v[14:15]
	v_mov_b32_e32 v27, v4
	s_fmamk_f32 s0, s18, 0x4f800000, s0
	s_delay_alu instid0(SALU_CYCLE_3) | instskip(NEXT) | instid1(VALU_DEP_2)
	v_s_rcp_f32 s0, s0
	v_xor_b32_e32 v22, v20, v14
	s_delay_alu instid0(VALU_DEP_3) | instskip(SKIP_1) | instid1(TRANS32_DEP_1)
	v_dual_mov_b32 v31, v4 :: v_dual_bitop2_b32 v26, v21, v14 bitop3:0x14
	v_xor_b32_e32 v14, s38, v14
	s_mul_f32 s0, s0, 0x5f7ffffc
	s_delay_alu instid0(SALU_CYCLE_3) | instskip(NEXT) | instid1(SALU_CYCLE_3)
	s_mul_f32 s18, s0, 0x2f800000
	s_trunc_f32 s18, s18
	s_delay_alu instid0(SALU_CYCLE_3) | instskip(SKIP_1) | instid1(SALU_CYCLE_2)
	s_fmamk_f32 s0, s18, 0xcf800000, s0
	s_cvt_u32_f32 s45, s18
	s_cvt_u32_f32 s44, s0
	s_delay_alu instid0(SALU_CYCLE_3) | instskip(NEXT) | instid1(SALU_CYCLE_1)
	s_mul_u64 s[48:49], s[46:47], s[44:45]
	s_mul_hi_u32 s51, s44, s49
	s_mul_i32 s50, s44, s49
	s_mul_hi_u32 s18, s44, s48
	s_mul_i32 s39, s45, s48
	s_add_nc_u64 s[50:51], s[18:19], s[50:51]
	s_mul_hi_u32 s0, s45, s48
	s_mul_hi_u32 s52, s45, s49
	s_add_co_u32 s18, s50, s39
	s_add_co_ci_u32 s18, s51, s0
	s_mul_i32 s48, s45, s49
	s_add_co_ci_u32 s49, s52, 0
	s_delay_alu instid0(SALU_CYCLE_1) | instskip(NEXT) | instid1(SALU_CYCLE_1)
	s_add_nc_u64 s[48:49], s[18:19], s[48:49]
	s_add_co_u32 s44, s44, s48
	s_cselect_b32 s0, -1, 0
	s_delay_alu instid0(SALU_CYCLE_1) | instskip(SKIP_1) | instid1(SALU_CYCLE_1)
	s_cmp_lg_u32 s0, 0
	s_add_co_ci_u32 s45, s45, s49
	s_mul_u64 s[46:47], s[46:47], s[44:45]
	s_delay_alu instid0(SALU_CYCLE_1)
	s_mul_hi_u32 s49, s44, s47
	s_mul_i32 s48, s44, s47
	s_mul_hi_u32 s18, s44, s46
	s_mul_i32 s39, s45, s46
	s_add_nc_u64 s[48:49], s[18:19], s[48:49]
	s_mul_hi_u32 s0, s45, s46
	s_mul_hi_u32 s50, s45, s47
	s_add_co_u32 s18, s48, s39
	s_add_co_ci_u32 s18, s49, s0
	s_mul_i32 s46, s45, s47
	s_add_co_ci_u32 s47, s50, 0
	s_delay_alu instid0(SALU_CYCLE_1) | instskip(NEXT) | instid1(SALU_CYCLE_1)
	s_add_nc_u64 s[46:47], s[18:19], s[46:47]
	s_add_co_u32 s0, s44, s46
	s_cselect_b32 s18, -1, 0
	v_mul_hi_u32 v30, v22, s0
	s_cmp_lg_u32 s18, 0
	s_add_co_ci_u32 s18, s45, s47
	s_and_b64 s[44:45], s[0:1], s[26:27]
	v_mul_u64_e32 v[24:25], s[18:19], v[22:23]
	v_mul_u64_e32 v[20:21], s[44:45], v[26:27]
	;; [unrolled: 1-line block ×3, first 2 shown]
	s_delay_alu instid0(VALU_DEP_3) | instskip(NEXT) | instid1(VALU_DEP_1)
	v_add_nc_u64_e32 v[24:25], v[30:31], v[24:25]
	v_add_co_u32 v5, vcc_lo, v24, v20
	s_delay_alu instid0(VALU_DEP_2) | instskip(NEXT) | instid1(VALU_DEP_4)
	v_add_co_ci_u32_e32 v30, vcc_lo, v25, v21, vcc_lo
	v_add_co_ci_u32_e32 v29, vcc_lo, 0, v29, vcc_lo
	s_delay_alu instid0(VALU_DEP_1) | instskip(NEXT) | instid1(VALU_DEP_1)
	v_add_nc_u64_e32 v[20:21], v[30:31], v[28:29]
	v_mul_u64_e32 v[24:25], s[40:41], v[20:21]
	s_delay_alu instid0(VALU_DEP_1) | instskip(NEXT) | instid1(VALU_DEP_2)
	v_sub_nc_u32_e32 v5, v26, v25
	v_sub_co_u32 v15, vcc_lo, v22, v24
	s_delay_alu instid0(VALU_DEP_1) | instskip(NEXT) | instid1(VALU_DEP_3)
	v_sub_co_ci_u32_e64 v26, null, v26, v25, vcc_lo
	v_subrev_co_ci_u32_e64 v5, null, s41, v5, vcc_lo
	s_delay_alu instid0(VALU_DEP_3) | instskip(SKIP_1) | instid1(VALU_DEP_3)
	v_sub_co_u32 v19, s0, v15, s40
	v_add_nc_u64_e32 v[24:25], 1, v[20:21]
	v_subrev_co_ci_u32_e64 v5, null, 0, v5, s0
	s_delay_alu instid0(VALU_DEP_3) | instskip(SKIP_1) | instid1(VALU_DEP_3)
	v_cmp_le_u32_e32 vcc_lo, s40, v19
	v_cndmask_b32_e64 v19, 0, -1, vcc_lo
	v_cmp_le_u32_e32 vcc_lo, s41, v5
	v_cndmask_b32_e64 v22, 0, -1, vcc_lo
	;; [unrolled: 2-line block ×4, first 2 shown]
	v_cmp_eq_u32_e32 vcc_lo, s41, v5
	v_cndmask_b32_e32 v5, v22, v19, vcc_lo
	v_cmp_eq_u32_e32 vcc_lo, s41, v26
	v_add_nc_u64_e32 v[22:23], 2, v[20:21]
	v_cndmask_b32_e32 v15, v27, v15, vcc_lo
	s_delay_alu instid0(VALU_DEP_4) | instskip(NEXT) | instid1(VALU_DEP_2)
	v_cmp_ne_u32_e32 vcc_lo, 0, v5
	v_cmp_ne_u32_e64 s0, 0, v15
	s_delay_alu instid0(VALU_DEP_4) | instskip(NEXT) | instid1(VALU_DEP_1)
	v_dual_cndmask_b32 v5, v25, v23, vcc_lo :: v_dual_cndmask_b32 v15, v24, v22, vcc_lo
	v_dual_cndmask_b32 v19, v20, v15, s0 :: v_dual_mov_b32 v15, v14
	s_delay_alu instid0(VALU_DEP_1) | instskip(NEXT) | instid1(VALU_DEP_1)
	v_dual_cndmask_b32 v5, v21, v5, s0 :: v_dual_bitop2_b32 v20, v19, v14 bitop3:0x14
	v_xor_b32_e32 v21, v5, v14
	s_delay_alu instid0(VALU_DEP_1)
	v_sub_nc_u64_e32 v[14:15], v[20:21], v[14:15]
.LBB46_13:                              ;   in Loop: Header=BB46_11 Depth=2
	s_and_not1_saveexec_b32 s0, s43
	s_cbranch_execz .LBB46_15
; %bb.14:                               ;   in Loop: Header=BB46_11 Depth=2
	v_cvt_f32_u32_e32 v5, s36
	s_sub_co_i32 s18, 0, s36
	s_delay_alu instid0(VALU_DEP_1) | instskip(SKIP_1) | instid1(TRANS32_DEP_1)
	v_rcp_iflag_f32_e32 v5, v5
	v_nop
	v_mul_f32_e32 v5, 0x4f7ffffe, v5
	s_delay_alu instid0(VALU_DEP_1) | instskip(NEXT) | instid1(VALU_DEP_1)
	v_cvt_u32_f32_e32 v5, v5
	v_mul_lo_u32 v14, s18, v5
	s_delay_alu instid0(VALU_DEP_1) | instskip(NEXT) | instid1(VALU_DEP_1)
	v_mul_hi_u32 v14, v5, v14
	v_add_nc_u32_e32 v5, v5, v14
	s_delay_alu instid0(VALU_DEP_1) | instskip(NEXT) | instid1(VALU_DEP_1)
	v_mul_hi_u32 v5, v12, v5
	v_mul_lo_u32 v14, v5, s36
	s_delay_alu instid0(VALU_DEP_1) | instskip(NEXT) | instid1(VALU_DEP_1)
	v_dual_add_nc_u32 v15, 1, v5 :: v_dual_sub_nc_u32 v14, v12, v14
	v_subrev_nc_u32_e32 v19, s36, v14
	v_cmp_le_u32_e32 vcc_lo, s36, v14
	s_delay_alu instid0(VALU_DEP_2) | instskip(NEXT) | instid1(VALU_DEP_4)
	v_cndmask_b32_e32 v14, v14, v19, vcc_lo
	v_cndmask_b32_e32 v5, v5, v15, vcc_lo
	s_delay_alu instid0(VALU_DEP_2) | instskip(NEXT) | instid1(VALU_DEP_2)
	v_cmp_le_u32_e32 vcc_lo, s36, v14
	v_add_nc_u32_e32 v15, 1, v5
	s_delay_alu instid0(VALU_DEP_1)
	v_dual_cndmask_b32 v14, v5, v15 :: v_dual_mov_b32 v15, v4
.LBB46_15:                              ;   in Loop: Header=BB46_11 Depth=2
	s_or_b32 exec_lo, exec_lo, s0
	s_delay_alu instid0(VALU_DEP_1)
	v_mul_u64_e32 v[20:21], s[36:37], v[14:15]
	s_load_b64 s[36:37], s[34:35], 0xc8
	s_add_co_i32 s31, s31, -1
	s_wait_xcnt 0x0
	s_add_nc_u64 s[34:35], s[34:35], -8
	s_cmp_gt_u32 s31, 2
	s_delay_alu instid0(VALU_DEP_1) | instskip(SKIP_1) | instid1(VALU_DEP_1)
	v_sub_nc_u64_e32 v[12:13], v[12:13], v[20:21]
	s_wait_kmcnt 0x0
	v_mad_nc_u64_u32 v[10:11], s36, v12, v[10:11]
	s_delay_alu instid0(VALU_DEP_1) | instskip(NEXT) | instid1(VALU_DEP_1)
	v_mad_u32 v5, s37, v12, v11
	v_mad_u32 v11, s36, v13, v5
	s_cbranch_scc0 .LBB46_17
; %bb.16:                               ;   in Loop: Header=BB46_11 Depth=2
	v_mov_b64_e32 v[12:13], v[14:15]
	s_branch .LBB46_11
.LBB46_17:                              ;   in Loop: Header=BB46_10 Depth=1
	s_delay_alu instid0(VALU_DEP_1) | instskip(NEXT) | instid1(VALU_DEP_1)
	v_mul_u64_e32 v[12:13], s[20:21], v[14:15]
	v_lshl_add_u64 v[12:13], v[12:13], 3, s[22:23]
	s_delay_alu instid0(VALU_DEP_1)
	v_lshl_add_u64 v[10:11], v[10:11], 3, v[12:13]
	global_load_b64 v[10:11], v[10:11], off
	s_wait_loadcnt 0x0
	v_cmp_le_i64_e32 vcc_lo, s[6:7], v[10:11]
	v_cmp_ge_i64_e64 s0, s[8:9], v[10:11]
	s_and_b32 s0, vcc_lo, s0
	s_wait_xcnt 0x0
	s_and_saveexec_b32 s36, s0
	s_cbranch_execz .LBB46_9
; %bb.18:                               ;   in Loop: Header=BB46_10 Depth=1
	v_sub_nc_u64_e64 v[10:11], v[10:11], s[6:7]
                                        ; implicit-def: $vgpr12_vgpr13
	s_mov_b32 s0, exec_lo
	s_delay_alu instid0(VALU_DEP_1) | instskip(NEXT) | instid1(VALU_DEP_1)
	v_mul_u64_e32 v[10:11], s[4:5], v[10:11]
	v_or_b32_e32 v5, s25, v11
	s_delay_alu instid0(VALU_DEP_1)
	v_cmpx_ne_u64_e32 0, v[4:5]
	s_xor_b32 s37, exec_lo, s0
	s_cbranch_execz .LBB46_20
; %bb.19:                               ;   in Loop: Header=BB46_10 Depth=1
	s_mov_b32 s31, s30
	v_dual_mov_b32 v15, v4 :: v_dual_ashrrev_i32 v12, 31, v11
	s_add_nc_u64 s[34:35], s[24:25], s[30:31]
	s_delay_alu instid0(SALU_CYCLE_1) | instskip(NEXT) | instid1(VALU_DEP_1)
	s_xor_b64 s[34:35], s[34:35], s[30:31]
	v_mov_b32_e32 v13, v12
	s_cvt_f32_u32 s0, s34
	s_cvt_f32_u32 s18, s35
	s_sub_nc_u64 s[40:41], 0, s[34:35]
	s_delay_alu instid0(VALU_DEP_1) | instskip(NEXT) | instid1(SALU_CYCLE_1)
	v_add_nc_u64_e32 v[10:11], v[10:11], v[12:13]
	s_fmamk_f32 s0, s18, 0x4f800000, s0
	v_mov_b32_e32 v23, v4
	s_delay_alu instid0(SALU_CYCLE_2) | instskip(NEXT) | instid1(VALU_DEP_2)
	v_s_rcp_f32 s0, s0
	v_xor_b32_e32 v14, v10, v12
	s_delay_alu instid0(VALU_DEP_3) | instskip(NEXT) | instid1(TRANS32_DEP_1)
	v_dual_mov_b32 v27, v4 :: v_dual_bitop2_b32 v22, v11, v12 bitop3:0x14
	s_mul_f32 s0, s0, 0x5f7ffffc
	s_delay_alu instid0(SALU_CYCLE_3) | instskip(NEXT) | instid1(SALU_CYCLE_3)
	s_mul_f32 s18, s0, 0x2f800000
	s_trunc_f32 s18, s18
	s_delay_alu instid0(SALU_CYCLE_3) | instskip(SKIP_1) | instid1(SALU_CYCLE_2)
	s_fmamk_f32 s0, s18, 0xcf800000, s0
	s_cvt_u32_f32 s39, s18
	s_cvt_u32_f32 s38, s0
	s_delay_alu instid0(SALU_CYCLE_3) | instskip(NEXT) | instid1(SALU_CYCLE_1)
	s_mul_u64 s[44:45], s[40:41], s[38:39]
	s_mul_hi_u32 s47, s38, s45
	s_mul_i32 s46, s38, s45
	s_mul_hi_u32 s18, s38, s44
	s_mul_i32 s31, s39, s44
	s_add_nc_u64 s[46:47], s[18:19], s[46:47]
	s_mul_hi_u32 s0, s39, s44
	s_mul_hi_u32 s43, s39, s45
	s_add_co_u32 s18, s46, s31
	s_add_co_ci_u32 s18, s47, s0
	s_mul_i32 s44, s39, s45
	s_add_co_ci_u32 s45, s43, 0
	s_delay_alu instid0(SALU_CYCLE_1) | instskip(NEXT) | instid1(SALU_CYCLE_1)
	s_add_nc_u64 s[44:45], s[18:19], s[44:45]
	s_add_co_u32 s38, s38, s44
	s_cselect_b32 s0, -1, 0
	s_delay_alu instid0(SALU_CYCLE_1) | instskip(SKIP_1) | instid1(SALU_CYCLE_1)
	s_cmp_lg_u32 s0, 0
	s_add_co_ci_u32 s39, s39, s45
	s_mul_u64 s[40:41], s[40:41], s[38:39]
	s_delay_alu instid0(SALU_CYCLE_1)
	s_mul_hi_u32 s45, s38, s41
	s_mul_i32 s44, s38, s41
	s_mul_hi_u32 s18, s38, s40
	s_mul_i32 s31, s39, s40
	s_add_nc_u64 s[44:45], s[18:19], s[44:45]
	s_mul_hi_u32 s0, s39, s40
	s_mul_hi_u32 s43, s39, s41
	s_add_co_u32 s18, s44, s31
	s_add_co_ci_u32 s18, s45, s0
	s_mul_i32 s40, s39, s41
	s_add_co_ci_u32 s41, s43, 0
	s_delay_alu instid0(SALU_CYCLE_1) | instskip(NEXT) | instid1(SALU_CYCLE_1)
	s_add_nc_u64 s[40:41], s[18:19], s[40:41]
	s_add_co_u32 s0, s38, s40
	s_cselect_b32 s18, -1, 0
	v_mul_hi_u32 v26, v14, s0
	s_cmp_lg_u32 s18, 0
	s_add_co_ci_u32 s18, s39, s41
	s_and_b64 s[38:39], s[0:1], s[26:27]
	v_mul_u64_e32 v[20:21], s[18:19], v[14:15]
	v_mul_u64_e32 v[10:11], s[38:39], v[22:23]
	;; [unrolled: 1-line block ×3, first 2 shown]
	s_delay_alu instid0(VALU_DEP_3) | instskip(NEXT) | instid1(VALU_DEP_1)
	v_add_nc_u64_e32 v[20:21], v[26:27], v[20:21]
	v_add_co_u32 v5, vcc_lo, v20, v10
	s_delay_alu instid0(VALU_DEP_2) | instskip(NEXT) | instid1(VALU_DEP_4)
	v_add_co_ci_u32_e32 v26, vcc_lo, v21, v11, vcc_lo
	v_add_co_ci_u32_e32 v25, vcc_lo, 0, v25, vcc_lo
	s_delay_alu instid0(VALU_DEP_1) | instskip(NEXT) | instid1(VALU_DEP_1)
	v_add_nc_u64_e32 v[10:11], v[26:27], v[24:25]
	v_mul_u64_e32 v[20:21], s[34:35], v[10:11]
	s_delay_alu instid0(VALU_DEP_1) | instskip(NEXT) | instid1(VALU_DEP_2)
	v_sub_nc_u32_e32 v5, v22, v21
	v_sub_co_u32 v13, vcc_lo, v14, v20
	s_delay_alu instid0(VALU_DEP_1) | instskip(NEXT) | instid1(VALU_DEP_3)
	v_sub_co_ci_u32_e64 v19, null, v22, v21, vcc_lo
	v_subrev_co_ci_u32_e64 v5, null, s35, v5, vcc_lo
	s_delay_alu instid0(VALU_DEP_3) | instskip(SKIP_1) | instid1(VALU_DEP_3)
	v_sub_co_u32 v14, s0, v13, s34
	v_add_nc_u64_e32 v[20:21], 1, v[10:11]
	v_subrev_co_ci_u32_e64 v5, null, 0, v5, s0
	s_delay_alu instid0(VALU_DEP_3) | instskip(SKIP_1) | instid1(VALU_DEP_3)
	v_cmp_le_u32_e32 vcc_lo, s34, v14
	v_cndmask_b32_e64 v14, 0, -1, vcc_lo
	v_cmp_le_u32_e32 vcc_lo, s35, v5
	v_cndmask_b32_e64 v15, 0, -1, vcc_lo
	;; [unrolled: 2-line block ×4, first 2 shown]
	v_cmp_eq_u32_e32 vcc_lo, s35, v5
	v_cndmask_b32_e32 v5, v15, v14, vcc_lo
	v_cmp_eq_u32_e32 vcc_lo, s35, v19
	v_add_nc_u64_e32 v[14:15], 2, v[10:11]
	v_cndmask_b32_e32 v13, v22, v13, vcc_lo
	s_delay_alu instid0(VALU_DEP_4) | instskip(NEXT) | instid1(VALU_DEP_2)
	v_cmp_ne_u32_e32 vcc_lo, 0, v5
	v_cmp_ne_u32_e64 s0, 0, v13
	s_delay_alu instid0(VALU_DEP_4) | instskip(NEXT) | instid1(VALU_DEP_1)
	v_dual_cndmask_b32 v5, v21, v15, vcc_lo :: v_dual_cndmask_b32 v13, v20, v14, vcc_lo
	v_dual_cndmask_b32 v5, v11, v5, s0 :: v_dual_bitop2_b32 v12, s30, v12 bitop3:0x14
	s_delay_alu instid0(VALU_DEP_1) | instskip(NEXT) | instid1(VALU_DEP_2)
	v_dual_cndmask_b32 v10, v10, v13, s0 :: v_dual_mov_b32 v13, v12
	v_xor_b32_e32 v11, v5, v12
	s_delay_alu instid0(VALU_DEP_2) | instskip(NEXT) | instid1(VALU_DEP_1)
	v_xor_b32_e32 v10, v10, v12
	v_sub_nc_u64_e32 v[12:13], v[10:11], v[12:13]
                                        ; implicit-def: $vgpr10_vgpr11
.LBB46_20:                              ;   in Loop: Header=BB46_10 Depth=1
	s_and_not1_saveexec_b32 s0, s37
	s_cbranch_execz .LBB46_8
; %bb.21:                               ;   in Loop: Header=BB46_10 Depth=1
	v_cvt_f32_u32_e32 v5, s24
	s_sub_co_i32 s18, 0, s24
	s_delay_alu instid0(VALU_DEP_1) | instskip(SKIP_1) | instid1(TRANS32_DEP_1)
	v_rcp_iflag_f32_e32 v5, v5
	v_nop
	v_mul_f32_e32 v5, 0x4f7ffffe, v5
	s_delay_alu instid0(VALU_DEP_1) | instskip(NEXT) | instid1(VALU_DEP_1)
	v_cvt_u32_f32_e32 v5, v5
	v_mul_lo_u32 v11, s18, v5
	s_delay_alu instid0(VALU_DEP_1) | instskip(NEXT) | instid1(VALU_DEP_1)
	v_mul_hi_u32 v11, v5, v11
	v_add_nc_u32_e32 v5, v5, v11
	s_delay_alu instid0(VALU_DEP_1) | instskip(NEXT) | instid1(VALU_DEP_1)
	v_mul_hi_u32 v5, v10, v5
	v_mul_lo_u32 v11, v5, s24
	s_delay_alu instid0(VALU_DEP_1) | instskip(NEXT) | instid1(VALU_DEP_1)
	v_dual_sub_nc_u32 v10, v10, v11 :: v_dual_add_nc_u32 v11, 1, v5
	v_subrev_nc_u32_e32 v12, s24, v10
	v_cmp_le_u32_e32 vcc_lo, s24, v10
	s_delay_alu instid0(VALU_DEP_2) | instskip(NEXT) | instid1(VALU_DEP_1)
	v_dual_cndmask_b32 v10, v10, v12 :: v_dual_cndmask_b32 v5, v5, v11
	v_cmp_le_u32_e32 vcc_lo, s24, v10
	s_delay_alu instid0(VALU_DEP_2) | instskip(NEXT) | instid1(VALU_DEP_1)
	v_add_nc_u32_e32 v11, 1, v5
	v_cndmask_b32_e32 v12, v5, v11, vcc_lo
	s_branch .LBB46_8
.LBB46_22:
	s_or_b32 exec_lo, exec_lo, s3
; %bb.23:
	s_wait_dscnt 0x0
	s_barrier_signal -1
	s_barrier_wait -1
	s_and_saveexec_b32 s0, s2
	s_cbranch_execz .LBB46_26
; %bb.24:
	s_mov_b32 s0, 0
	v_and_b32_e32 v2, 0xffff, v18
	v_dual_mov_b32 v3, s0 :: v_dual_lshlrev_b32 v8, 3, v17
	v_mul_u64_e32 v[6:7], s[16:17], v[0:1]
	s_delay_alu instid0(VALU_DEP_2) | instskip(NEXT) | instid1(VALU_DEP_2)
	v_mul_u64_e32 v[4:5], s[16:17], v[2:3]
	v_lshl_add_u64 v[6:7], v[6:7], 3, s[12:13]
	s_delay_alu instid0(VALU_DEP_2)
	v_lshlrev_b64_e32 v[4:5], 3, v[4:5]
.LBB46_25:                              ; =>This Inner Loop Header: Depth=1
	ds_load_b64 v[10:11], v16
	v_add_nc_u64_e32 v[0:1], v[0:1], v[2:3]
	v_add_nc_u32_e32 v16, v16, v8
	s_delay_alu instid0(VALU_DEP_2)
	v_cmp_le_i64_e32 vcc_lo, s[14:15], v[0:1]
	s_or_b32 s0, vcc_lo, s0
	s_wait_dscnt 0x0
	global_atomic_add_f64 v[6:7], v[10:11], off scope:SCOPE_DEV
	s_wait_xcnt 0x0
	v_add_nc_u64_e32 v[6:7], v[6:7], v[4:5]
	s_and_not1_b32 exec_lo, exec_lo, s0
	s_cbranch_execnz .LBB46_25
.LBB46_26:
	s_endpgm
	.section	.rodata,"a",@progbits
	.p2align	6, 0x0
	.amdhsa_kernel _ZN2at4cuda17kernelHistogram1DIdllLi1ELi2ELin1ELNS0_23CUDAHistogramMemoryTypeE0EZNS0_21CUDA_tensor_histogramIdlLb1EEEbNS_6TensorES4_S4_lNS_14AccumulateTypeIT0_Lb1EE4typeES8_NS0_13TensorArgTypeES9_S9_EUllE0_EEvNS0_6detail10TensorInfoIT_T1_EESF_NSC_IKS6_SE_EElS8_S8_SE_T6_
		.amdhsa_group_segment_fixed_size 0
		.amdhsa_private_segment_fixed_size 0
		.amdhsa_kernarg_size 1544
		.amdhsa_user_sgpr_count 2
		.amdhsa_user_sgpr_dispatch_ptr 0
		.amdhsa_user_sgpr_queue_ptr 0
		.amdhsa_user_sgpr_kernarg_segment_ptr 1
		.amdhsa_user_sgpr_dispatch_id 0
		.amdhsa_user_sgpr_kernarg_preload_length 0
		.amdhsa_user_sgpr_kernarg_preload_offset 0
		.amdhsa_user_sgpr_private_segment_size 0
		.amdhsa_wavefront_size32 1
		.amdhsa_uses_dynamic_stack 0
		.amdhsa_enable_private_segment 0
		.amdhsa_system_sgpr_workgroup_id_x 1
		.amdhsa_system_sgpr_workgroup_id_y 0
		.amdhsa_system_sgpr_workgroup_id_z 0
		.amdhsa_system_sgpr_workgroup_info 0
		.amdhsa_system_vgpr_workitem_id 0
		.amdhsa_next_free_vgpr 32
		.amdhsa_next_free_sgpr 53
		.amdhsa_named_barrier_count 0
		.amdhsa_reserve_vcc 1
		.amdhsa_float_round_mode_32 0
		.amdhsa_float_round_mode_16_64 0
		.amdhsa_float_denorm_mode_32 3
		.amdhsa_float_denorm_mode_16_64 3
		.amdhsa_fp16_overflow 0
		.amdhsa_memory_ordered 1
		.amdhsa_forward_progress 1
		.amdhsa_inst_pref_size 19
		.amdhsa_round_robin_scheduling 0
		.amdhsa_exception_fp_ieee_invalid_op 0
		.amdhsa_exception_fp_denorm_src 0
		.amdhsa_exception_fp_ieee_div_zero 0
		.amdhsa_exception_fp_ieee_overflow 0
		.amdhsa_exception_fp_ieee_underflow 0
		.amdhsa_exception_fp_ieee_inexact 0
		.amdhsa_exception_int_div_zero 0
	.end_amdhsa_kernel
	.section	.text._ZN2at4cuda17kernelHistogram1DIdllLi1ELi2ELin1ELNS0_23CUDAHistogramMemoryTypeE0EZNS0_21CUDA_tensor_histogramIdlLb1EEEbNS_6TensorES4_S4_lNS_14AccumulateTypeIT0_Lb1EE4typeES8_NS0_13TensorArgTypeES9_S9_EUllE0_EEvNS0_6detail10TensorInfoIT_T1_EESF_NSC_IKS6_SE_EElS8_S8_SE_T6_,"axG",@progbits,_ZN2at4cuda17kernelHistogram1DIdllLi1ELi2ELin1ELNS0_23CUDAHistogramMemoryTypeE0EZNS0_21CUDA_tensor_histogramIdlLb1EEEbNS_6TensorES4_S4_lNS_14AccumulateTypeIT0_Lb1EE4typeES8_NS0_13TensorArgTypeES9_S9_EUllE0_EEvNS0_6detail10TensorInfoIT_T1_EESF_NSC_IKS6_SE_EElS8_S8_SE_T6_,comdat
.Lfunc_end46:
	.size	_ZN2at4cuda17kernelHistogram1DIdllLi1ELi2ELin1ELNS0_23CUDAHistogramMemoryTypeE0EZNS0_21CUDA_tensor_histogramIdlLb1EEEbNS_6TensorES4_S4_lNS_14AccumulateTypeIT0_Lb1EE4typeES8_NS0_13TensorArgTypeES9_S9_EUllE0_EEvNS0_6detail10TensorInfoIT_T1_EESF_NSC_IKS6_SE_EElS8_S8_SE_T6_, .Lfunc_end46-_ZN2at4cuda17kernelHistogram1DIdllLi1ELi2ELin1ELNS0_23CUDAHistogramMemoryTypeE0EZNS0_21CUDA_tensor_histogramIdlLb1EEEbNS_6TensorES4_S4_lNS_14AccumulateTypeIT0_Lb1EE4typeES8_NS0_13TensorArgTypeES9_S9_EUllE0_EEvNS0_6detail10TensorInfoIT_T1_EESF_NSC_IKS6_SE_EElS8_S8_SE_T6_
                                        ; -- End function
	.set _ZN2at4cuda17kernelHistogram1DIdllLi1ELi2ELin1ELNS0_23CUDAHistogramMemoryTypeE0EZNS0_21CUDA_tensor_histogramIdlLb1EEEbNS_6TensorES4_S4_lNS_14AccumulateTypeIT0_Lb1EE4typeES8_NS0_13TensorArgTypeES9_S9_EUllE0_EEvNS0_6detail10TensorInfoIT_T1_EESF_NSC_IKS6_SE_EElS8_S8_SE_T6_.num_vgpr, 32
	.set _ZN2at4cuda17kernelHistogram1DIdllLi1ELi2ELin1ELNS0_23CUDAHistogramMemoryTypeE0EZNS0_21CUDA_tensor_histogramIdlLb1EEEbNS_6TensorES4_S4_lNS_14AccumulateTypeIT0_Lb1EE4typeES8_NS0_13TensorArgTypeES9_S9_EUllE0_EEvNS0_6detail10TensorInfoIT_T1_EESF_NSC_IKS6_SE_EElS8_S8_SE_T6_.num_agpr, 0
	.set _ZN2at4cuda17kernelHistogram1DIdllLi1ELi2ELin1ELNS0_23CUDAHistogramMemoryTypeE0EZNS0_21CUDA_tensor_histogramIdlLb1EEEbNS_6TensorES4_S4_lNS_14AccumulateTypeIT0_Lb1EE4typeES8_NS0_13TensorArgTypeES9_S9_EUllE0_EEvNS0_6detail10TensorInfoIT_T1_EESF_NSC_IKS6_SE_EElS8_S8_SE_T6_.numbered_sgpr, 53
	.set _ZN2at4cuda17kernelHistogram1DIdllLi1ELi2ELin1ELNS0_23CUDAHistogramMemoryTypeE0EZNS0_21CUDA_tensor_histogramIdlLb1EEEbNS_6TensorES4_S4_lNS_14AccumulateTypeIT0_Lb1EE4typeES8_NS0_13TensorArgTypeES9_S9_EUllE0_EEvNS0_6detail10TensorInfoIT_T1_EESF_NSC_IKS6_SE_EElS8_S8_SE_T6_.num_named_barrier, 0
	.set _ZN2at4cuda17kernelHistogram1DIdllLi1ELi2ELin1ELNS0_23CUDAHistogramMemoryTypeE0EZNS0_21CUDA_tensor_histogramIdlLb1EEEbNS_6TensorES4_S4_lNS_14AccumulateTypeIT0_Lb1EE4typeES8_NS0_13TensorArgTypeES9_S9_EUllE0_EEvNS0_6detail10TensorInfoIT_T1_EESF_NSC_IKS6_SE_EElS8_S8_SE_T6_.private_seg_size, 0
	.set _ZN2at4cuda17kernelHistogram1DIdllLi1ELi2ELin1ELNS0_23CUDAHistogramMemoryTypeE0EZNS0_21CUDA_tensor_histogramIdlLb1EEEbNS_6TensorES4_S4_lNS_14AccumulateTypeIT0_Lb1EE4typeES8_NS0_13TensorArgTypeES9_S9_EUllE0_EEvNS0_6detail10TensorInfoIT_T1_EESF_NSC_IKS6_SE_EElS8_S8_SE_T6_.uses_vcc, 1
	.set _ZN2at4cuda17kernelHistogram1DIdllLi1ELi2ELin1ELNS0_23CUDAHistogramMemoryTypeE0EZNS0_21CUDA_tensor_histogramIdlLb1EEEbNS_6TensorES4_S4_lNS_14AccumulateTypeIT0_Lb1EE4typeES8_NS0_13TensorArgTypeES9_S9_EUllE0_EEvNS0_6detail10TensorInfoIT_T1_EESF_NSC_IKS6_SE_EElS8_S8_SE_T6_.uses_flat_scratch, 0
	.set _ZN2at4cuda17kernelHistogram1DIdllLi1ELi2ELin1ELNS0_23CUDAHistogramMemoryTypeE0EZNS0_21CUDA_tensor_histogramIdlLb1EEEbNS_6TensorES4_S4_lNS_14AccumulateTypeIT0_Lb1EE4typeES8_NS0_13TensorArgTypeES9_S9_EUllE0_EEvNS0_6detail10TensorInfoIT_T1_EESF_NSC_IKS6_SE_EElS8_S8_SE_T6_.has_dyn_sized_stack, 0
	.set _ZN2at4cuda17kernelHistogram1DIdllLi1ELi2ELin1ELNS0_23CUDAHistogramMemoryTypeE0EZNS0_21CUDA_tensor_histogramIdlLb1EEEbNS_6TensorES4_S4_lNS_14AccumulateTypeIT0_Lb1EE4typeES8_NS0_13TensorArgTypeES9_S9_EUllE0_EEvNS0_6detail10TensorInfoIT_T1_EESF_NSC_IKS6_SE_EElS8_S8_SE_T6_.has_recursion, 0
	.set _ZN2at4cuda17kernelHistogram1DIdllLi1ELi2ELin1ELNS0_23CUDAHistogramMemoryTypeE0EZNS0_21CUDA_tensor_histogramIdlLb1EEEbNS_6TensorES4_S4_lNS_14AccumulateTypeIT0_Lb1EE4typeES8_NS0_13TensorArgTypeES9_S9_EUllE0_EEvNS0_6detail10TensorInfoIT_T1_EESF_NSC_IKS6_SE_EElS8_S8_SE_T6_.has_indirect_call, 0
	.section	.AMDGPU.csdata,"",@progbits
; Kernel info:
; codeLenInByte = 2340
; TotalNumSgprs: 55
; NumVgprs: 32
; ScratchSize: 0
; MemoryBound: 0
; FloatMode: 240
; IeeeMode: 1
; LDSByteSize: 0 bytes/workgroup (compile time only)
; SGPRBlocks: 0
; VGPRBlocks: 1
; NumSGPRsForWavesPerEU: 55
; NumVGPRsForWavesPerEU: 32
; NamedBarCnt: 0
; Occupancy: 16
; WaveLimiterHint : 1
; COMPUTE_PGM_RSRC2:SCRATCH_EN: 0
; COMPUTE_PGM_RSRC2:USER_SGPR: 2
; COMPUTE_PGM_RSRC2:TRAP_HANDLER: 0
; COMPUTE_PGM_RSRC2:TGID_X_EN: 1
; COMPUTE_PGM_RSRC2:TGID_Y_EN: 0
; COMPUTE_PGM_RSRC2:TGID_Z_EN: 0
; COMPUTE_PGM_RSRC2:TIDIG_COMP_CNT: 0
	.section	.text._ZN2at4cuda17kernelHistogram1DIdllLi1ELi2ELin1ELNS0_23CUDAHistogramMemoryTypeE1EZNS0_21CUDA_tensor_histogramIdlLb1EEEbNS_6TensorES4_S4_lNS_14AccumulateTypeIT0_Lb1EE4typeES8_NS0_13TensorArgTypeES9_S9_EUllE0_EEvNS0_6detail10TensorInfoIT_T1_EESF_NSC_IKS6_SE_EElS8_S8_SE_T6_,"axG",@progbits,_ZN2at4cuda17kernelHistogram1DIdllLi1ELi2ELin1ELNS0_23CUDAHistogramMemoryTypeE1EZNS0_21CUDA_tensor_histogramIdlLb1EEEbNS_6TensorES4_S4_lNS_14AccumulateTypeIT0_Lb1EE4typeES8_NS0_13TensorArgTypeES9_S9_EUllE0_EEvNS0_6detail10TensorInfoIT_T1_EESF_NSC_IKS6_SE_EElS8_S8_SE_T6_,comdat
	.protected	_ZN2at4cuda17kernelHistogram1DIdllLi1ELi2ELin1ELNS0_23CUDAHistogramMemoryTypeE1EZNS0_21CUDA_tensor_histogramIdlLb1EEEbNS_6TensorES4_S4_lNS_14AccumulateTypeIT0_Lb1EE4typeES8_NS0_13TensorArgTypeES9_S9_EUllE0_EEvNS0_6detail10TensorInfoIT_T1_EESF_NSC_IKS6_SE_EElS8_S8_SE_T6_ ; -- Begin function _ZN2at4cuda17kernelHistogram1DIdllLi1ELi2ELin1ELNS0_23CUDAHistogramMemoryTypeE1EZNS0_21CUDA_tensor_histogramIdlLb1EEEbNS_6TensorES4_S4_lNS_14AccumulateTypeIT0_Lb1EE4typeES8_NS0_13TensorArgTypeES9_S9_EUllE0_EEvNS0_6detail10TensorInfoIT_T1_EESF_NSC_IKS6_SE_EElS8_S8_SE_T6_
	.globl	_ZN2at4cuda17kernelHistogram1DIdllLi1ELi2ELin1ELNS0_23CUDAHistogramMemoryTypeE1EZNS0_21CUDA_tensor_histogramIdlLb1EEEbNS_6TensorES4_S4_lNS_14AccumulateTypeIT0_Lb1EE4typeES8_NS0_13TensorArgTypeES9_S9_EUllE0_EEvNS0_6detail10TensorInfoIT_T1_EESF_NSC_IKS6_SE_EElS8_S8_SE_T6_
	.p2align	8
	.type	_ZN2at4cuda17kernelHistogram1DIdllLi1ELi2ELin1ELNS0_23CUDAHistogramMemoryTypeE1EZNS0_21CUDA_tensor_histogramIdlLb1EEEbNS_6TensorES4_S4_lNS_14AccumulateTypeIT0_Lb1EE4typeES8_NS0_13TensorArgTypeES9_S9_EUllE0_EEvNS0_6detail10TensorInfoIT_T1_EESF_NSC_IKS6_SE_EElS8_S8_SE_T6_,@function
_ZN2at4cuda17kernelHistogram1DIdllLi1ELi2ELin1ELNS0_23CUDAHistogramMemoryTypeE1EZNS0_21CUDA_tensor_histogramIdlLb1EEEbNS_6TensorES4_S4_lNS_14AccumulateTypeIT0_Lb1EE4typeES8_NS0_13TensorArgTypeES9_S9_EUllE0_EEvNS0_6detail10TensorInfoIT_T1_EESF_NSC_IKS6_SE_EElS8_S8_SE_T6_: ; @_ZN2at4cuda17kernelHistogram1DIdllLi1ELi2ELin1ELNS0_23CUDAHistogramMemoryTypeE1EZNS0_21CUDA_tensor_histogramIdlLb1EEEbNS_6TensorES4_S4_lNS_14AccumulateTypeIT0_Lb1EE4typeES8_NS0_13TensorArgTypeES9_S9_EUllE0_EEvNS0_6detail10TensorInfoIT_T1_EESF_NSC_IKS6_SE_EElS8_S8_SE_T6_
; %bb.0:
	s_load_b32 s2, s[0:1], 0x514
	s_bfe_u32 s12, ttmp6, 0x4000c
	s_load_b256 s[4:11], s[0:1], 0x4e0
	s_add_co_i32 s12, s12, 1
	s_and_b32 s3, ttmp6, 15
	s_mul_i32 s12, ttmp9, s12
	s_getreg_b32 s13, hwreg(HW_REG_IB_STS2, 6, 4)
	s_add_co_i32 s3, s3, s12
	v_mov_b32_e32 v2, 0
	s_mov_b32 s12, exec_lo
	s_delay_alu instid0(VALU_DEP_1) | instskip(SKIP_4) | instid1(SALU_CYCLE_1)
	v_mov_b32_e32 v1, v2
	s_wait_kmcnt 0x0
	s_and_b32 s2, s2, 0xffff
	s_cmp_eq_u32 s13, 0
	s_cselect_b32 s3, ttmp9, s3
	v_mad_u32 v0, s3, s2, v0
	s_mov_b32 s3, 0
	s_delay_alu instid0(VALU_DEP_1)
	v_cmpx_gt_i64_e64 s[10:11], v[0:1]
	s_cbranch_execz .LBB47_16
; %bb.1:
	s_load_b32 s28, s[0:1], 0x4d8
	s_add_nc_u64 s[20:21], s[0:1], 0x508
	s_load_b32 s22, s[20:21], 0x0
	s_clause 0x3
	s_load_b64 s[12:13], s[0:1], 0x0
	s_load_b64 s[14:15], s[0:1], 0xd0
	;; [unrolled: 1-line block ×4, first 2 shown]
	s_add_nc_u64 s[26:27], s[0:1], 0x340
	v_mov_b64_e32 v[4:5], 1.0
	s_wait_xcnt 0x0
	s_sub_nc_u64 s[20:21], s[8:9], s[6:7]
	s_mov_b32 s23, s3
	s_mov_b64 s[24:25], 0xffffffff
	s_mov_b32 s40, 0
	s_wait_kmcnt 0x0
	s_mul_i32 s22, s22, s2
	s_cmp_gt_i32 s28, 1
	s_cselect_b32 s1, -1, 0
	s_add_co_i32 s2, s28, -1
	s_add_co_i32 s33, s28, 1
	s_lshl_b64 s[28:29], s[2:3], 3
	s_delay_alu instid0(SALU_CYCLE_1)
	s_add_nc_u64 s[28:29], s[26:27], s[28:29]
	s_ashr_i32 s26, s21, 31
	s_add_nc_u64 s[28:29], s[28:29], 8
	s_branch .LBB47_4
.LBB47_2:                               ;   in Loop: Header=BB47_4 Depth=1
	s_or_b32 exec_lo, exec_lo, s0
	s_delay_alu instid0(VALU_DEP_1) | instskip(NEXT) | instid1(VALU_DEP_1)
	v_dual_ashrrev_i32 v9, 31, v8 :: v_dual_mov_b32 v7, s3
	v_cmp_eq_u64_e32 vcc_lo, s[4:5], v[8:9]
	v_cndmask_b32_e64 v6, 0, 1, vcc_lo
	s_delay_alu instid0(VALU_DEP_1) | instskip(NEXT) | instid1(VALU_DEP_1)
	v_sub_nc_u64_e32 v[6:7], v[8:9], v[6:7]
	v_mul_u64_e32 v[6:7], s[14:15], v[6:7]
	s_delay_alu instid0(VALU_DEP_1)
	v_lshl_add_u64 v[6:7], v[6:7], 3, s[12:13]
	global_atomic_add_f64 v[6:7], v[4:5], off scope:SCOPE_DEV
.LBB47_3:                               ;   in Loop: Header=BB47_4 Depth=1
	s_wait_xcnt 0x0
	s_or_b32 exec_lo, exec_lo, s34
	v_add_nc_u64_e32 v[0:1], s[22:23], v[0:1]
	s_delay_alu instid0(VALU_DEP_1) | instskip(SKIP_1) | instid1(SALU_CYCLE_1)
	v_cmp_le_i64_e32 vcc_lo, s[10:11], v[0:1]
	s_or_b32 s40, vcc_lo, s40
	s_and_not1_b32 exec_lo, exec_lo, s40
	s_cbranch_execz .LBB47_16
.LBB47_4:                               ; =>This Loop Header: Depth=1
                                        ;     Child Loop BB47_5 Depth 2
	v_mov_b64_e32 v[6:7], 0
	v_mov_b64_e32 v[8:9], v[0:1]
	;; [unrolled: 1-line block ×3, first 2 shown]
	s_and_not1_b32 vcc_lo, exec_lo, s1
	s_mov_b64 s[30:31], s[28:29]
	s_mov_b32 s27, s33
	s_cbranch_vccnz .LBB47_11
.LBB47_5:                               ;   Parent Loop BB47_4 Depth=1
                                        ; =>  This Inner Loop Header: Depth=2
	s_load_b64 s[34:35], s[30:31], 0x0
                                        ; implicit-def: $vgpr10_vgpr11
	s_mov_b32 s0, exec_lo
	s_wait_kmcnt 0x0
	s_delay_alu instid0(VALU_DEP_1) | instskip(NEXT) | instid1(VALU_DEP_1)
	v_or_b32_e32 v3, s35, v9
	v_cmpx_ne_u64_e32 0, v[2:3]
	s_xor_b32 s41, exec_lo, s0
	s_cbranch_execz .LBB47_7
; %bb.6:                                ;   in Loop: Header=BB47_5 Depth=2
	s_ashr_i32 s36, s35, 31
	v_dual_mov_b32 v15, v2 :: v_dual_ashrrev_i32 v10, 31, v9
	s_mov_b32 s37, s36
	v_mov_b32_e32 v23, v2
	s_add_nc_u64 s[38:39], s[34:35], s[36:37]
	s_delay_alu instid0(VALU_DEP_2) | instskip(SKIP_1) | instid1(SALU_CYCLE_1)
	v_mov_b32_e32 v11, v10
	s_xor_b64 s[38:39], s[38:39], s[36:37]
	s_cvt_f32_u32 s0, s38
	s_cvt_f32_u32 s2, s39
	s_sub_nc_u64 s[44:45], 0, s[38:39]
	v_add_nc_u64_e32 v[12:13], v[8:9], v[10:11]
	v_mov_b32_e32 v19, v2
	s_fmamk_f32 s0, s2, 0x4f800000, s0
	s_delay_alu instid0(SALU_CYCLE_3) | instskip(NEXT) | instid1(VALU_DEP_2)
	v_s_rcp_f32 s0, s0
	v_xor_b32_e32 v14, v12, v10
	s_delay_alu instid0(VALU_DEP_3) | instskip(NEXT) | instid1(TRANS32_DEP_1)
	v_xor_b32_e32 v18, v13, v10
	s_mul_f32 s0, s0, 0x5f7ffffc
	s_delay_alu instid0(SALU_CYCLE_3) | instskip(NEXT) | instid1(SALU_CYCLE_3)
	s_mul_f32 s2, s0, 0x2f800000
	s_trunc_f32 s2, s2
	s_delay_alu instid0(SALU_CYCLE_3) | instskip(SKIP_1) | instid1(SALU_CYCLE_2)
	s_fmamk_f32 s0, s2, 0xcf800000, s0
	s_cvt_u32_f32 s43, s2
	s_cvt_u32_f32 s42, s0
	s_delay_alu instid0(SALU_CYCLE_3) | instskip(NEXT) | instid1(SALU_CYCLE_1)
	s_mul_u64 s[46:47], s[44:45], s[42:43]
	s_mul_hi_u32 s49, s42, s47
	s_mul_i32 s48, s42, s47
	s_mul_hi_u32 s2, s42, s46
	s_mul_i32 s37, s43, s46
	s_add_nc_u64 s[48:49], s[2:3], s[48:49]
	s_mul_hi_u32 s0, s43, s46
	s_mul_hi_u32 s50, s43, s47
	s_add_co_u32 s2, s48, s37
	s_add_co_ci_u32 s2, s49, s0
	s_mul_i32 s46, s43, s47
	s_add_co_ci_u32 s47, s50, 0
	s_delay_alu instid0(SALU_CYCLE_1) | instskip(NEXT) | instid1(SALU_CYCLE_1)
	s_add_nc_u64 s[46:47], s[2:3], s[46:47]
	s_add_co_u32 s42, s42, s46
	s_cselect_b32 s0, -1, 0
	s_delay_alu instid0(SALU_CYCLE_1) | instskip(SKIP_1) | instid1(SALU_CYCLE_1)
	s_cmp_lg_u32 s0, 0
	s_add_co_ci_u32 s43, s43, s47
	s_mul_u64 s[44:45], s[44:45], s[42:43]
	s_delay_alu instid0(SALU_CYCLE_1)
	s_mul_hi_u32 s47, s42, s45
	s_mul_i32 s46, s42, s45
	s_mul_hi_u32 s2, s42, s44
	s_mul_i32 s37, s43, s44
	s_add_nc_u64 s[46:47], s[2:3], s[46:47]
	s_mul_hi_u32 s0, s43, s44
	s_mul_hi_u32 s48, s43, s45
	s_add_co_u32 s2, s46, s37
	s_add_co_ci_u32 s2, s47, s0
	s_mul_i32 s44, s43, s45
	s_add_co_ci_u32 s45, s48, 0
	s_delay_alu instid0(SALU_CYCLE_1) | instskip(NEXT) | instid1(SALU_CYCLE_1)
	s_add_nc_u64 s[44:45], s[2:3], s[44:45]
	s_add_co_u32 s0, s42, s44
	s_cselect_b32 s2, -1, 0
	v_mul_hi_u32 v22, v14, s0
	s_cmp_lg_u32 s2, 0
	s_add_co_ci_u32 s2, s43, s45
	s_and_b64 s[42:43], s[0:1], s[24:25]
	v_mul_u64_e32 v[16:17], s[2:3], v[14:15]
	v_mul_u64_e32 v[12:13], s[42:43], v[18:19]
	;; [unrolled: 1-line block ×3, first 2 shown]
	s_delay_alu instid0(VALU_DEP_3) | instskip(NEXT) | instid1(VALU_DEP_1)
	v_add_nc_u64_e32 v[16:17], v[22:23], v[16:17]
	v_add_co_u32 v3, vcc_lo, v16, v12
	s_delay_alu instid0(VALU_DEP_2) | instskip(NEXT) | instid1(VALU_DEP_4)
	v_add_co_ci_u32_e32 v22, vcc_lo, v17, v13, vcc_lo
	v_add_co_ci_u32_e32 v21, vcc_lo, 0, v21, vcc_lo
	s_delay_alu instid0(VALU_DEP_1) | instskip(NEXT) | instid1(VALU_DEP_1)
	v_add_nc_u64_e32 v[12:13], v[22:23], v[20:21]
	v_mul_u64_e32 v[16:17], s[38:39], v[12:13]
	s_delay_alu instid0(VALU_DEP_1) | instskip(NEXT) | instid1(VALU_DEP_2)
	v_sub_nc_u32_e32 v3, v18, v17
	v_sub_co_u32 v11, vcc_lo, v14, v16
	s_delay_alu instid0(VALU_DEP_1) | instskip(NEXT) | instid1(VALU_DEP_3)
	v_sub_co_ci_u32_e64 v18, null, v18, v17, vcc_lo
	v_subrev_co_ci_u32_e64 v3, null, s39, v3, vcc_lo
	s_delay_alu instid0(VALU_DEP_3) | instskip(SKIP_1) | instid1(VALU_DEP_3)
	v_sub_co_u32 v14, s0, v11, s38
	v_add_nc_u64_e32 v[16:17], 1, v[12:13]
	v_subrev_co_ci_u32_e64 v3, null, 0, v3, s0
	s_delay_alu instid0(VALU_DEP_3) | instskip(SKIP_1) | instid1(VALU_DEP_3)
	v_cmp_le_u32_e32 vcc_lo, s38, v14
	v_cndmask_b32_e64 v14, 0, -1, vcc_lo
	v_cmp_le_u32_e32 vcc_lo, s39, v3
	v_cndmask_b32_e64 v15, 0, -1, vcc_lo
	v_cmp_le_u32_e32 vcc_lo, s38, v11
	v_cndmask_b32_e64 v11, 0, -1, vcc_lo
	v_cmp_le_u32_e32 vcc_lo, s39, v18
	v_cndmask_b32_e64 v19, 0, -1, vcc_lo
	v_cmp_eq_u32_e32 vcc_lo, s39, v3
	v_cndmask_b32_e32 v3, v15, v14, vcc_lo
	v_cmp_eq_u32_e32 vcc_lo, s39, v18
	v_add_nc_u64_e32 v[14:15], 2, v[12:13]
	v_cndmask_b32_e32 v11, v19, v11, vcc_lo
	s_delay_alu instid0(VALU_DEP_4) | instskip(NEXT) | instid1(VALU_DEP_2)
	v_cmp_ne_u32_e32 vcc_lo, 0, v3
	v_cmp_ne_u32_e64 s0, 0, v11
	s_delay_alu instid0(VALU_DEP_4) | instskip(NEXT) | instid1(VALU_DEP_1)
	v_dual_cndmask_b32 v3, v17, v15, vcc_lo :: v_dual_cndmask_b32 v11, v16, v14, vcc_lo
	v_dual_cndmask_b32 v3, v13, v3, s0 :: v_dual_bitop2_b32 v10, s36, v10 bitop3:0x14
	s_delay_alu instid0(VALU_DEP_1) | instskip(NEXT) | instid1(VALU_DEP_2)
	v_dual_cndmask_b32 v12, v12, v11, s0 :: v_dual_mov_b32 v11, v10
	v_xor_b32_e32 v13, v3, v10
	s_delay_alu instid0(VALU_DEP_2) | instskip(NEXT) | instid1(VALU_DEP_1)
	v_xor_b32_e32 v12, v12, v10
	v_sub_nc_u64_e32 v[10:11], v[12:13], v[10:11]
.LBB47_7:                               ;   in Loop: Header=BB47_5 Depth=2
	s_and_not1_saveexec_b32 s0, s41
	s_cbranch_execz .LBB47_9
; %bb.8:                                ;   in Loop: Header=BB47_5 Depth=2
	v_cvt_f32_u32_e32 v3, s34
	s_sub_co_i32 s2, 0, s34
	s_delay_alu instid0(VALU_DEP_1) | instskip(SKIP_1) | instid1(TRANS32_DEP_1)
	v_rcp_iflag_f32_e32 v3, v3
	v_nop
	v_mul_f32_e32 v3, 0x4f7ffffe, v3
	s_delay_alu instid0(VALU_DEP_1) | instskip(NEXT) | instid1(VALU_DEP_1)
	v_cvt_u32_f32_e32 v3, v3
	v_mul_lo_u32 v10, s2, v3
	s_delay_alu instid0(VALU_DEP_1) | instskip(NEXT) | instid1(VALU_DEP_1)
	v_mul_hi_u32 v10, v3, v10
	v_add_nc_u32_e32 v3, v3, v10
	s_delay_alu instid0(VALU_DEP_1) | instskip(NEXT) | instid1(VALU_DEP_1)
	v_mul_hi_u32 v3, v8, v3
	v_mul_lo_u32 v10, v3, s34
	s_delay_alu instid0(VALU_DEP_1) | instskip(NEXT) | instid1(VALU_DEP_1)
	v_dual_add_nc_u32 v11, 1, v3 :: v_dual_sub_nc_u32 v10, v8, v10
	v_subrev_nc_u32_e32 v12, s34, v10
	v_cmp_le_u32_e32 vcc_lo, s34, v10
	s_delay_alu instid0(VALU_DEP_2) | instskip(NEXT) | instid1(VALU_DEP_1)
	v_dual_cndmask_b32 v10, v10, v12 :: v_dual_cndmask_b32 v3, v3, v11
	v_cmp_le_u32_e32 vcc_lo, s34, v10
	s_delay_alu instid0(VALU_DEP_2) | instskip(NEXT) | instid1(VALU_DEP_1)
	v_add_nc_u32_e32 v11, 1, v3
	v_dual_cndmask_b32 v10, v3, v11 :: v_dual_mov_b32 v11, v2
.LBB47_9:                               ;   in Loop: Header=BB47_5 Depth=2
	s_or_b32 exec_lo, exec_lo, s0
	s_delay_alu instid0(VALU_DEP_1)
	v_mul_u64_e32 v[12:13], s[34:35], v[10:11]
	s_load_b64 s[34:35], s[30:31], 0xc8
	s_add_co_i32 s27, s27, -1
	s_wait_xcnt 0x0
	s_add_nc_u64 s[30:31], s[30:31], -8
	s_cmp_gt_u32 s27, 2
	s_delay_alu instid0(VALU_DEP_1) | instskip(SKIP_1) | instid1(VALU_DEP_1)
	v_sub_nc_u64_e32 v[8:9], v[8:9], v[12:13]
	s_wait_kmcnt 0x0
	v_mad_nc_u64_u32 v[6:7], s34, v8, v[6:7]
	s_delay_alu instid0(VALU_DEP_1) | instskip(NEXT) | instid1(VALU_DEP_1)
	v_mad_u32 v3, s35, v8, v7
	v_mad_u32 v7, s34, v9, v3
	s_cbranch_scc0 .LBB47_11
; %bb.10:                               ;   in Loop: Header=BB47_5 Depth=2
	v_mov_b64_e32 v[8:9], v[10:11]
	s_branch .LBB47_5
.LBB47_11:                              ;   in Loop: Header=BB47_4 Depth=1
	s_delay_alu instid0(VALU_DEP_1) | instskip(NEXT) | instid1(VALU_DEP_1)
	v_mul_u64_e32 v[8:9], s[16:17], v[10:11]
	v_lshl_add_u64 v[8:9], v[8:9], 3, s[18:19]
	s_delay_alu instid0(VALU_DEP_1)
	v_lshl_add_u64 v[6:7], v[6:7], 3, v[8:9]
	global_load_b64 v[6:7], v[6:7], off
	s_wait_loadcnt 0x0
	v_cmp_le_i64_e32 vcc_lo, s[6:7], v[6:7]
	v_cmp_ge_i64_e64 s0, s[8:9], v[6:7]
	s_and_b32 s0, vcc_lo, s0
	s_wait_xcnt 0x0
	s_and_saveexec_b32 s34, s0
	s_cbranch_execz .LBB47_3
; %bb.12:                               ;   in Loop: Header=BB47_4 Depth=1
	v_sub_nc_u64_e64 v[6:7], v[6:7], s[6:7]
                                        ; implicit-def: $vgpr8_vgpr9
	s_mov_b32 s0, exec_lo
	s_delay_alu instid0(VALU_DEP_1) | instskip(NEXT) | instid1(VALU_DEP_1)
	v_mul_u64_e32 v[6:7], s[4:5], v[6:7]
	v_or_b32_e32 v3, s21, v7
	s_delay_alu instid0(VALU_DEP_1)
	v_cmpx_ne_u64_e32 0, v[2:3]
	s_xor_b32 s35, exec_lo, s0
	s_cbranch_execz .LBB47_14
; %bb.13:                               ;   in Loop: Header=BB47_4 Depth=1
	s_mov_b32 s27, s26
	v_dual_mov_b32 v11, v2 :: v_dual_ashrrev_i32 v8, 31, v7
	s_add_nc_u64 s[30:31], s[20:21], s[26:27]
	v_mov_b32_e32 v19, v2
	s_xor_b64 s[30:31], s[30:31], s[26:27]
	s_delay_alu instid0(VALU_DEP_2) | instskip(SKIP_3) | instid1(VALU_DEP_1)
	v_mov_b32_e32 v9, v8
	s_cvt_f32_u32 s0, s30
	s_cvt_f32_u32 s2, s31
	s_sub_nc_u64 s[38:39], 0, s[30:31]
	v_add_nc_u64_e32 v[6:7], v[6:7], v[8:9]
	s_delay_alu instid0(SALU_CYCLE_1) | instskip(SKIP_1) | instid1(SALU_CYCLE_2)
	s_fmamk_f32 s0, s2, 0x4f800000, s0
	v_mov_b32_e32 v15, v2
	v_s_rcp_f32 s0, s0
	s_delay_alu instid0(VALU_DEP_2) | instskip(NEXT) | instid1(VALU_DEP_3)
	v_xor_b32_e32 v10, v6, v8
	v_xor_b32_e32 v14, v7, v8
	s_delay_alu instid0(TRANS32_DEP_1) | instskip(NEXT) | instid1(SALU_CYCLE_3)
	s_mul_f32 s0, s0, 0x5f7ffffc
	s_mul_f32 s2, s0, 0x2f800000
	s_delay_alu instid0(SALU_CYCLE_3) | instskip(NEXT) | instid1(SALU_CYCLE_3)
	s_trunc_f32 s2, s2
	s_fmamk_f32 s0, s2, 0xcf800000, s0
	s_cvt_u32_f32 s37, s2
	s_delay_alu instid0(SALU_CYCLE_2) | instskip(NEXT) | instid1(SALU_CYCLE_3)
	s_cvt_u32_f32 s36, s0
	s_mul_u64 s[42:43], s[38:39], s[36:37]
	s_delay_alu instid0(SALU_CYCLE_1)
	s_mul_hi_u32 s45, s36, s43
	s_mul_i32 s44, s36, s43
	s_mul_hi_u32 s2, s36, s42
	s_mul_i32 s27, s37, s42
	s_add_nc_u64 s[44:45], s[2:3], s[44:45]
	s_mul_hi_u32 s0, s37, s42
	s_mul_hi_u32 s41, s37, s43
	s_add_co_u32 s2, s44, s27
	s_add_co_ci_u32 s2, s45, s0
	s_mul_i32 s42, s37, s43
	s_add_co_ci_u32 s43, s41, 0
	s_delay_alu instid0(SALU_CYCLE_1) | instskip(NEXT) | instid1(SALU_CYCLE_1)
	s_add_nc_u64 s[42:43], s[2:3], s[42:43]
	s_add_co_u32 s36, s36, s42
	s_cselect_b32 s0, -1, 0
	s_delay_alu instid0(SALU_CYCLE_1) | instskip(SKIP_1) | instid1(SALU_CYCLE_1)
	s_cmp_lg_u32 s0, 0
	s_add_co_ci_u32 s37, s37, s43
	s_mul_u64 s[38:39], s[38:39], s[36:37]
	s_delay_alu instid0(SALU_CYCLE_1)
	s_mul_hi_u32 s43, s36, s39
	s_mul_i32 s42, s36, s39
	s_mul_hi_u32 s2, s36, s38
	s_mul_i32 s27, s37, s38
	s_add_nc_u64 s[42:43], s[2:3], s[42:43]
	s_mul_hi_u32 s0, s37, s38
	s_mul_hi_u32 s41, s37, s39
	s_add_co_u32 s2, s42, s27
	s_add_co_ci_u32 s2, s43, s0
	s_mul_i32 s38, s37, s39
	s_add_co_ci_u32 s39, s41, 0
	s_delay_alu instid0(SALU_CYCLE_1) | instskip(NEXT) | instid1(SALU_CYCLE_1)
	s_add_nc_u64 s[38:39], s[2:3], s[38:39]
	s_add_co_u32 s0, s36, s38
	s_cselect_b32 s2, -1, 0
	v_mul_hi_u32 v18, v10, s0
	s_cmp_lg_u32 s2, 0
	s_add_co_ci_u32 s2, s37, s39
	s_and_b64 s[36:37], s[0:1], s[24:25]
	v_mul_u64_e32 v[12:13], s[2:3], v[10:11]
	v_mul_u64_e32 v[6:7], s[36:37], v[14:15]
	;; [unrolled: 1-line block ×3, first 2 shown]
	s_delay_alu instid0(VALU_DEP_3) | instskip(NEXT) | instid1(VALU_DEP_1)
	v_add_nc_u64_e32 v[12:13], v[18:19], v[12:13]
	v_add_co_u32 v3, vcc_lo, v12, v6
	s_delay_alu instid0(VALU_DEP_2) | instskip(NEXT) | instid1(VALU_DEP_4)
	v_add_co_ci_u32_e32 v18, vcc_lo, v13, v7, vcc_lo
	v_add_co_ci_u32_e32 v17, vcc_lo, 0, v17, vcc_lo
	s_delay_alu instid0(VALU_DEP_1) | instskip(NEXT) | instid1(VALU_DEP_1)
	v_add_nc_u64_e32 v[6:7], v[18:19], v[16:17]
	v_mul_u64_e32 v[12:13], s[30:31], v[6:7]
	s_delay_alu instid0(VALU_DEP_1) | instskip(NEXT) | instid1(VALU_DEP_2)
	v_sub_nc_u32_e32 v3, v14, v13
	v_sub_co_u32 v9, vcc_lo, v10, v12
	s_delay_alu instid0(VALU_DEP_1) | instskip(NEXT) | instid1(VALU_DEP_3)
	v_sub_co_ci_u32_e64 v14, null, v14, v13, vcc_lo
	v_subrev_co_ci_u32_e64 v3, null, s31, v3, vcc_lo
	s_delay_alu instid0(VALU_DEP_3) | instskip(SKIP_1) | instid1(VALU_DEP_3)
	v_sub_co_u32 v10, s0, v9, s30
	v_add_nc_u64_e32 v[12:13], 1, v[6:7]
	v_subrev_co_ci_u32_e64 v3, null, 0, v3, s0
	s_delay_alu instid0(VALU_DEP_3) | instskip(SKIP_1) | instid1(VALU_DEP_3)
	v_cmp_le_u32_e32 vcc_lo, s30, v10
	v_cndmask_b32_e64 v10, 0, -1, vcc_lo
	v_cmp_le_u32_e32 vcc_lo, s31, v3
	v_cndmask_b32_e64 v11, 0, -1, vcc_lo
	;; [unrolled: 2-line block ×4, first 2 shown]
	v_cmp_eq_u32_e32 vcc_lo, s31, v3
	v_cndmask_b32_e32 v3, v11, v10, vcc_lo
	v_cmp_eq_u32_e32 vcc_lo, s31, v14
	v_add_nc_u64_e32 v[10:11], 2, v[6:7]
	v_cndmask_b32_e32 v9, v15, v9, vcc_lo
	s_delay_alu instid0(VALU_DEP_4) | instskip(NEXT) | instid1(VALU_DEP_3)
	v_cmp_ne_u32_e32 vcc_lo, 0, v3
	v_cndmask_b32_e32 v3, v13, v11, vcc_lo
	s_delay_alu instid0(VALU_DEP_3) | instskip(SKIP_1) | instid1(VALU_DEP_1)
	v_cmp_ne_u32_e64 s0, 0, v9
	v_dual_cndmask_b32 v9, v12, v10, vcc_lo :: v_dual_bitop2_b32 v8, s26, v8 bitop3:0x14
	v_dual_cndmask_b32 v3, v7, v3, s0 :: v_dual_cndmask_b32 v6, v6, v9, s0
	s_delay_alu instid0(VALU_DEP_1) | instskip(NEXT) | instid1(VALU_DEP_2)
	v_dual_mov_b32 v9, v8 :: v_dual_bitop2_b32 v7, v3, v8 bitop3:0x14
	v_xor_b32_e32 v6, v6, v8
	s_delay_alu instid0(VALU_DEP_1)
	v_sub_nc_u64_e32 v[8:9], v[6:7], v[8:9]
                                        ; implicit-def: $vgpr6_vgpr7
.LBB47_14:                              ;   in Loop: Header=BB47_4 Depth=1
	s_and_not1_saveexec_b32 s0, s35
	s_cbranch_execz .LBB47_2
; %bb.15:                               ;   in Loop: Header=BB47_4 Depth=1
	v_cvt_f32_u32_e32 v3, s20
	s_sub_co_i32 s2, 0, s20
	s_delay_alu instid0(VALU_DEP_1) | instskip(SKIP_1) | instid1(TRANS32_DEP_1)
	v_rcp_iflag_f32_e32 v3, v3
	v_nop
	v_mul_f32_e32 v3, 0x4f7ffffe, v3
	s_delay_alu instid0(VALU_DEP_1) | instskip(NEXT) | instid1(VALU_DEP_1)
	v_cvt_u32_f32_e32 v3, v3
	v_mul_lo_u32 v7, s2, v3
	s_delay_alu instid0(VALU_DEP_1) | instskip(NEXT) | instid1(VALU_DEP_1)
	v_mul_hi_u32 v7, v3, v7
	v_add_nc_u32_e32 v3, v3, v7
	s_delay_alu instid0(VALU_DEP_1) | instskip(NEXT) | instid1(VALU_DEP_1)
	v_mul_hi_u32 v3, v6, v3
	v_mul_lo_u32 v7, v3, s20
	s_delay_alu instid0(VALU_DEP_1) | instskip(SKIP_1) | instid1(VALU_DEP_2)
	v_sub_nc_u32_e32 v6, v6, v7
	v_add_nc_u32_e32 v7, 1, v3
	v_subrev_nc_u32_e32 v8, s20, v6
	v_cmp_le_u32_e32 vcc_lo, s20, v6
	s_delay_alu instid0(VALU_DEP_2) | instskip(NEXT) | instid1(VALU_DEP_1)
	v_dual_cndmask_b32 v6, v6, v8 :: v_dual_cndmask_b32 v3, v3, v7
	v_cmp_le_u32_e32 vcc_lo, s20, v6
	s_delay_alu instid0(VALU_DEP_2) | instskip(NEXT) | instid1(VALU_DEP_1)
	v_add_nc_u32_e32 v7, 1, v3
	v_cndmask_b32_e32 v8, v3, v7, vcc_lo
	s_branch .LBB47_2
.LBB47_16:
	s_endpgm
	.section	.rodata,"a",@progbits
	.p2align	6, 0x0
	.amdhsa_kernel _ZN2at4cuda17kernelHistogram1DIdllLi1ELi2ELin1ELNS0_23CUDAHistogramMemoryTypeE1EZNS0_21CUDA_tensor_histogramIdlLb1EEEbNS_6TensorES4_S4_lNS_14AccumulateTypeIT0_Lb1EE4typeES8_NS0_13TensorArgTypeES9_S9_EUllE0_EEvNS0_6detail10TensorInfoIT_T1_EESF_NSC_IKS6_SE_EElS8_S8_SE_T6_
		.amdhsa_group_segment_fixed_size 0
		.amdhsa_private_segment_fixed_size 0
		.amdhsa_kernarg_size 1544
		.amdhsa_user_sgpr_count 2
		.amdhsa_user_sgpr_dispatch_ptr 0
		.amdhsa_user_sgpr_queue_ptr 0
		.amdhsa_user_sgpr_kernarg_segment_ptr 1
		.amdhsa_user_sgpr_dispatch_id 0
		.amdhsa_user_sgpr_kernarg_preload_length 0
		.amdhsa_user_sgpr_kernarg_preload_offset 0
		.amdhsa_user_sgpr_private_segment_size 0
		.amdhsa_wavefront_size32 1
		.amdhsa_uses_dynamic_stack 0
		.amdhsa_enable_private_segment 0
		.amdhsa_system_sgpr_workgroup_id_x 1
		.amdhsa_system_sgpr_workgroup_id_y 0
		.amdhsa_system_sgpr_workgroup_id_z 0
		.amdhsa_system_sgpr_workgroup_info 0
		.amdhsa_system_vgpr_workitem_id 0
		.amdhsa_next_free_vgpr 24
		.amdhsa_next_free_sgpr 51
		.amdhsa_named_barrier_count 0
		.amdhsa_reserve_vcc 1
		.amdhsa_float_round_mode_32 0
		.amdhsa_float_round_mode_16_64 0
		.amdhsa_float_denorm_mode_32 3
		.amdhsa_float_denorm_mode_16_64 3
		.amdhsa_fp16_overflow 0
		.amdhsa_memory_ordered 1
		.amdhsa_forward_progress 1
		.amdhsa_inst_pref_size 16
		.amdhsa_round_robin_scheduling 0
		.amdhsa_exception_fp_ieee_invalid_op 0
		.amdhsa_exception_fp_denorm_src 0
		.amdhsa_exception_fp_ieee_div_zero 0
		.amdhsa_exception_fp_ieee_overflow 0
		.amdhsa_exception_fp_ieee_underflow 0
		.amdhsa_exception_fp_ieee_inexact 0
		.amdhsa_exception_int_div_zero 0
	.end_amdhsa_kernel
	.section	.text._ZN2at4cuda17kernelHistogram1DIdllLi1ELi2ELin1ELNS0_23CUDAHistogramMemoryTypeE1EZNS0_21CUDA_tensor_histogramIdlLb1EEEbNS_6TensorES4_S4_lNS_14AccumulateTypeIT0_Lb1EE4typeES8_NS0_13TensorArgTypeES9_S9_EUllE0_EEvNS0_6detail10TensorInfoIT_T1_EESF_NSC_IKS6_SE_EElS8_S8_SE_T6_,"axG",@progbits,_ZN2at4cuda17kernelHistogram1DIdllLi1ELi2ELin1ELNS0_23CUDAHistogramMemoryTypeE1EZNS0_21CUDA_tensor_histogramIdlLb1EEEbNS_6TensorES4_S4_lNS_14AccumulateTypeIT0_Lb1EE4typeES8_NS0_13TensorArgTypeES9_S9_EUllE0_EEvNS0_6detail10TensorInfoIT_T1_EESF_NSC_IKS6_SE_EElS8_S8_SE_T6_,comdat
.Lfunc_end47:
	.size	_ZN2at4cuda17kernelHistogram1DIdllLi1ELi2ELin1ELNS0_23CUDAHistogramMemoryTypeE1EZNS0_21CUDA_tensor_histogramIdlLb1EEEbNS_6TensorES4_S4_lNS_14AccumulateTypeIT0_Lb1EE4typeES8_NS0_13TensorArgTypeES9_S9_EUllE0_EEvNS0_6detail10TensorInfoIT_T1_EESF_NSC_IKS6_SE_EElS8_S8_SE_T6_, .Lfunc_end47-_ZN2at4cuda17kernelHistogram1DIdllLi1ELi2ELin1ELNS0_23CUDAHistogramMemoryTypeE1EZNS0_21CUDA_tensor_histogramIdlLb1EEEbNS_6TensorES4_S4_lNS_14AccumulateTypeIT0_Lb1EE4typeES8_NS0_13TensorArgTypeES9_S9_EUllE0_EEvNS0_6detail10TensorInfoIT_T1_EESF_NSC_IKS6_SE_EElS8_S8_SE_T6_
                                        ; -- End function
	.set _ZN2at4cuda17kernelHistogram1DIdllLi1ELi2ELin1ELNS0_23CUDAHistogramMemoryTypeE1EZNS0_21CUDA_tensor_histogramIdlLb1EEEbNS_6TensorES4_S4_lNS_14AccumulateTypeIT0_Lb1EE4typeES8_NS0_13TensorArgTypeES9_S9_EUllE0_EEvNS0_6detail10TensorInfoIT_T1_EESF_NSC_IKS6_SE_EElS8_S8_SE_T6_.num_vgpr, 24
	.set _ZN2at4cuda17kernelHistogram1DIdllLi1ELi2ELin1ELNS0_23CUDAHistogramMemoryTypeE1EZNS0_21CUDA_tensor_histogramIdlLb1EEEbNS_6TensorES4_S4_lNS_14AccumulateTypeIT0_Lb1EE4typeES8_NS0_13TensorArgTypeES9_S9_EUllE0_EEvNS0_6detail10TensorInfoIT_T1_EESF_NSC_IKS6_SE_EElS8_S8_SE_T6_.num_agpr, 0
	.set _ZN2at4cuda17kernelHistogram1DIdllLi1ELi2ELin1ELNS0_23CUDAHistogramMemoryTypeE1EZNS0_21CUDA_tensor_histogramIdlLb1EEEbNS_6TensorES4_S4_lNS_14AccumulateTypeIT0_Lb1EE4typeES8_NS0_13TensorArgTypeES9_S9_EUllE0_EEvNS0_6detail10TensorInfoIT_T1_EESF_NSC_IKS6_SE_EElS8_S8_SE_T6_.numbered_sgpr, 51
	.set _ZN2at4cuda17kernelHistogram1DIdllLi1ELi2ELin1ELNS0_23CUDAHistogramMemoryTypeE1EZNS0_21CUDA_tensor_histogramIdlLb1EEEbNS_6TensorES4_S4_lNS_14AccumulateTypeIT0_Lb1EE4typeES8_NS0_13TensorArgTypeES9_S9_EUllE0_EEvNS0_6detail10TensorInfoIT_T1_EESF_NSC_IKS6_SE_EElS8_S8_SE_T6_.num_named_barrier, 0
	.set _ZN2at4cuda17kernelHistogram1DIdllLi1ELi2ELin1ELNS0_23CUDAHistogramMemoryTypeE1EZNS0_21CUDA_tensor_histogramIdlLb1EEEbNS_6TensorES4_S4_lNS_14AccumulateTypeIT0_Lb1EE4typeES8_NS0_13TensorArgTypeES9_S9_EUllE0_EEvNS0_6detail10TensorInfoIT_T1_EESF_NSC_IKS6_SE_EElS8_S8_SE_T6_.private_seg_size, 0
	.set _ZN2at4cuda17kernelHistogram1DIdllLi1ELi2ELin1ELNS0_23CUDAHistogramMemoryTypeE1EZNS0_21CUDA_tensor_histogramIdlLb1EEEbNS_6TensorES4_S4_lNS_14AccumulateTypeIT0_Lb1EE4typeES8_NS0_13TensorArgTypeES9_S9_EUllE0_EEvNS0_6detail10TensorInfoIT_T1_EESF_NSC_IKS6_SE_EElS8_S8_SE_T6_.uses_vcc, 1
	.set _ZN2at4cuda17kernelHistogram1DIdllLi1ELi2ELin1ELNS0_23CUDAHistogramMemoryTypeE1EZNS0_21CUDA_tensor_histogramIdlLb1EEEbNS_6TensorES4_S4_lNS_14AccumulateTypeIT0_Lb1EE4typeES8_NS0_13TensorArgTypeES9_S9_EUllE0_EEvNS0_6detail10TensorInfoIT_T1_EESF_NSC_IKS6_SE_EElS8_S8_SE_T6_.uses_flat_scratch, 0
	.set _ZN2at4cuda17kernelHistogram1DIdllLi1ELi2ELin1ELNS0_23CUDAHistogramMemoryTypeE1EZNS0_21CUDA_tensor_histogramIdlLb1EEEbNS_6TensorES4_S4_lNS_14AccumulateTypeIT0_Lb1EE4typeES8_NS0_13TensorArgTypeES9_S9_EUllE0_EEvNS0_6detail10TensorInfoIT_T1_EESF_NSC_IKS6_SE_EElS8_S8_SE_T6_.has_dyn_sized_stack, 0
	.set _ZN2at4cuda17kernelHistogram1DIdllLi1ELi2ELin1ELNS0_23CUDAHistogramMemoryTypeE1EZNS0_21CUDA_tensor_histogramIdlLb1EEEbNS_6TensorES4_S4_lNS_14AccumulateTypeIT0_Lb1EE4typeES8_NS0_13TensorArgTypeES9_S9_EUllE0_EEvNS0_6detail10TensorInfoIT_T1_EESF_NSC_IKS6_SE_EElS8_S8_SE_T6_.has_recursion, 0
	.set _ZN2at4cuda17kernelHistogram1DIdllLi1ELi2ELin1ELNS0_23CUDAHistogramMemoryTypeE1EZNS0_21CUDA_tensor_histogramIdlLb1EEEbNS_6TensorES4_S4_lNS_14AccumulateTypeIT0_Lb1EE4typeES8_NS0_13TensorArgTypeES9_S9_EUllE0_EEvNS0_6detail10TensorInfoIT_T1_EESF_NSC_IKS6_SE_EElS8_S8_SE_T6_.has_indirect_call, 0
	.section	.AMDGPU.csdata,"",@progbits
; Kernel info:
; codeLenInByte = 2024
; TotalNumSgprs: 53
; NumVgprs: 24
; ScratchSize: 0
; MemoryBound: 0
; FloatMode: 240
; IeeeMode: 1
; LDSByteSize: 0 bytes/workgroup (compile time only)
; SGPRBlocks: 0
; VGPRBlocks: 1
; NumSGPRsForWavesPerEU: 53
; NumVGPRsForWavesPerEU: 24
; NamedBarCnt: 0
; Occupancy: 16
; WaveLimiterHint : 1
; COMPUTE_PGM_RSRC2:SCRATCH_EN: 0
; COMPUTE_PGM_RSRC2:USER_SGPR: 2
; COMPUTE_PGM_RSRC2:TRAP_HANDLER: 0
; COMPUTE_PGM_RSRC2:TGID_X_EN: 1
; COMPUTE_PGM_RSRC2:TGID_Y_EN: 0
; COMPUTE_PGM_RSRC2:TGID_Z_EN: 0
; COMPUTE_PGM_RSRC2:TIDIG_COMP_CNT: 0
	.section	.text._ZN2at4cuda17kernelHistogram1DIfslLi1ELi2ELin1ELNS0_23CUDAHistogramMemoryTypeE0EZNS0_21CUDA_tensor_histogramIfsLb1EEEbNS_6TensorES4_S4_lNS_14AccumulateTypeIT0_Lb1EE4typeES8_NS0_13TensorArgTypeES9_S9_EUllE_EEvNS0_6detail10TensorInfoIT_T1_EESF_NSC_IKS6_SE_EElS8_S8_SE_T6_,"axG",@progbits,_ZN2at4cuda17kernelHistogram1DIfslLi1ELi2ELin1ELNS0_23CUDAHistogramMemoryTypeE0EZNS0_21CUDA_tensor_histogramIfsLb1EEEbNS_6TensorES4_S4_lNS_14AccumulateTypeIT0_Lb1EE4typeES8_NS0_13TensorArgTypeES9_S9_EUllE_EEvNS0_6detail10TensorInfoIT_T1_EESF_NSC_IKS6_SE_EElS8_S8_SE_T6_,comdat
	.protected	_ZN2at4cuda17kernelHistogram1DIfslLi1ELi2ELin1ELNS0_23CUDAHistogramMemoryTypeE0EZNS0_21CUDA_tensor_histogramIfsLb1EEEbNS_6TensorES4_S4_lNS_14AccumulateTypeIT0_Lb1EE4typeES8_NS0_13TensorArgTypeES9_S9_EUllE_EEvNS0_6detail10TensorInfoIT_T1_EESF_NSC_IKS6_SE_EElS8_S8_SE_T6_ ; -- Begin function _ZN2at4cuda17kernelHistogram1DIfslLi1ELi2ELin1ELNS0_23CUDAHistogramMemoryTypeE0EZNS0_21CUDA_tensor_histogramIfsLb1EEEbNS_6TensorES4_S4_lNS_14AccumulateTypeIT0_Lb1EE4typeES8_NS0_13TensorArgTypeES9_S9_EUllE_EEvNS0_6detail10TensorInfoIT_T1_EESF_NSC_IKS6_SE_EElS8_S8_SE_T6_
	.globl	_ZN2at4cuda17kernelHistogram1DIfslLi1ELi2ELin1ELNS0_23CUDAHistogramMemoryTypeE0EZNS0_21CUDA_tensor_histogramIfsLb1EEEbNS_6TensorES4_S4_lNS_14AccumulateTypeIT0_Lb1EE4typeES8_NS0_13TensorArgTypeES9_S9_EUllE_EEvNS0_6detail10TensorInfoIT_T1_EESF_NSC_IKS6_SE_EElS8_S8_SE_T6_
	.p2align	8
	.type	_ZN2at4cuda17kernelHistogram1DIfslLi1ELi2ELin1ELNS0_23CUDAHistogramMemoryTypeE0EZNS0_21CUDA_tensor_histogramIfsLb1EEEbNS_6TensorES4_S4_lNS_14AccumulateTypeIT0_Lb1EE4typeES8_NS0_13TensorArgTypeES9_S9_EUllE_EEvNS0_6detail10TensorInfoIT_T1_EESF_NSC_IKS6_SE_EElS8_S8_SE_T6_,@function
_ZN2at4cuda17kernelHistogram1DIfslLi1ELi2ELin1ELNS0_23CUDAHistogramMemoryTypeE0EZNS0_21CUDA_tensor_histogramIfsLb1EEEbNS_6TensorES4_S4_lNS_14AccumulateTypeIT0_Lb1EE4typeES8_NS0_13TensorArgTypeES9_S9_EUllE_EEvNS0_6detail10TensorInfoIT_T1_EESF_NSC_IKS6_SE_EElS8_S8_SE_T6_: ; @_ZN2at4cuda17kernelHistogram1DIfslLi1ELi2ELin1ELNS0_23CUDAHistogramMemoryTypeE0EZNS0_21CUDA_tensor_histogramIfsLb1EEEbNS_6TensorES4_S4_lNS_14AccumulateTypeIT0_Lb1EE4typeES8_NS0_13TensorArgTypeES9_S9_EUllE_EEvNS0_6detail10TensorInfoIT_T1_EESF_NSC_IKS6_SE_EElS8_S8_SE_T6_
; %bb.0:
	s_clause 0x2
	s_load_b128 s[12:15], s[0:1], 0x0
	s_load_b64 s[16:17], s[0:1], 0x500
	s_load_b256 s[4:11], s[0:1], 0x4e0
	v_mov_b32_e32 v1, 0
	s_add_nc_u64 s[26:27], s[0:1], 0x6a0
	s_mov_b32 s3, exec_lo
                                        ; implicit-def: $sgpr18
	s_wait_kmcnt 0x0
	s_delay_alu instid0(VALU_DEP_1)
	v_cmp_gt_i64_e64 s2, s[14:15], v[0:1]
	v_cmpx_le_i64_e64 s[14:15], v[0:1]
	s_xor_b32 s3, exec_lo, s3
; %bb.1:
	s_load_b32 s18, s[26:27], 0xc
; %bb.2:
	s_or_saveexec_b32 s3, s3
	s_wait_kmcnt 0x0
	v_mov_b32_e32 v4, s18
	s_xor_b32 exec_lo, exec_lo, s3
	s_cbranch_execz .LBB48_12
; %bb.3:
	v_dual_mov_b32 v5, 0 :: v_dual_add_nc_u32 v4, 1, v0
	s_load_b32 s20, s[26:27], 0xc
	s_mov_b32 s22, -1
	s_delay_alu instid0(VALU_DEP_1) | instskip(SKIP_2) | instid1(SALU_CYCLE_1)
	v_max_i64 v[2:3], s[14:15], v[4:5]
	s_wait_kmcnt 0x0
	s_and_b32 s18, s20, 0xffff
	s_cmp_eq_u32 s18, 1
	s_cselect_b32 s19, -1, 0
	s_delay_alu instid0(VALU_DEP_1) | instskip(SKIP_1) | instid1(VALU_DEP_2)
	v_sub_nc_u64_e32 v[6:7], v[2:3], v[0:1]
	v_mov_b64_e32 v[2:3], v[0:1]
	v_cmp_lt_u64_e32 vcc_lo, 1, v[6:7]
	s_and_b32 s21, vcc_lo, s19
	s_delay_alu instid0(SALU_CYCLE_1)
	s_and_saveexec_b32 s19, s21
	s_cbranch_execz .LBB48_7
; %bb.4:
	v_dual_mov_b32 v3, v7 :: v_dual_bitop2_b32 v2, -2, v6 bitop3:0x40
	v_lshl_add_u32 v4, v0, 2, 0
	s_mov_b32 s21, 0
	s_delay_alu instid0(VALU_DEP_2)
	v_mov_b64_e32 v[8:9], v[2:3]
.LBB48_5:                               ; =>This Inner Loop Header: Depth=1
	s_delay_alu instid0(VALU_DEP_1) | instskip(SKIP_4) | instid1(SALU_CYCLE_1)
	v_add_nc_u64_e32 v[8:9], -2, v[8:9]
	ds_store_2addr_b32 v4, v5, v5 offset1:1
	v_add_nc_u32_e32 v4, 8, v4
	v_cmp_eq_u64_e32 vcc_lo, 0, v[8:9]
	s_or_b32 s21, vcc_lo, s21
	s_and_not1_b32 exec_lo, exec_lo, s21
	s_cbranch_execnz .LBB48_5
; %bb.6:
	s_or_b32 exec_lo, exec_lo, s21
	v_cmp_ne_u64_e32 vcc_lo, v[6:7], v[2:3]
	v_add_nc_u64_e32 v[2:3], v[2:3], v[0:1]
	s_or_not1_b32 s22, vcc_lo, exec_lo
.LBB48_7:
	s_or_b32 exec_lo, exec_lo, s19
	v_mov_b32_e32 v4, 1
	s_and_saveexec_b32 s21, s22
	s_cbranch_execz .LBB48_11
; %bb.8:
	s_delay_alu instid0(VALU_DEP_2)
	v_lshl_add_u32 v4, v2, 2, 0
	v_mov_b32_e32 v5, 0
	s_mov_b32 s19, 0
	s_lshl_b32 s23, s18, 2
	s_mov_b32 s22, s19
.LBB48_9:                               ; =>This Inner Loop Header: Depth=1
	v_add_nc_u64_e32 v[2:3], s[18:19], v[2:3]
	ds_store_b32 v4, v5
	v_add_nc_u32_e32 v4, s23, v4
	v_cmp_le_i64_e32 vcc_lo, s[14:15], v[2:3]
	s_or_b32 s22, vcc_lo, s22
	s_delay_alu instid0(SALU_CYCLE_1)
	s_and_not1_b32 exec_lo, exec_lo, s22
	s_cbranch_execnz .LBB48_9
; %bb.10:
	s_or_b32 exec_lo, exec_lo, s22
	v_mov_b32_e32 v4, s20
.LBB48_11:
	s_or_b32 exec_lo, exec_lo, s21
.LBB48_12:
	s_delay_alu instid0(SALU_CYCLE_1)
	s_or_b32 exec_lo, exec_lo, s3
	s_bfe_u32 s3, ttmp6, 0x4000c
	s_and_b32 s18, ttmp6, 15
	s_add_co_i32 s3, s3, 1
	s_getreg_b32 s19, hwreg(HW_REG_IB_STS2, 6, 4)
	s_mul_i32 s3, ttmp9, s3
	v_and_b32_e32 v2, 0xffff, v4
	s_add_co_i32 s18, s18, s3
	s_cmp_eq_u32 s19, 0
	v_mov_b32_e32 v6, 0
	s_cselect_b32 s3, ttmp9, s18
	s_mov_b32 s19, 0
	v_mad_u32 v4, s3, v2, v0
	s_mov_b32 s33, exec_lo
	v_mov_b32_e32 v5, v6
	s_wait_dscnt 0x0
	s_barrier_signal -1
	s_barrier_wait -1
	s_delay_alu instid0(VALU_DEP_1)
	v_cmpx_gt_i64_e64 s[10:11], v[4:5]
	s_cbranch_execz .LBB48_28
; %bb.13:
	s_load_b32 s3, s[0:1], 0x4d8
	s_load_b32 s18, s[26:27], 0x0
	s_clause 0x2
	s_load_b64 s[20:21], s[0:1], 0x5d0
	s_load_b64 s[22:23], s[0:1], 0x410
	;; [unrolled: 1-line block ×3, first 2 shown]
	s_add_nc_u64 s[30:31], s[0:1], 0x340
	v_mov_b32_e32 v9, v6
	s_wait_xcnt 0x0
	s_sub_nc_u64 s[26:27], s[8:9], s[6:7]
	s_mov_b64 s[28:29], 0xffffffff
	s_mov_b32 s46, 0
	s_wait_kmcnt 0x0
	s_cmp_gt_i32 s3, 1
	v_mul_lo_u32 v8, s18, v2
	s_cselect_b32 s44, -1, 0
	s_add_co_i32 s18, s3, -1
	s_add_co_i32 s45, s3, 1
	s_lshl_b64 s[34:35], s[18:19], 3
	s_delay_alu instid0(SALU_CYCLE_1)
	s_add_nc_u64 s[30:31], s[30:31], s[34:35]
	s_ashr_i32 s34, s27, 31
	s_add_nc_u64 s[30:31], s[30:31], 8
	s_branch .LBB48_16
.LBB48_14:                              ;   in Loop: Header=BB48_16 Depth=1
	s_or_b32 exec_lo, exec_lo, s3
	v_mul_u64_e32 v[10:11], s[20:21], v[4:5]
	s_delay_alu instid0(VALU_DEP_2) | instskip(NEXT) | instid1(VALU_DEP_1)
	v_ashrrev_i32_e32 v13, 31, v12
	v_cmp_eq_u64_e32 vcc_lo, s[4:5], v[12:13]
	v_subrev_co_ci_u32_e64 v7, null, 0, v12, vcc_lo
	s_delay_alu instid0(VALU_DEP_1)
	v_lshl_add_u32 v7, v7, 2, 0
	v_lshl_add_u64 v[10:11], v[10:11], 2, s[16:17]
	global_load_b32 v3, v[10:11], off
	s_wait_loadcnt 0x0
	ds_add_f32 v7, v3
.LBB48_15:                              ;   in Loop: Header=BB48_16 Depth=1
	s_wait_xcnt 0x0
	s_or_b32 exec_lo, exec_lo, s38
	v_add_nc_u64_e32 v[4:5], v[4:5], v[8:9]
	s_delay_alu instid0(VALU_DEP_1) | instskip(SKIP_1) | instid1(SALU_CYCLE_1)
	v_cmp_le_i64_e32 vcc_lo, s[10:11], v[4:5]
	s_or_b32 s46, vcc_lo, s46
	s_and_not1_b32 exec_lo, exec_lo, s46
	s_cbranch_execz .LBB48_28
.LBB48_16:                              ; =>This Loop Header: Depth=1
                                        ;     Child Loop BB48_17 Depth 2
	v_mov_b64_e32 v[10:11], 0
	v_mov_b64_e32 v[12:13], v[4:5]
	;; [unrolled: 1-line block ×3, first 2 shown]
	s_and_not1_b32 vcc_lo, exec_lo, s44
	s_mov_b64 s[36:37], s[30:31]
	s_mov_b32 s35, s45
	s_cbranch_vccnz .LBB48_23
.LBB48_17:                              ;   Parent Loop BB48_16 Depth=1
                                        ; =>  This Inner Loop Header: Depth=2
	s_load_b64 s[38:39], s[36:37], 0x0
                                        ; implicit-def: $vgpr14_vgpr15
	s_mov_b32 s3, exec_lo
	s_wait_kmcnt 0x0
	s_delay_alu instid0(VALU_DEP_1) | instskip(NEXT) | instid1(VALU_DEP_1)
	v_or_b32_e32 v7, s39, v13
	v_cmpx_ne_u64_e32 0, v[6:7]
	s_xor_b32 s47, exec_lo, s3
	s_cbranch_execz .LBB48_19
; %bb.18:                               ;   in Loop: Header=BB48_17 Depth=2
	s_ashr_i32 s40, s39, 31
	v_dual_mov_b32 v19, v6 :: v_dual_ashrrev_i32 v14, 31, v13
	s_mov_b32 s41, s40
	v_mov_b32_e32 v27, v6
	s_add_nc_u64 s[42:43], s[38:39], s[40:41]
	s_delay_alu instid0(VALU_DEP_2) | instskip(SKIP_1) | instid1(SALU_CYCLE_1)
	v_mov_b32_e32 v15, v14
	s_xor_b64 s[42:43], s[42:43], s[40:41]
	s_cvt_f32_u32 s3, s42
	s_cvt_f32_u32 s18, s43
	s_sub_nc_u64 s[50:51], 0, s[42:43]
	v_add_nc_u64_e32 v[16:17], v[12:13], v[14:15]
	v_mov_b32_e32 v23, v6
	s_fmamk_f32 s3, s18, 0x4f800000, s3
	s_delay_alu instid0(SALU_CYCLE_3) | instskip(NEXT) | instid1(VALU_DEP_2)
	v_s_rcp_f32 s3, s3
	v_xor_b32_e32 v18, v16, v14
	s_delay_alu instid0(VALU_DEP_3) | instskip(SKIP_1) | instid1(TRANS32_DEP_1)
	v_xor_b32_e32 v22, v17, v14
	v_xor_b32_e32 v14, s40, v14
	s_mul_f32 s3, s3, 0x5f7ffffc
	s_delay_alu instid0(SALU_CYCLE_3) | instskip(NEXT) | instid1(SALU_CYCLE_3)
	s_mul_f32 s18, s3, 0x2f800000
	s_trunc_f32 s18, s18
	s_delay_alu instid0(SALU_CYCLE_3) | instskip(SKIP_1) | instid1(SALU_CYCLE_2)
	s_fmamk_f32 s3, s18, 0xcf800000, s3
	s_cvt_u32_f32 s49, s18
	s_cvt_u32_f32 s48, s3
	s_delay_alu instid0(SALU_CYCLE_3) | instskip(NEXT) | instid1(SALU_CYCLE_1)
	s_mul_u64 s[52:53], s[50:51], s[48:49]
	s_mul_hi_u32 s55, s48, s53
	s_mul_i32 s54, s48, s53
	s_mul_hi_u32 s18, s48, s52
	s_mul_i32 s41, s49, s52
	s_add_nc_u64 s[54:55], s[18:19], s[54:55]
	s_mul_hi_u32 s3, s49, s52
	s_mul_hi_u32 s56, s49, s53
	s_add_co_u32 s18, s54, s41
	s_add_co_ci_u32 s18, s55, s3
	s_mul_i32 s52, s49, s53
	s_add_co_ci_u32 s53, s56, 0
	s_delay_alu instid0(SALU_CYCLE_1) | instskip(NEXT) | instid1(SALU_CYCLE_1)
	s_add_nc_u64 s[52:53], s[18:19], s[52:53]
	s_add_co_u32 s48, s48, s52
	s_cselect_b32 s3, -1, 0
	s_delay_alu instid0(SALU_CYCLE_1) | instskip(SKIP_1) | instid1(SALU_CYCLE_1)
	s_cmp_lg_u32 s3, 0
	s_add_co_ci_u32 s49, s49, s53
	s_mul_u64 s[50:51], s[50:51], s[48:49]
	s_delay_alu instid0(SALU_CYCLE_1)
	s_mul_hi_u32 s53, s48, s51
	s_mul_i32 s52, s48, s51
	s_mul_hi_u32 s18, s48, s50
	s_mul_i32 s41, s49, s50
	s_add_nc_u64 s[52:53], s[18:19], s[52:53]
	s_mul_hi_u32 s3, s49, s50
	s_mul_hi_u32 s54, s49, s51
	s_add_co_u32 s18, s52, s41
	s_add_co_ci_u32 s18, s53, s3
	s_mul_i32 s50, s49, s51
	s_add_co_ci_u32 s51, s54, 0
	s_delay_alu instid0(SALU_CYCLE_1) | instskip(NEXT) | instid1(SALU_CYCLE_1)
	s_add_nc_u64 s[50:51], s[18:19], s[50:51]
	s_add_co_u32 s48, s48, s50
	s_cselect_b32 s3, -1, 0
	v_mul_hi_u32 v26, v18, s48
	s_cmp_lg_u32 s3, 0
	s_add_co_ci_u32 s18, s49, s51
	s_and_b64 s[50:51], s[48:49], s[28:29]
	v_mul_u64_e32 v[20:21], s[18:19], v[18:19]
	v_mul_u64_e32 v[16:17], s[50:51], v[22:23]
	;; [unrolled: 1-line block ×3, first 2 shown]
	s_delay_alu instid0(VALU_DEP_3) | instskip(NEXT) | instid1(VALU_DEP_1)
	v_add_nc_u64_e32 v[20:21], v[26:27], v[20:21]
	v_add_co_u32 v3, vcc_lo, v20, v16
	s_delay_alu instid0(VALU_DEP_2) | instskip(NEXT) | instid1(VALU_DEP_4)
	v_add_co_ci_u32_e32 v26, vcc_lo, v21, v17, vcc_lo
	v_add_co_ci_u32_e32 v25, vcc_lo, 0, v25, vcc_lo
	s_delay_alu instid0(VALU_DEP_1) | instskip(NEXT) | instid1(VALU_DEP_1)
	v_add_nc_u64_e32 v[16:17], v[26:27], v[24:25]
	v_mul_u64_e32 v[20:21], s[42:43], v[16:17]
	s_delay_alu instid0(VALU_DEP_1) | instskip(NEXT) | instid1(VALU_DEP_2)
	v_sub_nc_u32_e32 v3, v22, v21
	v_sub_co_u32 v7, vcc_lo, v18, v20
	s_delay_alu instid0(VALU_DEP_1) | instskip(NEXT) | instid1(VALU_DEP_3)
	v_sub_co_ci_u32_e64 v22, null, v22, v21, vcc_lo
	v_subrev_co_ci_u32_e64 v3, null, s43, v3, vcc_lo
	s_delay_alu instid0(VALU_DEP_3) | instskip(SKIP_1) | instid1(VALU_DEP_3)
	v_sub_co_u32 v15, s3, v7, s42
	v_add_nc_u64_e32 v[20:21], 1, v[16:17]
	v_subrev_co_ci_u32_e64 v3, null, 0, v3, s3
	s_delay_alu instid0(VALU_DEP_3) | instskip(SKIP_1) | instid1(VALU_DEP_3)
	v_cmp_le_u32_e32 vcc_lo, s42, v15
	v_cndmask_b32_e64 v15, 0, -1, vcc_lo
	v_cmp_le_u32_e32 vcc_lo, s43, v3
	v_cndmask_b32_e64 v18, 0, -1, vcc_lo
	;; [unrolled: 2-line block ×4, first 2 shown]
	v_cmp_eq_u32_e32 vcc_lo, s43, v3
	v_cndmask_b32_e32 v3, v18, v15, vcc_lo
	v_cmp_eq_u32_e32 vcc_lo, s43, v22
	v_add_nc_u64_e32 v[18:19], 2, v[16:17]
	v_dual_mov_b32 v15, v14 :: v_dual_cndmask_b32 v7, v23, v7, vcc_lo
	s_delay_alu instid0(VALU_DEP_4) | instskip(NEXT) | instid1(VALU_DEP_2)
	v_cmp_ne_u32_e32 vcc_lo, 0, v3
	v_cmp_ne_u32_e64 s3, 0, v7
	s_delay_alu instid0(VALU_DEP_4) | instskip(NEXT) | instid1(VALU_DEP_1)
	v_dual_cndmask_b32 v3, v21, v19, vcc_lo :: v_dual_cndmask_b32 v7, v20, v18, vcc_lo
	v_cndmask_b32_e64 v7, v16, v7, s3
	s_delay_alu instid0(VALU_DEP_1) | instskip(NEXT) | instid1(VALU_DEP_1)
	v_dual_cndmask_b32 v3, v17, v3, s3 :: v_dual_bitop2_b32 v16, v7, v14 bitop3:0x14
	v_xor_b32_e32 v17, v3, v14
	s_delay_alu instid0(VALU_DEP_1)
	v_sub_nc_u64_e32 v[14:15], v[16:17], v[14:15]
.LBB48_19:                              ;   in Loop: Header=BB48_17 Depth=2
	s_and_not1_saveexec_b32 s3, s47
	s_cbranch_execz .LBB48_21
; %bb.20:                               ;   in Loop: Header=BB48_17 Depth=2
	v_cvt_f32_u32_e32 v3, s38
	s_sub_co_i32 s18, 0, s38
	s_delay_alu instid0(VALU_DEP_1) | instskip(SKIP_1) | instid1(TRANS32_DEP_1)
	v_rcp_iflag_f32_e32 v3, v3
	v_nop
	v_mul_f32_e32 v3, 0x4f7ffffe, v3
	s_delay_alu instid0(VALU_DEP_1) | instskip(NEXT) | instid1(VALU_DEP_1)
	v_cvt_u32_f32_e32 v3, v3
	v_mul_lo_u32 v7, s18, v3
	s_delay_alu instid0(VALU_DEP_1) | instskip(NEXT) | instid1(VALU_DEP_1)
	v_mul_hi_u32 v7, v3, v7
	v_add_nc_u32_e32 v3, v3, v7
	s_delay_alu instid0(VALU_DEP_1) | instskip(NEXT) | instid1(VALU_DEP_1)
	v_mul_hi_u32 v3, v12, v3
	v_mul_lo_u32 v7, v3, s38
	v_add_nc_u32_e32 v14, 1, v3
	s_delay_alu instid0(VALU_DEP_2) | instskip(NEXT) | instid1(VALU_DEP_1)
	v_sub_nc_u32_e32 v7, v12, v7
	v_subrev_nc_u32_e32 v15, s38, v7
	v_cmp_le_u32_e32 vcc_lo, s38, v7
	s_delay_alu instid0(VALU_DEP_2) | instskip(SKIP_1) | instid1(VALU_DEP_2)
	v_dual_cndmask_b32 v7, v7, v15, vcc_lo :: v_dual_mov_b32 v15, v6
	v_cndmask_b32_e32 v3, v3, v14, vcc_lo
	v_cmp_le_u32_e32 vcc_lo, s38, v7
	s_delay_alu instid0(VALU_DEP_2) | instskip(NEXT) | instid1(VALU_DEP_1)
	v_add_nc_u32_e32 v14, 1, v3
	v_cndmask_b32_e32 v14, v3, v14, vcc_lo
.LBB48_21:                              ;   in Loop: Header=BB48_17 Depth=2
	s_or_b32 exec_lo, exec_lo, s3
	s_delay_alu instid0(VALU_DEP_1)
	v_mul_u64_e32 v[16:17], s[38:39], v[14:15]
	s_load_b64 s[38:39], s[36:37], 0xc8
	s_add_co_i32 s35, s35, -1
	s_wait_xcnt 0x0
	s_add_nc_u64 s[36:37], s[36:37], -8
	s_cmp_gt_u32 s35, 2
	s_delay_alu instid0(VALU_DEP_1) | instskip(SKIP_1) | instid1(VALU_DEP_1)
	v_sub_nc_u64_e32 v[12:13], v[12:13], v[16:17]
	s_wait_kmcnt 0x0
	v_mad_nc_u64_u32 v[10:11], s38, v12, v[10:11]
	s_delay_alu instid0(VALU_DEP_1) | instskip(NEXT) | instid1(VALU_DEP_1)
	v_mad_u32 v3, s39, v12, v11
	v_mad_u32 v11, s38, v13, v3
	s_cbranch_scc0 .LBB48_23
; %bb.22:                               ;   in Loop: Header=BB48_17 Depth=2
	v_mov_b64_e32 v[12:13], v[14:15]
	s_branch .LBB48_17
.LBB48_23:                              ;   in Loop: Header=BB48_16 Depth=1
	s_delay_alu instid0(VALU_DEP_1) | instskip(NEXT) | instid1(VALU_DEP_1)
	v_mul_u64_e32 v[12:13], s[22:23], v[14:15]
	v_lshl_add_u64 v[12:13], v[12:13], 1, s[24:25]
	s_delay_alu instid0(VALU_DEP_1) | instskip(SKIP_4) | instid1(VALU_DEP_1)
	v_lshl_add_u64 v[10:11], v[10:11], 1, v[12:13]
	global_load_u16 v3, v[10:11], off
	s_wait_loadcnt 0x0
	s_wait_xcnt 0x0
	v_bfe_i32 v10, v3, 0, 16
	v_ashrrev_i32_e32 v11, 31, v10
	s_delay_alu instid0(VALU_DEP_1) | instskip(SKIP_2) | instid1(SALU_CYCLE_1)
	v_cmp_le_i64_e32 vcc_lo, s[6:7], v[10:11]
	v_cmp_ge_i64_e64 s3, s[8:9], v[10:11]
	s_and_b32 s3, vcc_lo, s3
	s_and_saveexec_b32 s38, s3
	s_cbranch_execz .LBB48_15
; %bb.24:                               ;   in Loop: Header=BB48_16 Depth=1
	v_sub_nc_u64_e64 v[10:11], v[10:11], s[6:7]
                                        ; implicit-def: $vgpr12_vgpr13
	s_mov_b32 s3, exec_lo
	s_delay_alu instid0(VALU_DEP_1) | instskip(NEXT) | instid1(VALU_DEP_1)
	v_mul_u64_e32 v[10:11], s[4:5], v[10:11]
	v_or_b32_e32 v7, s27, v11
	s_delay_alu instid0(VALU_DEP_1)
	v_cmpx_ne_u64_e32 0, v[6:7]
	s_xor_b32 s39, exec_lo, s3
	s_cbranch_execz .LBB48_26
; %bb.25:                               ;   in Loop: Header=BB48_16 Depth=1
	s_mov_b32 s35, s34
	v_dual_mov_b32 v15, v6 :: v_dual_ashrrev_i32 v12, 31, v11
	s_add_nc_u64 s[36:37], s[26:27], s[34:35]
	v_mov_b32_e32 v23, v6
	s_xor_b64 s[36:37], s[36:37], s[34:35]
	s_delay_alu instid0(VALU_DEP_2) | instskip(SKIP_3) | instid1(VALU_DEP_1)
	v_mov_b32_e32 v13, v12
	s_cvt_f32_u32 s3, s36
	s_cvt_f32_u32 s18, s37
	s_sub_nc_u64 s[42:43], 0, s[36:37]
	v_add_nc_u64_e32 v[10:11], v[10:11], v[12:13]
	s_delay_alu instid0(SALU_CYCLE_1) | instskip(SKIP_1) | instid1(SALU_CYCLE_2)
	s_fmamk_f32 s3, s18, 0x4f800000, s3
	v_mov_b32_e32 v19, v6
	v_s_rcp_f32 s3, s3
	s_delay_alu instid0(VALU_DEP_2) | instskip(NEXT) | instid1(VALU_DEP_3)
	v_xor_b32_e32 v14, v10, v12
	v_xor_b32_e32 v18, v11, v12
	;; [unrolled: 1-line block ×3, first 2 shown]
	s_delay_alu instid0(TRANS32_DEP_1) | instskip(NEXT) | instid1(SALU_CYCLE_3)
	s_mul_f32 s3, s3, 0x5f7ffffc
	s_mul_f32 s18, s3, 0x2f800000
	s_delay_alu instid0(SALU_CYCLE_3) | instskip(NEXT) | instid1(SALU_CYCLE_3)
	s_trunc_f32 s18, s18
	s_fmamk_f32 s3, s18, 0xcf800000, s3
	s_cvt_u32_f32 s41, s18
	s_delay_alu instid0(SALU_CYCLE_2) | instskip(NEXT) | instid1(SALU_CYCLE_3)
	s_cvt_u32_f32 s40, s3
	s_mul_u64 s[48:49], s[42:43], s[40:41]
	s_delay_alu instid0(SALU_CYCLE_1)
	s_mul_hi_u32 s51, s40, s49
	s_mul_i32 s50, s40, s49
	s_mul_hi_u32 s18, s40, s48
	s_mul_i32 s35, s41, s48
	s_add_nc_u64 s[50:51], s[18:19], s[50:51]
	s_mul_hi_u32 s3, s41, s48
	s_mul_hi_u32 s47, s41, s49
	s_add_co_u32 s18, s50, s35
	s_add_co_ci_u32 s18, s51, s3
	s_mul_i32 s48, s41, s49
	s_add_co_ci_u32 s49, s47, 0
	s_delay_alu instid0(SALU_CYCLE_1) | instskip(NEXT) | instid1(SALU_CYCLE_1)
	s_add_nc_u64 s[48:49], s[18:19], s[48:49]
	s_add_co_u32 s40, s40, s48
	s_cselect_b32 s3, -1, 0
	s_delay_alu instid0(SALU_CYCLE_1) | instskip(SKIP_1) | instid1(SALU_CYCLE_1)
	s_cmp_lg_u32 s3, 0
	s_add_co_ci_u32 s41, s41, s49
	s_mul_u64 s[42:43], s[42:43], s[40:41]
	s_delay_alu instid0(SALU_CYCLE_1)
	s_mul_hi_u32 s49, s40, s43
	s_mul_i32 s48, s40, s43
	s_mul_hi_u32 s18, s40, s42
	s_mul_i32 s35, s41, s42
	s_add_nc_u64 s[48:49], s[18:19], s[48:49]
	s_mul_hi_u32 s3, s41, s42
	s_mul_hi_u32 s47, s41, s43
	s_add_co_u32 s18, s48, s35
	s_add_co_ci_u32 s18, s49, s3
	s_mul_i32 s42, s41, s43
	s_add_co_ci_u32 s43, s47, 0
	s_delay_alu instid0(SALU_CYCLE_1) | instskip(NEXT) | instid1(SALU_CYCLE_1)
	s_add_nc_u64 s[42:43], s[18:19], s[42:43]
	s_add_co_u32 s40, s40, s42
	s_cselect_b32 s3, -1, 0
	v_mul_hi_u32 v22, v14, s40
	s_cmp_lg_u32 s3, 0
	s_add_co_ci_u32 s18, s41, s43
	s_and_b64 s[42:43], s[40:41], s[28:29]
	v_mul_u64_e32 v[16:17], s[18:19], v[14:15]
	v_mul_u64_e32 v[10:11], s[42:43], v[18:19]
	;; [unrolled: 1-line block ×3, first 2 shown]
	s_delay_alu instid0(VALU_DEP_3) | instskip(NEXT) | instid1(VALU_DEP_1)
	v_add_nc_u64_e32 v[16:17], v[22:23], v[16:17]
	v_add_co_u32 v3, vcc_lo, v16, v10
	s_delay_alu instid0(VALU_DEP_2) | instskip(NEXT) | instid1(VALU_DEP_4)
	v_add_co_ci_u32_e32 v22, vcc_lo, v17, v11, vcc_lo
	v_add_co_ci_u32_e32 v21, vcc_lo, 0, v21, vcc_lo
	s_delay_alu instid0(VALU_DEP_1) | instskip(NEXT) | instid1(VALU_DEP_1)
	v_add_nc_u64_e32 v[10:11], v[22:23], v[20:21]
	v_mul_u64_e32 v[16:17], s[36:37], v[10:11]
	s_delay_alu instid0(VALU_DEP_1) | instskip(NEXT) | instid1(VALU_DEP_2)
	v_sub_nc_u32_e32 v3, v18, v17
	v_sub_co_u32 v7, vcc_lo, v14, v16
	s_delay_alu instid0(VALU_DEP_1) | instskip(NEXT) | instid1(VALU_DEP_3)
	v_sub_co_ci_u32_e64 v18, null, v18, v17, vcc_lo
	v_subrev_co_ci_u32_e64 v3, null, s37, v3, vcc_lo
	s_delay_alu instid0(VALU_DEP_3) | instskip(SKIP_1) | instid1(VALU_DEP_3)
	v_sub_co_u32 v13, s3, v7, s36
	v_add_nc_u64_e32 v[16:17], 1, v[10:11]
	v_subrev_co_ci_u32_e64 v3, null, 0, v3, s3
	s_delay_alu instid0(VALU_DEP_3) | instskip(SKIP_1) | instid1(VALU_DEP_3)
	v_cmp_le_u32_e32 vcc_lo, s36, v13
	v_cndmask_b32_e64 v13, 0, -1, vcc_lo
	v_cmp_le_u32_e32 vcc_lo, s37, v3
	v_cndmask_b32_e64 v14, 0, -1, vcc_lo
	;; [unrolled: 2-line block ×4, first 2 shown]
	v_cmp_eq_u32_e32 vcc_lo, s37, v3
	v_cndmask_b32_e32 v3, v14, v13, vcc_lo
	v_cmp_eq_u32_e32 vcc_lo, s37, v18
	v_add_nc_u64_e32 v[14:15], 2, v[10:11]
	v_dual_mov_b32 v13, v12 :: v_dual_cndmask_b32 v7, v19, v7, vcc_lo
	s_delay_alu instid0(VALU_DEP_4) | instskip(NEXT) | instid1(VALU_DEP_2)
	v_cmp_ne_u32_e32 vcc_lo, 0, v3
	v_cmp_ne_u32_e64 s3, 0, v7
	s_delay_alu instid0(VALU_DEP_4) | instskip(NEXT) | instid1(VALU_DEP_1)
	v_dual_cndmask_b32 v3, v17, v15, vcc_lo :: v_dual_cndmask_b32 v7, v16, v14, vcc_lo
	v_cndmask_b32_e64 v3, v11, v3, s3
	s_delay_alu instid0(VALU_DEP_1) | instskip(NEXT) | instid1(VALU_DEP_1)
	v_dual_cndmask_b32 v7, v10, v7, s3 :: v_dual_bitop2_b32 v11, v3, v12 bitop3:0x14
	v_xor_b32_e32 v10, v7, v12
	s_delay_alu instid0(VALU_DEP_1)
	v_sub_nc_u64_e32 v[12:13], v[10:11], v[12:13]
                                        ; implicit-def: $vgpr10_vgpr11
.LBB48_26:                              ;   in Loop: Header=BB48_16 Depth=1
	s_and_not1_saveexec_b32 s3, s39
	s_cbranch_execz .LBB48_14
; %bb.27:                               ;   in Loop: Header=BB48_16 Depth=1
	v_cvt_f32_u32_e32 v3, s26
	s_sub_co_i32 s18, 0, s26
	s_delay_alu instid0(VALU_DEP_1) | instskip(SKIP_1) | instid1(TRANS32_DEP_1)
	v_rcp_iflag_f32_e32 v3, v3
	v_nop
	v_mul_f32_e32 v3, 0x4f7ffffe, v3
	s_delay_alu instid0(VALU_DEP_1) | instskip(NEXT) | instid1(VALU_DEP_1)
	v_cvt_u32_f32_e32 v3, v3
	v_mul_lo_u32 v7, s18, v3
	s_delay_alu instid0(VALU_DEP_1) | instskip(NEXT) | instid1(VALU_DEP_1)
	v_mul_hi_u32 v7, v3, v7
	v_add_nc_u32_e32 v3, v3, v7
	s_delay_alu instid0(VALU_DEP_1) | instskip(NEXT) | instid1(VALU_DEP_1)
	v_mul_hi_u32 v3, v10, v3
	v_mul_lo_u32 v7, v3, s26
	s_delay_alu instid0(VALU_DEP_1) | instskip(SKIP_1) | instid1(VALU_DEP_2)
	v_sub_nc_u32_e32 v7, v10, v7
	v_add_nc_u32_e32 v10, 1, v3
	v_subrev_nc_u32_e32 v11, s26, v7
	v_cmp_le_u32_e32 vcc_lo, s26, v7
	s_delay_alu instid0(VALU_DEP_2) | instskip(NEXT) | instid1(VALU_DEP_4)
	v_cndmask_b32_e32 v7, v7, v11, vcc_lo
	v_cndmask_b32_e32 v3, v3, v10, vcc_lo
	s_delay_alu instid0(VALU_DEP_2) | instskip(NEXT) | instid1(VALU_DEP_2)
	v_cmp_le_u32_e32 vcc_lo, s26, v7
	v_add_nc_u32_e32 v10, 1, v3
	s_delay_alu instid0(VALU_DEP_1)
	v_cndmask_b32_e32 v12, v3, v10, vcc_lo
	s_branch .LBB48_14
.LBB48_28:
	s_or_b32 exec_lo, exec_lo, s33
	s_load_b64 s[0:1], s[0:1], 0xd0
; %bb.29:
	s_wait_dscnt 0x0
	s_barrier_signal -1
	s_barrier_wait -1
	s_and_saveexec_b32 s3, s2
	s_cbranch_execz .LBB48_32
; %bb.30:
	v_dual_mov_b32 v3, 0 :: v_dual_lshlrev_b32 v9, 2, v2
	s_wait_kmcnt 0x0
	v_mul_u64_e32 v[4:5], s[0:1], v[0:1]
	v_lshl_add_u32 v8, v0, 2, 0
	s_delay_alu instid0(VALU_DEP_3) | instskip(SKIP_1) | instid1(VALU_DEP_3)
	v_mul_u64_e32 v[6:7], s[0:1], v[2:3]
	s_mov_b32 s0, 0
	v_lshl_add_u64 v[4:5], v[4:5], 2, s[12:13]
	s_delay_alu instid0(VALU_DEP_2)
	v_lshlrev_b64_e32 v[6:7], 2, v[6:7]
.LBB48_31:                              ; =>This Inner Loop Header: Depth=1
	ds_load_b32 v10, v8
	v_add_nc_u64_e32 v[0:1], v[0:1], v[2:3]
	v_add_nc_u32_e32 v8, v8, v9
	s_delay_alu instid0(VALU_DEP_2)
	v_cmp_le_i64_e32 vcc_lo, s[14:15], v[0:1]
	s_or_b32 s0, vcc_lo, s0
	s_wait_dscnt 0x0
	global_atomic_add_f32 v[4:5], v10, off scope:SCOPE_DEV
	s_wait_xcnt 0x0
	v_add_nc_u64_e32 v[4:5], v[4:5], v[6:7]
	s_and_not1_b32 exec_lo, exec_lo, s0
	s_cbranch_execnz .LBB48_31
.LBB48_32:
	s_endpgm
	.section	.rodata,"a",@progbits
	.p2align	6, 0x0
	.amdhsa_kernel _ZN2at4cuda17kernelHistogram1DIfslLi1ELi2ELin1ELNS0_23CUDAHistogramMemoryTypeE0EZNS0_21CUDA_tensor_histogramIfsLb1EEEbNS_6TensorES4_S4_lNS_14AccumulateTypeIT0_Lb1EE4typeES8_NS0_13TensorArgTypeES9_S9_EUllE_EEvNS0_6detail10TensorInfoIT_T1_EESF_NSC_IKS6_SE_EElS8_S8_SE_T6_
		.amdhsa_group_segment_fixed_size 0
		.amdhsa_private_segment_fixed_size 0
		.amdhsa_kernarg_size 1952
		.amdhsa_user_sgpr_count 2
		.amdhsa_user_sgpr_dispatch_ptr 0
		.amdhsa_user_sgpr_queue_ptr 0
		.amdhsa_user_sgpr_kernarg_segment_ptr 1
		.amdhsa_user_sgpr_dispatch_id 0
		.amdhsa_user_sgpr_kernarg_preload_length 0
		.amdhsa_user_sgpr_kernarg_preload_offset 0
		.amdhsa_user_sgpr_private_segment_size 0
		.amdhsa_wavefront_size32 1
		.amdhsa_uses_dynamic_stack 0
		.amdhsa_enable_private_segment 0
		.amdhsa_system_sgpr_workgroup_id_x 1
		.amdhsa_system_sgpr_workgroup_id_y 0
		.amdhsa_system_sgpr_workgroup_id_z 0
		.amdhsa_system_sgpr_workgroup_info 0
		.amdhsa_system_vgpr_workitem_id 0
		.amdhsa_next_free_vgpr 28
		.amdhsa_next_free_sgpr 57
		.amdhsa_named_barrier_count 0
		.amdhsa_reserve_vcc 1
		.amdhsa_float_round_mode_32 0
		.amdhsa_float_round_mode_16_64 0
		.amdhsa_float_denorm_mode_32 3
		.amdhsa_float_denorm_mode_16_64 3
		.amdhsa_fp16_overflow 0
		.amdhsa_memory_ordered 1
		.amdhsa_forward_progress 1
		.amdhsa_inst_pref_size 20
		.amdhsa_round_robin_scheduling 0
		.amdhsa_exception_fp_ieee_invalid_op 0
		.amdhsa_exception_fp_denorm_src 0
		.amdhsa_exception_fp_ieee_div_zero 0
		.amdhsa_exception_fp_ieee_overflow 0
		.amdhsa_exception_fp_ieee_underflow 0
		.amdhsa_exception_fp_ieee_inexact 0
		.amdhsa_exception_int_div_zero 0
	.end_amdhsa_kernel
	.section	.text._ZN2at4cuda17kernelHistogram1DIfslLi1ELi2ELin1ELNS0_23CUDAHistogramMemoryTypeE0EZNS0_21CUDA_tensor_histogramIfsLb1EEEbNS_6TensorES4_S4_lNS_14AccumulateTypeIT0_Lb1EE4typeES8_NS0_13TensorArgTypeES9_S9_EUllE_EEvNS0_6detail10TensorInfoIT_T1_EESF_NSC_IKS6_SE_EElS8_S8_SE_T6_,"axG",@progbits,_ZN2at4cuda17kernelHistogram1DIfslLi1ELi2ELin1ELNS0_23CUDAHistogramMemoryTypeE0EZNS0_21CUDA_tensor_histogramIfsLb1EEEbNS_6TensorES4_S4_lNS_14AccumulateTypeIT0_Lb1EE4typeES8_NS0_13TensorArgTypeES9_S9_EUllE_EEvNS0_6detail10TensorInfoIT_T1_EESF_NSC_IKS6_SE_EElS8_S8_SE_T6_,comdat
.Lfunc_end48:
	.size	_ZN2at4cuda17kernelHistogram1DIfslLi1ELi2ELin1ELNS0_23CUDAHistogramMemoryTypeE0EZNS0_21CUDA_tensor_histogramIfsLb1EEEbNS_6TensorES4_S4_lNS_14AccumulateTypeIT0_Lb1EE4typeES8_NS0_13TensorArgTypeES9_S9_EUllE_EEvNS0_6detail10TensorInfoIT_T1_EESF_NSC_IKS6_SE_EElS8_S8_SE_T6_, .Lfunc_end48-_ZN2at4cuda17kernelHistogram1DIfslLi1ELi2ELin1ELNS0_23CUDAHistogramMemoryTypeE0EZNS0_21CUDA_tensor_histogramIfsLb1EEEbNS_6TensorES4_S4_lNS_14AccumulateTypeIT0_Lb1EE4typeES8_NS0_13TensorArgTypeES9_S9_EUllE_EEvNS0_6detail10TensorInfoIT_T1_EESF_NSC_IKS6_SE_EElS8_S8_SE_T6_
                                        ; -- End function
	.set _ZN2at4cuda17kernelHistogram1DIfslLi1ELi2ELin1ELNS0_23CUDAHistogramMemoryTypeE0EZNS0_21CUDA_tensor_histogramIfsLb1EEEbNS_6TensorES4_S4_lNS_14AccumulateTypeIT0_Lb1EE4typeES8_NS0_13TensorArgTypeES9_S9_EUllE_EEvNS0_6detail10TensorInfoIT_T1_EESF_NSC_IKS6_SE_EElS8_S8_SE_T6_.num_vgpr, 28
	.set _ZN2at4cuda17kernelHistogram1DIfslLi1ELi2ELin1ELNS0_23CUDAHistogramMemoryTypeE0EZNS0_21CUDA_tensor_histogramIfsLb1EEEbNS_6TensorES4_S4_lNS_14AccumulateTypeIT0_Lb1EE4typeES8_NS0_13TensorArgTypeES9_S9_EUllE_EEvNS0_6detail10TensorInfoIT_T1_EESF_NSC_IKS6_SE_EElS8_S8_SE_T6_.num_agpr, 0
	.set _ZN2at4cuda17kernelHistogram1DIfslLi1ELi2ELin1ELNS0_23CUDAHistogramMemoryTypeE0EZNS0_21CUDA_tensor_histogramIfsLb1EEEbNS_6TensorES4_S4_lNS_14AccumulateTypeIT0_Lb1EE4typeES8_NS0_13TensorArgTypeES9_S9_EUllE_EEvNS0_6detail10TensorInfoIT_T1_EESF_NSC_IKS6_SE_EElS8_S8_SE_T6_.numbered_sgpr, 57
	.set _ZN2at4cuda17kernelHistogram1DIfslLi1ELi2ELin1ELNS0_23CUDAHistogramMemoryTypeE0EZNS0_21CUDA_tensor_histogramIfsLb1EEEbNS_6TensorES4_S4_lNS_14AccumulateTypeIT0_Lb1EE4typeES8_NS0_13TensorArgTypeES9_S9_EUllE_EEvNS0_6detail10TensorInfoIT_T1_EESF_NSC_IKS6_SE_EElS8_S8_SE_T6_.num_named_barrier, 0
	.set _ZN2at4cuda17kernelHistogram1DIfslLi1ELi2ELin1ELNS0_23CUDAHistogramMemoryTypeE0EZNS0_21CUDA_tensor_histogramIfsLb1EEEbNS_6TensorES4_S4_lNS_14AccumulateTypeIT0_Lb1EE4typeES8_NS0_13TensorArgTypeES9_S9_EUllE_EEvNS0_6detail10TensorInfoIT_T1_EESF_NSC_IKS6_SE_EElS8_S8_SE_T6_.private_seg_size, 0
	.set _ZN2at4cuda17kernelHistogram1DIfslLi1ELi2ELin1ELNS0_23CUDAHistogramMemoryTypeE0EZNS0_21CUDA_tensor_histogramIfsLb1EEEbNS_6TensorES4_S4_lNS_14AccumulateTypeIT0_Lb1EE4typeES8_NS0_13TensorArgTypeES9_S9_EUllE_EEvNS0_6detail10TensorInfoIT_T1_EESF_NSC_IKS6_SE_EElS8_S8_SE_T6_.uses_vcc, 1
	.set _ZN2at4cuda17kernelHistogram1DIfslLi1ELi2ELin1ELNS0_23CUDAHistogramMemoryTypeE0EZNS0_21CUDA_tensor_histogramIfsLb1EEEbNS_6TensorES4_S4_lNS_14AccumulateTypeIT0_Lb1EE4typeES8_NS0_13TensorArgTypeES9_S9_EUllE_EEvNS0_6detail10TensorInfoIT_T1_EESF_NSC_IKS6_SE_EElS8_S8_SE_T6_.uses_flat_scratch, 0
	.set _ZN2at4cuda17kernelHistogram1DIfslLi1ELi2ELin1ELNS0_23CUDAHistogramMemoryTypeE0EZNS0_21CUDA_tensor_histogramIfsLb1EEEbNS_6TensorES4_S4_lNS_14AccumulateTypeIT0_Lb1EE4typeES8_NS0_13TensorArgTypeES9_S9_EUllE_EEvNS0_6detail10TensorInfoIT_T1_EESF_NSC_IKS6_SE_EElS8_S8_SE_T6_.has_dyn_sized_stack, 0
	.set _ZN2at4cuda17kernelHistogram1DIfslLi1ELi2ELin1ELNS0_23CUDAHistogramMemoryTypeE0EZNS0_21CUDA_tensor_histogramIfsLb1EEEbNS_6TensorES4_S4_lNS_14AccumulateTypeIT0_Lb1EE4typeES8_NS0_13TensorArgTypeES9_S9_EUllE_EEvNS0_6detail10TensorInfoIT_T1_EESF_NSC_IKS6_SE_EElS8_S8_SE_T6_.has_recursion, 0
	.set _ZN2at4cuda17kernelHistogram1DIfslLi1ELi2ELin1ELNS0_23CUDAHistogramMemoryTypeE0EZNS0_21CUDA_tensor_histogramIfsLb1EEEbNS_6TensorES4_S4_lNS_14AccumulateTypeIT0_Lb1EE4typeES8_NS0_13TensorArgTypeES9_S9_EUllE_EEvNS0_6detail10TensorInfoIT_T1_EESF_NSC_IKS6_SE_EElS8_S8_SE_T6_.has_indirect_call, 0
	.section	.AMDGPU.csdata,"",@progbits
; Kernel info:
; codeLenInByte = 2544
; TotalNumSgprs: 59
; NumVgprs: 28
; ScratchSize: 0
; MemoryBound: 0
; FloatMode: 240
; IeeeMode: 1
; LDSByteSize: 0 bytes/workgroup (compile time only)
; SGPRBlocks: 0
; VGPRBlocks: 1
; NumSGPRsForWavesPerEU: 59
; NumVGPRsForWavesPerEU: 28
; NamedBarCnt: 0
; Occupancy: 16
; WaveLimiterHint : 1
; COMPUTE_PGM_RSRC2:SCRATCH_EN: 0
; COMPUTE_PGM_RSRC2:USER_SGPR: 2
; COMPUTE_PGM_RSRC2:TRAP_HANDLER: 0
; COMPUTE_PGM_RSRC2:TGID_X_EN: 1
; COMPUTE_PGM_RSRC2:TGID_Y_EN: 0
; COMPUTE_PGM_RSRC2:TGID_Z_EN: 0
; COMPUTE_PGM_RSRC2:TIDIG_COMP_CNT: 0
	.section	.text._ZN2at4cuda17kernelHistogram1DIfslLi1ELi2ELin1ELNS0_23CUDAHistogramMemoryTypeE1EZNS0_21CUDA_tensor_histogramIfsLb1EEEbNS_6TensorES4_S4_lNS_14AccumulateTypeIT0_Lb1EE4typeES8_NS0_13TensorArgTypeES9_S9_EUllE_EEvNS0_6detail10TensorInfoIT_T1_EESF_NSC_IKS6_SE_EElS8_S8_SE_T6_,"axG",@progbits,_ZN2at4cuda17kernelHistogram1DIfslLi1ELi2ELin1ELNS0_23CUDAHistogramMemoryTypeE1EZNS0_21CUDA_tensor_histogramIfsLb1EEEbNS_6TensorES4_S4_lNS_14AccumulateTypeIT0_Lb1EE4typeES8_NS0_13TensorArgTypeES9_S9_EUllE_EEvNS0_6detail10TensorInfoIT_T1_EESF_NSC_IKS6_SE_EElS8_S8_SE_T6_,comdat
	.protected	_ZN2at4cuda17kernelHistogram1DIfslLi1ELi2ELin1ELNS0_23CUDAHistogramMemoryTypeE1EZNS0_21CUDA_tensor_histogramIfsLb1EEEbNS_6TensorES4_S4_lNS_14AccumulateTypeIT0_Lb1EE4typeES8_NS0_13TensorArgTypeES9_S9_EUllE_EEvNS0_6detail10TensorInfoIT_T1_EESF_NSC_IKS6_SE_EElS8_S8_SE_T6_ ; -- Begin function _ZN2at4cuda17kernelHistogram1DIfslLi1ELi2ELin1ELNS0_23CUDAHistogramMemoryTypeE1EZNS0_21CUDA_tensor_histogramIfsLb1EEEbNS_6TensorES4_S4_lNS_14AccumulateTypeIT0_Lb1EE4typeES8_NS0_13TensorArgTypeES9_S9_EUllE_EEvNS0_6detail10TensorInfoIT_T1_EESF_NSC_IKS6_SE_EElS8_S8_SE_T6_
	.globl	_ZN2at4cuda17kernelHistogram1DIfslLi1ELi2ELin1ELNS0_23CUDAHistogramMemoryTypeE1EZNS0_21CUDA_tensor_histogramIfsLb1EEEbNS_6TensorES4_S4_lNS_14AccumulateTypeIT0_Lb1EE4typeES8_NS0_13TensorArgTypeES9_S9_EUllE_EEvNS0_6detail10TensorInfoIT_T1_EESF_NSC_IKS6_SE_EElS8_S8_SE_T6_
	.p2align	8
	.type	_ZN2at4cuda17kernelHistogram1DIfslLi1ELi2ELin1ELNS0_23CUDAHistogramMemoryTypeE1EZNS0_21CUDA_tensor_histogramIfsLb1EEEbNS_6TensorES4_S4_lNS_14AccumulateTypeIT0_Lb1EE4typeES8_NS0_13TensorArgTypeES9_S9_EUllE_EEvNS0_6detail10TensorInfoIT_T1_EESF_NSC_IKS6_SE_EElS8_S8_SE_T6_,@function
_ZN2at4cuda17kernelHistogram1DIfslLi1ELi2ELin1ELNS0_23CUDAHistogramMemoryTypeE1EZNS0_21CUDA_tensor_histogramIfsLb1EEEbNS_6TensorES4_S4_lNS_14AccumulateTypeIT0_Lb1EE4typeES8_NS0_13TensorArgTypeES9_S9_EUllE_EEvNS0_6detail10TensorInfoIT_T1_EESF_NSC_IKS6_SE_EElS8_S8_SE_T6_: ; @_ZN2at4cuda17kernelHistogram1DIfslLi1ELi2ELin1ELNS0_23CUDAHistogramMemoryTypeE1EZNS0_21CUDA_tensor_histogramIfsLb1EEEbNS_6TensorES4_S4_lNS_14AccumulateTypeIT0_Lb1EE4typeES8_NS0_13TensorArgTypeES9_S9_EUllE_EEvNS0_6detail10TensorInfoIT_T1_EESF_NSC_IKS6_SE_EElS8_S8_SE_T6_
; %bb.0:
	s_load_b32 s2, s[0:1], 0x6ac
	s_bfe_u32 s12, ttmp6, 0x4000c
	s_load_b256 s[4:11], s[0:1], 0x4e0
	s_add_co_i32 s12, s12, 1
	s_and_b32 s3, ttmp6, 15
	s_mul_i32 s12, ttmp9, s12
	s_getreg_b32 s13, hwreg(HW_REG_IB_STS2, 6, 4)
	s_add_co_i32 s3, s3, s12
	v_mov_b32_e32 v2, 0
	s_mov_b32 s12, exec_lo
	s_delay_alu instid0(VALU_DEP_1) | instskip(SKIP_4) | instid1(SALU_CYCLE_1)
	v_mov_b32_e32 v1, v2
	s_wait_kmcnt 0x0
	s_and_b32 s2, s2, 0xffff
	s_cmp_eq_u32 s13, 0
	s_cselect_b32 s3, ttmp9, s3
	v_mad_u32 v0, s3, s2, v0
	s_mov_b32 s3, 0
	s_delay_alu instid0(VALU_DEP_1)
	v_cmpx_gt_i64_e64 s[10:11], v[0:1]
	s_cbranch_execz .LBB49_16
; %bb.1:
	s_clause 0x1
	s_load_b64 s[12:13], s[0:1], 0x5d0
	s_load_b32 s33, s[0:1], 0x4d8
	s_add_nc_u64 s[24:25], s[0:1], 0x6a0
	s_load_b32 s26, s[24:25], 0x0
	s_clause 0x4
	s_load_b64 s[14:15], s[0:1], 0x500
	s_load_b64 s[16:17], s[0:1], 0x0
	;; [unrolled: 1-line block ×5, first 2 shown]
	s_add_nc_u64 s[30:31], s[0:1], 0x340
	s_wait_xcnt 0x0
	s_sub_nc_u64 s[24:25], s[8:9], s[6:7]
	s_mov_b32 s27, s3
	s_mov_b64 s[28:29], 0xffffffff
	s_mov_b32 s44, 0
	s_wait_kmcnt 0x0
	s_mul_i32 s26, s26, s2
	s_cmp_gt_i32 s33, 1
	s_cselect_b32 s1, -1, 0
	s_add_co_i32 s2, s33, -1
	s_add_co_i32 s33, s33, 1
	s_lshl_b64 s[34:35], s[2:3], 3
	s_delay_alu instid0(SALU_CYCLE_1)
	s_add_nc_u64 s[34:35], s[30:31], s[34:35]
	s_ashr_i32 s30, s25, 31
	s_add_nc_u64 s[34:35], s[34:35], 8
	s_branch .LBB49_4
.LBB49_2:                               ;   in Loop: Header=BB49_4 Depth=1
	s_or_b32 exec_lo, exec_lo, s0
	v_mul_u64_e32 v[4:5], s[12:13], v[0:1]
	s_delay_alu instid0(VALU_DEP_2) | instskip(NEXT) | instid1(VALU_DEP_2)
	v_ashrrev_i32_e32 v7, 31, v6
	v_lshl_add_u64 v[4:5], v[4:5], 2, s[14:15]
	global_load_b32 v3, v[4:5], off
	s_wait_xcnt 0x0
	v_mov_b32_e32 v5, s3
	v_cmp_eq_u64_e32 vcc_lo, s[4:5], v[6:7]
	v_cndmask_b32_e64 v4, 0, 1, vcc_lo
	s_delay_alu instid0(VALU_DEP_1) | instskip(NEXT) | instid1(VALU_DEP_1)
	v_sub_nc_u64_e32 v[4:5], v[6:7], v[4:5]
	v_mul_u64_e32 v[4:5], s[18:19], v[4:5]
	s_delay_alu instid0(VALU_DEP_1)
	v_lshl_add_u64 v[4:5], v[4:5], 2, s[16:17]
	s_wait_loadcnt 0x0
	global_atomic_add_f32 v[4:5], v3, off scope:SCOPE_DEV
.LBB49_3:                               ;   in Loop: Header=BB49_4 Depth=1
	s_wait_xcnt 0x0
	s_or_b32 exec_lo, exec_lo, s38
	v_add_nc_u64_e32 v[0:1], s[26:27], v[0:1]
	s_delay_alu instid0(VALU_DEP_1) | instskip(SKIP_1) | instid1(SALU_CYCLE_1)
	v_cmp_le_i64_e32 vcc_lo, s[10:11], v[0:1]
	s_or_b32 s44, vcc_lo, s44
	s_and_not1_b32 exec_lo, exec_lo, s44
	s_cbranch_execz .LBB49_16
.LBB49_4:                               ; =>This Loop Header: Depth=1
                                        ;     Child Loop BB49_5 Depth 2
	v_mov_b64_e32 v[4:5], 0
	v_mov_b64_e32 v[6:7], v[0:1]
	v_mov_b64_e32 v[8:9], v[0:1]
	s_and_not1_b32 vcc_lo, exec_lo, s1
	s_mov_b64 s[36:37], s[34:35]
	s_mov_b32 s31, s33
	s_cbranch_vccnz .LBB49_11
.LBB49_5:                               ;   Parent Loop BB49_4 Depth=1
                                        ; =>  This Inner Loop Header: Depth=2
	s_load_b64 s[38:39], s[36:37], 0x0
                                        ; implicit-def: $vgpr8_vgpr9
	s_mov_b32 s0, exec_lo
	s_wait_kmcnt 0x0
	s_delay_alu instid0(VALU_DEP_1) | instskip(NEXT) | instid1(VALU_DEP_1)
	v_or_b32_e32 v3, s39, v7
	v_cmpx_ne_u64_e32 0, v[2:3]
	s_xor_b32 s45, exec_lo, s0
	s_cbranch_execz .LBB49_7
; %bb.6:                                ;   in Loop: Header=BB49_5 Depth=2
	s_ashr_i32 s40, s39, 31
	v_dual_mov_b32 v13, v2 :: v_dual_ashrrev_i32 v8, 31, v7
	s_mov_b32 s41, s40
	s_delay_alu instid0(SALU_CYCLE_1) | instskip(NEXT) | instid1(VALU_DEP_1)
	s_add_nc_u64 s[42:43], s[38:39], s[40:41]
	v_mov_b32_e32 v9, v8
	s_xor_b64 s[42:43], s[42:43], s[40:41]
	s_delay_alu instid0(SALU_CYCLE_1)
	s_cvt_f32_u32 s0, s42
	s_cvt_f32_u32 s2, s43
	s_sub_nc_u64 s[48:49], 0, s[42:43]
	v_add_nc_u64_e32 v[10:11], v[6:7], v[8:9]
	v_mov_b32_e32 v17, v2
	s_fmamk_f32 s0, s2, 0x4f800000, s0
	s_delay_alu instid0(SALU_CYCLE_3) | instskip(NEXT) | instid1(VALU_DEP_2)
	v_s_rcp_f32 s0, s0
	v_xor_b32_e32 v12, v10, v8
	s_delay_alu instid0(VALU_DEP_3) | instskip(SKIP_1) | instid1(TRANS32_DEP_1)
	v_dual_mov_b32 v21, v2 :: v_dual_bitop2_b32 v16, v11, v8 bitop3:0x14
	v_xor_b32_e32 v8, s40, v8
	s_mul_f32 s0, s0, 0x5f7ffffc
	s_delay_alu instid0(SALU_CYCLE_3) | instskip(NEXT) | instid1(SALU_CYCLE_3)
	s_mul_f32 s2, s0, 0x2f800000
	s_trunc_f32 s2, s2
	s_delay_alu instid0(SALU_CYCLE_3) | instskip(SKIP_1) | instid1(SALU_CYCLE_2)
	s_fmamk_f32 s0, s2, 0xcf800000, s0
	s_cvt_u32_f32 s47, s2
	s_cvt_u32_f32 s46, s0
	s_delay_alu instid0(SALU_CYCLE_3) | instskip(NEXT) | instid1(SALU_CYCLE_1)
	s_mul_u64 s[50:51], s[48:49], s[46:47]
	s_mul_hi_u32 s53, s46, s51
	s_mul_i32 s52, s46, s51
	s_mul_hi_u32 s2, s46, s50
	s_mul_i32 s41, s47, s50
	s_add_nc_u64 s[52:53], s[2:3], s[52:53]
	s_mul_hi_u32 s0, s47, s50
	s_mul_hi_u32 s54, s47, s51
	s_add_co_u32 s2, s52, s41
	s_add_co_ci_u32 s2, s53, s0
	s_mul_i32 s50, s47, s51
	s_add_co_ci_u32 s51, s54, 0
	s_delay_alu instid0(SALU_CYCLE_1) | instskip(NEXT) | instid1(SALU_CYCLE_1)
	s_add_nc_u64 s[50:51], s[2:3], s[50:51]
	s_add_co_u32 s46, s46, s50
	s_cselect_b32 s0, -1, 0
	s_delay_alu instid0(SALU_CYCLE_1) | instskip(SKIP_1) | instid1(SALU_CYCLE_1)
	s_cmp_lg_u32 s0, 0
	s_add_co_ci_u32 s47, s47, s51
	s_mul_u64 s[48:49], s[48:49], s[46:47]
	s_delay_alu instid0(SALU_CYCLE_1)
	s_mul_hi_u32 s51, s46, s49
	s_mul_i32 s50, s46, s49
	s_mul_hi_u32 s2, s46, s48
	s_mul_i32 s41, s47, s48
	s_add_nc_u64 s[50:51], s[2:3], s[50:51]
	s_mul_hi_u32 s0, s47, s48
	s_mul_hi_u32 s52, s47, s49
	s_add_co_u32 s2, s50, s41
	s_add_co_ci_u32 s2, s51, s0
	s_mul_i32 s48, s47, s49
	s_add_co_ci_u32 s49, s52, 0
	s_delay_alu instid0(SALU_CYCLE_1) | instskip(NEXT) | instid1(SALU_CYCLE_1)
	s_add_nc_u64 s[48:49], s[2:3], s[48:49]
	s_add_co_u32 s0, s46, s48
	s_cselect_b32 s2, -1, 0
	v_mul_hi_u32 v20, v12, s0
	s_cmp_lg_u32 s2, 0
	s_add_co_ci_u32 s2, s47, s49
	s_and_b64 s[46:47], s[0:1], s[28:29]
	v_mul_u64_e32 v[14:15], s[2:3], v[12:13]
	v_mul_u64_e32 v[10:11], s[46:47], v[16:17]
	;; [unrolled: 1-line block ×3, first 2 shown]
	s_delay_alu instid0(VALU_DEP_3) | instskip(NEXT) | instid1(VALU_DEP_1)
	v_add_nc_u64_e32 v[14:15], v[20:21], v[14:15]
	v_add_co_u32 v3, vcc_lo, v14, v10
	s_delay_alu instid0(VALU_DEP_2) | instskip(NEXT) | instid1(VALU_DEP_4)
	v_add_co_ci_u32_e32 v20, vcc_lo, v15, v11, vcc_lo
	v_add_co_ci_u32_e32 v19, vcc_lo, 0, v19, vcc_lo
	s_delay_alu instid0(VALU_DEP_1) | instskip(NEXT) | instid1(VALU_DEP_1)
	v_add_nc_u64_e32 v[10:11], v[20:21], v[18:19]
	v_mul_u64_e32 v[14:15], s[42:43], v[10:11]
	s_delay_alu instid0(VALU_DEP_1) | instskip(NEXT) | instid1(VALU_DEP_2)
	v_sub_nc_u32_e32 v3, v16, v15
	v_sub_co_u32 v9, vcc_lo, v12, v14
	s_delay_alu instid0(VALU_DEP_1) | instskip(NEXT) | instid1(VALU_DEP_3)
	v_sub_co_ci_u32_e64 v16, null, v16, v15, vcc_lo
	v_subrev_co_ci_u32_e64 v3, null, s43, v3, vcc_lo
	s_delay_alu instid0(VALU_DEP_3) | instskip(SKIP_1) | instid1(VALU_DEP_3)
	v_sub_co_u32 v12, s0, v9, s42
	v_add_nc_u64_e32 v[14:15], 1, v[10:11]
	v_subrev_co_ci_u32_e64 v3, null, 0, v3, s0
	s_delay_alu instid0(VALU_DEP_3) | instskip(SKIP_1) | instid1(VALU_DEP_3)
	v_cmp_le_u32_e32 vcc_lo, s42, v12
	v_cndmask_b32_e64 v12, 0, -1, vcc_lo
	v_cmp_le_u32_e32 vcc_lo, s43, v3
	v_cndmask_b32_e64 v13, 0, -1, vcc_lo
	;; [unrolled: 2-line block ×4, first 2 shown]
	v_cmp_eq_u32_e32 vcc_lo, s43, v3
	v_cndmask_b32_e32 v3, v13, v12, vcc_lo
	v_cmp_eq_u32_e32 vcc_lo, s43, v16
	v_add_nc_u64_e32 v[12:13], 2, v[10:11]
	v_cndmask_b32_e32 v9, v17, v9, vcc_lo
	s_delay_alu instid0(VALU_DEP_4) | instskip(NEXT) | instid1(VALU_DEP_2)
	v_cmp_ne_u32_e32 vcc_lo, 0, v3
	v_cmp_ne_u32_e64 s0, 0, v9
	s_delay_alu instid0(VALU_DEP_4) | instskip(NEXT) | instid1(VALU_DEP_1)
	v_dual_cndmask_b32 v3, v15, v13, vcc_lo :: v_dual_cndmask_b32 v9, v14, v12, vcc_lo
	v_dual_cndmask_b32 v10, v10, v9, s0 :: v_dual_mov_b32 v9, v8
	s_delay_alu instid0(VALU_DEP_1) | instskip(NEXT) | instid1(VALU_DEP_1)
	v_dual_cndmask_b32 v3, v11, v3, s0 :: v_dual_bitop2_b32 v10, v10, v8 bitop3:0x14
	v_xor_b32_e32 v11, v3, v8
	s_delay_alu instid0(VALU_DEP_1)
	v_sub_nc_u64_e32 v[8:9], v[10:11], v[8:9]
.LBB49_7:                               ;   in Loop: Header=BB49_5 Depth=2
	s_and_not1_saveexec_b32 s0, s45
	s_cbranch_execz .LBB49_9
; %bb.8:                                ;   in Loop: Header=BB49_5 Depth=2
	v_cvt_f32_u32_e32 v3, s38
	s_sub_co_i32 s2, 0, s38
	s_delay_alu instid0(VALU_DEP_1) | instskip(SKIP_1) | instid1(TRANS32_DEP_1)
	v_rcp_iflag_f32_e32 v3, v3
	v_nop
	v_mul_f32_e32 v3, 0x4f7ffffe, v3
	s_delay_alu instid0(VALU_DEP_1) | instskip(NEXT) | instid1(VALU_DEP_1)
	v_cvt_u32_f32_e32 v3, v3
	v_mul_lo_u32 v8, s2, v3
	s_delay_alu instid0(VALU_DEP_1) | instskip(NEXT) | instid1(VALU_DEP_1)
	v_mul_hi_u32 v8, v3, v8
	v_add_nc_u32_e32 v3, v3, v8
	s_delay_alu instid0(VALU_DEP_1) | instskip(NEXT) | instid1(VALU_DEP_1)
	v_mul_hi_u32 v3, v6, v3
	v_mul_lo_u32 v8, v3, s38
	s_delay_alu instid0(VALU_DEP_1) | instskip(NEXT) | instid1(VALU_DEP_1)
	v_dual_add_nc_u32 v9, 1, v3 :: v_dual_sub_nc_u32 v8, v6, v8
	v_subrev_nc_u32_e32 v10, s38, v8
	v_cmp_le_u32_e32 vcc_lo, s38, v8
	s_delay_alu instid0(VALU_DEP_2) | instskip(NEXT) | instid1(VALU_DEP_1)
	v_dual_cndmask_b32 v8, v8, v10 :: v_dual_cndmask_b32 v3, v3, v9
	v_cmp_le_u32_e32 vcc_lo, s38, v8
	s_delay_alu instid0(VALU_DEP_2) | instskip(NEXT) | instid1(VALU_DEP_1)
	v_add_nc_u32_e32 v9, 1, v3
	v_dual_cndmask_b32 v8, v3, v9 :: v_dual_mov_b32 v9, v2
.LBB49_9:                               ;   in Loop: Header=BB49_5 Depth=2
	s_or_b32 exec_lo, exec_lo, s0
	s_delay_alu instid0(VALU_DEP_1)
	v_mul_u64_e32 v[10:11], s[38:39], v[8:9]
	s_load_b64 s[38:39], s[36:37], 0xc8
	s_add_co_i32 s31, s31, -1
	s_wait_xcnt 0x0
	s_add_nc_u64 s[36:37], s[36:37], -8
	s_cmp_gt_u32 s31, 2
	s_delay_alu instid0(VALU_DEP_1) | instskip(SKIP_1) | instid1(VALU_DEP_1)
	v_sub_nc_u64_e32 v[6:7], v[6:7], v[10:11]
	s_wait_kmcnt 0x0
	v_mad_nc_u64_u32 v[4:5], s38, v6, v[4:5]
	s_delay_alu instid0(VALU_DEP_1) | instskip(NEXT) | instid1(VALU_DEP_1)
	v_mad_u32 v3, s39, v6, v5
	v_mad_u32 v5, s38, v7, v3
	s_cbranch_scc0 .LBB49_11
; %bb.10:                               ;   in Loop: Header=BB49_5 Depth=2
	v_mov_b64_e32 v[6:7], v[8:9]
	s_branch .LBB49_5
.LBB49_11:                              ;   in Loop: Header=BB49_4 Depth=1
	s_delay_alu instid0(VALU_DEP_1) | instskip(NEXT) | instid1(VALU_DEP_1)
	v_mul_u64_e32 v[6:7], s[20:21], v[8:9]
	v_lshl_add_u64 v[6:7], v[6:7], 1, s[22:23]
	s_delay_alu instid0(VALU_DEP_1) | instskip(SKIP_4) | instid1(VALU_DEP_1)
	v_lshl_add_u64 v[4:5], v[4:5], 1, v[6:7]
	global_load_u16 v3, v[4:5], off
	s_wait_loadcnt 0x0
	s_wait_xcnt 0x0
	v_bfe_i32 v4, v3, 0, 16
	v_ashrrev_i32_e32 v5, 31, v4
	s_delay_alu instid0(VALU_DEP_1) | instskip(SKIP_2) | instid1(SALU_CYCLE_1)
	v_cmp_le_i64_e32 vcc_lo, s[6:7], v[4:5]
	v_cmp_ge_i64_e64 s0, s[8:9], v[4:5]
	s_and_b32 s0, vcc_lo, s0
	s_and_saveexec_b32 s38, s0
	s_cbranch_execz .LBB49_3
; %bb.12:                               ;   in Loop: Header=BB49_4 Depth=1
	v_sub_nc_u64_e64 v[4:5], v[4:5], s[6:7]
                                        ; implicit-def: $vgpr6_vgpr7
	s_mov_b32 s0, exec_lo
	s_delay_alu instid0(VALU_DEP_1) | instskip(NEXT) | instid1(VALU_DEP_1)
	v_mul_u64_e32 v[4:5], s[4:5], v[4:5]
	v_or_b32_e32 v3, s25, v5
	s_delay_alu instid0(VALU_DEP_1)
	v_cmpx_ne_u64_e32 0, v[2:3]
	s_xor_b32 s39, exec_lo, s0
	s_cbranch_execz .LBB49_14
; %bb.13:                               ;   in Loop: Header=BB49_4 Depth=1
	s_mov_b32 s31, s30
	v_dual_mov_b32 v9, v2 :: v_dual_ashrrev_i32 v6, 31, v5
	s_add_nc_u64 s[36:37], s[24:25], s[30:31]
	s_delay_alu instid0(SALU_CYCLE_1) | instskip(NEXT) | instid1(VALU_DEP_1)
	s_xor_b64 s[36:37], s[36:37], s[30:31]
	v_mov_b32_e32 v7, v6
	s_cvt_f32_u32 s0, s36
	s_cvt_f32_u32 s2, s37
	s_sub_nc_u64 s[42:43], 0, s[36:37]
	s_delay_alu instid0(VALU_DEP_1) | instskip(NEXT) | instid1(SALU_CYCLE_1)
	v_add_nc_u64_e32 v[4:5], v[4:5], v[6:7]
	s_fmamk_f32 s0, s2, 0x4f800000, s0
	v_mov_b32_e32 v13, v2
	s_delay_alu instid0(SALU_CYCLE_2) | instskip(NEXT) | instid1(VALU_DEP_2)
	v_s_rcp_f32 s0, s0
	v_xor_b32_e32 v8, v4, v6
	s_delay_alu instid0(VALU_DEP_3) | instskip(NEXT) | instid1(TRANS32_DEP_1)
	v_dual_mov_b32 v17, v2 :: v_dual_bitop2_b32 v12, v5, v6 bitop3:0x14
	s_mul_f32 s0, s0, 0x5f7ffffc
	s_delay_alu instid0(SALU_CYCLE_3) | instskip(NEXT) | instid1(SALU_CYCLE_3)
	s_mul_f32 s2, s0, 0x2f800000
	s_trunc_f32 s2, s2
	s_delay_alu instid0(SALU_CYCLE_3) | instskip(SKIP_1) | instid1(SALU_CYCLE_2)
	s_fmamk_f32 s0, s2, 0xcf800000, s0
	s_cvt_u32_f32 s41, s2
	s_cvt_u32_f32 s40, s0
	s_delay_alu instid0(SALU_CYCLE_3) | instskip(NEXT) | instid1(SALU_CYCLE_1)
	s_mul_u64 s[46:47], s[42:43], s[40:41]
	s_mul_hi_u32 s49, s40, s47
	s_mul_i32 s48, s40, s47
	s_mul_hi_u32 s2, s40, s46
	s_mul_i32 s31, s41, s46
	s_add_nc_u64 s[48:49], s[2:3], s[48:49]
	s_mul_hi_u32 s0, s41, s46
	s_mul_hi_u32 s45, s41, s47
	s_add_co_u32 s2, s48, s31
	s_add_co_ci_u32 s2, s49, s0
	s_mul_i32 s46, s41, s47
	s_add_co_ci_u32 s47, s45, 0
	s_delay_alu instid0(SALU_CYCLE_1) | instskip(NEXT) | instid1(SALU_CYCLE_1)
	s_add_nc_u64 s[46:47], s[2:3], s[46:47]
	s_add_co_u32 s40, s40, s46
	s_cselect_b32 s0, -1, 0
	s_delay_alu instid0(SALU_CYCLE_1) | instskip(SKIP_1) | instid1(SALU_CYCLE_1)
	s_cmp_lg_u32 s0, 0
	s_add_co_ci_u32 s41, s41, s47
	s_mul_u64 s[42:43], s[42:43], s[40:41]
	s_delay_alu instid0(SALU_CYCLE_1)
	s_mul_hi_u32 s47, s40, s43
	s_mul_i32 s46, s40, s43
	s_mul_hi_u32 s2, s40, s42
	s_mul_i32 s31, s41, s42
	s_add_nc_u64 s[46:47], s[2:3], s[46:47]
	s_mul_hi_u32 s0, s41, s42
	s_mul_hi_u32 s45, s41, s43
	s_add_co_u32 s2, s46, s31
	s_add_co_ci_u32 s2, s47, s0
	s_mul_i32 s42, s41, s43
	s_add_co_ci_u32 s43, s45, 0
	s_delay_alu instid0(SALU_CYCLE_1) | instskip(NEXT) | instid1(SALU_CYCLE_1)
	s_add_nc_u64 s[42:43], s[2:3], s[42:43]
	s_add_co_u32 s0, s40, s42
	s_cselect_b32 s2, -1, 0
	v_mul_hi_u32 v16, v8, s0
	s_cmp_lg_u32 s2, 0
	s_add_co_ci_u32 s2, s41, s43
	s_and_b64 s[40:41], s[0:1], s[28:29]
	v_mul_u64_e32 v[10:11], s[2:3], v[8:9]
	v_mul_u64_e32 v[4:5], s[40:41], v[12:13]
	;; [unrolled: 1-line block ×3, first 2 shown]
	s_delay_alu instid0(VALU_DEP_3) | instskip(NEXT) | instid1(VALU_DEP_1)
	v_add_nc_u64_e32 v[10:11], v[16:17], v[10:11]
	v_add_co_u32 v3, vcc_lo, v10, v4
	s_delay_alu instid0(VALU_DEP_2) | instskip(NEXT) | instid1(VALU_DEP_4)
	v_add_co_ci_u32_e32 v16, vcc_lo, v11, v5, vcc_lo
	v_add_co_ci_u32_e32 v15, vcc_lo, 0, v15, vcc_lo
	s_delay_alu instid0(VALU_DEP_1) | instskip(NEXT) | instid1(VALU_DEP_1)
	v_add_nc_u64_e32 v[4:5], v[16:17], v[14:15]
	v_mul_u64_e32 v[10:11], s[36:37], v[4:5]
	s_delay_alu instid0(VALU_DEP_1) | instskip(NEXT) | instid1(VALU_DEP_2)
	v_sub_nc_u32_e32 v3, v12, v11
	v_sub_co_u32 v7, vcc_lo, v8, v10
	s_delay_alu instid0(VALU_DEP_1) | instskip(NEXT) | instid1(VALU_DEP_3)
	v_sub_co_ci_u32_e64 v12, null, v12, v11, vcc_lo
	v_subrev_co_ci_u32_e64 v3, null, s37, v3, vcc_lo
	s_delay_alu instid0(VALU_DEP_3) | instskip(SKIP_1) | instid1(VALU_DEP_3)
	v_sub_co_u32 v8, s0, v7, s36
	v_add_nc_u64_e32 v[10:11], 1, v[4:5]
	v_subrev_co_ci_u32_e64 v3, null, 0, v3, s0
	s_delay_alu instid0(VALU_DEP_3) | instskip(SKIP_1) | instid1(VALU_DEP_3)
	v_cmp_le_u32_e32 vcc_lo, s36, v8
	v_cndmask_b32_e64 v8, 0, -1, vcc_lo
	v_cmp_le_u32_e32 vcc_lo, s37, v3
	v_cndmask_b32_e64 v9, 0, -1, vcc_lo
	;; [unrolled: 2-line block ×4, first 2 shown]
	v_cmp_eq_u32_e32 vcc_lo, s37, v3
	v_cndmask_b32_e32 v3, v9, v8, vcc_lo
	v_cmp_eq_u32_e32 vcc_lo, s37, v12
	v_add_nc_u64_e32 v[8:9], 2, v[4:5]
	v_cndmask_b32_e32 v7, v13, v7, vcc_lo
	s_delay_alu instid0(VALU_DEP_4) | instskip(NEXT) | instid1(VALU_DEP_3)
	v_cmp_ne_u32_e32 vcc_lo, 0, v3
	v_cndmask_b32_e32 v3, v11, v9, vcc_lo
	s_delay_alu instid0(VALU_DEP_3) | instskip(SKIP_1) | instid1(VALU_DEP_2)
	v_cmp_ne_u32_e64 s0, 0, v7
	v_dual_cndmask_b32 v7, v10, v8, vcc_lo :: v_dual_bitop2_b32 v6, s30, v6 bitop3:0x14
	v_cndmask_b32_e64 v3, v5, v3, s0
	s_delay_alu instid0(VALU_DEP_2) | instskip(NEXT) | instid1(VALU_DEP_2)
	v_dual_cndmask_b32 v4, v4, v7, s0 :: v_dual_mov_b32 v7, v6
	v_xor_b32_e32 v5, v3, v6
	s_delay_alu instid0(VALU_DEP_2) | instskip(NEXT) | instid1(VALU_DEP_1)
	v_xor_b32_e32 v4, v4, v6
	v_sub_nc_u64_e32 v[6:7], v[4:5], v[6:7]
                                        ; implicit-def: $vgpr4_vgpr5
.LBB49_14:                              ;   in Loop: Header=BB49_4 Depth=1
	s_and_not1_saveexec_b32 s0, s39
	s_cbranch_execz .LBB49_2
; %bb.15:                               ;   in Loop: Header=BB49_4 Depth=1
	v_cvt_f32_u32_e32 v3, s24
	s_sub_co_i32 s2, 0, s24
	s_delay_alu instid0(VALU_DEP_1) | instskip(SKIP_1) | instid1(TRANS32_DEP_1)
	v_rcp_iflag_f32_e32 v3, v3
	v_nop
	v_mul_f32_e32 v3, 0x4f7ffffe, v3
	s_delay_alu instid0(VALU_DEP_1) | instskip(NEXT) | instid1(VALU_DEP_1)
	v_cvt_u32_f32_e32 v3, v3
	v_mul_lo_u32 v5, s2, v3
	s_delay_alu instid0(VALU_DEP_1) | instskip(NEXT) | instid1(VALU_DEP_1)
	v_mul_hi_u32 v5, v3, v5
	v_add_nc_u32_e32 v3, v3, v5
	s_delay_alu instid0(VALU_DEP_1) | instskip(NEXT) | instid1(VALU_DEP_1)
	v_mul_hi_u32 v3, v4, v3
	v_mul_lo_u32 v5, v3, s24
	s_delay_alu instid0(VALU_DEP_1) | instskip(NEXT) | instid1(VALU_DEP_1)
	v_dual_sub_nc_u32 v4, v4, v5 :: v_dual_add_nc_u32 v5, 1, v3
	v_subrev_nc_u32_e32 v6, s24, v4
	v_cmp_le_u32_e32 vcc_lo, s24, v4
	s_delay_alu instid0(VALU_DEP_2) | instskip(NEXT) | instid1(VALU_DEP_1)
	v_dual_cndmask_b32 v4, v4, v6 :: v_dual_cndmask_b32 v3, v3, v5
	v_cmp_le_u32_e32 vcc_lo, s24, v4
	s_delay_alu instid0(VALU_DEP_2) | instskip(NEXT) | instid1(VALU_DEP_1)
	v_add_nc_u32_e32 v5, 1, v3
	v_cndmask_b32_e32 v6, v3, v5, vcc_lo
	s_branch .LBB49_2
.LBB49_16:
	s_endpgm
	.section	.rodata,"a",@progbits
	.p2align	6, 0x0
	.amdhsa_kernel _ZN2at4cuda17kernelHistogram1DIfslLi1ELi2ELin1ELNS0_23CUDAHistogramMemoryTypeE1EZNS0_21CUDA_tensor_histogramIfsLb1EEEbNS_6TensorES4_S4_lNS_14AccumulateTypeIT0_Lb1EE4typeES8_NS0_13TensorArgTypeES9_S9_EUllE_EEvNS0_6detail10TensorInfoIT_T1_EESF_NSC_IKS6_SE_EElS8_S8_SE_T6_
		.amdhsa_group_segment_fixed_size 0
		.amdhsa_private_segment_fixed_size 0
		.amdhsa_kernarg_size 1952
		.amdhsa_user_sgpr_count 2
		.amdhsa_user_sgpr_dispatch_ptr 0
		.amdhsa_user_sgpr_queue_ptr 0
		.amdhsa_user_sgpr_kernarg_segment_ptr 1
		.amdhsa_user_sgpr_dispatch_id 0
		.amdhsa_user_sgpr_kernarg_preload_length 0
		.amdhsa_user_sgpr_kernarg_preload_offset 0
		.amdhsa_user_sgpr_private_segment_size 0
		.amdhsa_wavefront_size32 1
		.amdhsa_uses_dynamic_stack 0
		.amdhsa_enable_private_segment 0
		.amdhsa_system_sgpr_workgroup_id_x 1
		.amdhsa_system_sgpr_workgroup_id_y 0
		.amdhsa_system_sgpr_workgroup_id_z 0
		.amdhsa_system_sgpr_workgroup_info 0
		.amdhsa_system_vgpr_workitem_id 0
		.amdhsa_next_free_vgpr 22
		.amdhsa_next_free_sgpr 55
		.amdhsa_named_barrier_count 0
		.amdhsa_reserve_vcc 1
		.amdhsa_float_round_mode_32 0
		.amdhsa_float_round_mode_16_64 0
		.amdhsa_float_denorm_mode_32 3
		.amdhsa_float_denorm_mode_16_64 3
		.amdhsa_fp16_overflow 0
		.amdhsa_memory_ordered 1
		.amdhsa_forward_progress 1
		.amdhsa_inst_pref_size 17
		.amdhsa_round_robin_scheduling 0
		.amdhsa_exception_fp_ieee_invalid_op 0
		.amdhsa_exception_fp_denorm_src 0
		.amdhsa_exception_fp_ieee_div_zero 0
		.amdhsa_exception_fp_ieee_overflow 0
		.amdhsa_exception_fp_ieee_underflow 0
		.amdhsa_exception_fp_ieee_inexact 0
		.amdhsa_exception_int_div_zero 0
	.end_amdhsa_kernel
	.section	.text._ZN2at4cuda17kernelHistogram1DIfslLi1ELi2ELin1ELNS0_23CUDAHistogramMemoryTypeE1EZNS0_21CUDA_tensor_histogramIfsLb1EEEbNS_6TensorES4_S4_lNS_14AccumulateTypeIT0_Lb1EE4typeES8_NS0_13TensorArgTypeES9_S9_EUllE_EEvNS0_6detail10TensorInfoIT_T1_EESF_NSC_IKS6_SE_EElS8_S8_SE_T6_,"axG",@progbits,_ZN2at4cuda17kernelHistogram1DIfslLi1ELi2ELin1ELNS0_23CUDAHistogramMemoryTypeE1EZNS0_21CUDA_tensor_histogramIfsLb1EEEbNS_6TensorES4_S4_lNS_14AccumulateTypeIT0_Lb1EE4typeES8_NS0_13TensorArgTypeES9_S9_EUllE_EEvNS0_6detail10TensorInfoIT_T1_EESF_NSC_IKS6_SE_EElS8_S8_SE_T6_,comdat
.Lfunc_end49:
	.size	_ZN2at4cuda17kernelHistogram1DIfslLi1ELi2ELin1ELNS0_23CUDAHistogramMemoryTypeE1EZNS0_21CUDA_tensor_histogramIfsLb1EEEbNS_6TensorES4_S4_lNS_14AccumulateTypeIT0_Lb1EE4typeES8_NS0_13TensorArgTypeES9_S9_EUllE_EEvNS0_6detail10TensorInfoIT_T1_EESF_NSC_IKS6_SE_EElS8_S8_SE_T6_, .Lfunc_end49-_ZN2at4cuda17kernelHistogram1DIfslLi1ELi2ELin1ELNS0_23CUDAHistogramMemoryTypeE1EZNS0_21CUDA_tensor_histogramIfsLb1EEEbNS_6TensorES4_S4_lNS_14AccumulateTypeIT0_Lb1EE4typeES8_NS0_13TensorArgTypeES9_S9_EUllE_EEvNS0_6detail10TensorInfoIT_T1_EESF_NSC_IKS6_SE_EElS8_S8_SE_T6_
                                        ; -- End function
	.set _ZN2at4cuda17kernelHistogram1DIfslLi1ELi2ELin1ELNS0_23CUDAHistogramMemoryTypeE1EZNS0_21CUDA_tensor_histogramIfsLb1EEEbNS_6TensorES4_S4_lNS_14AccumulateTypeIT0_Lb1EE4typeES8_NS0_13TensorArgTypeES9_S9_EUllE_EEvNS0_6detail10TensorInfoIT_T1_EESF_NSC_IKS6_SE_EElS8_S8_SE_T6_.num_vgpr, 22
	.set _ZN2at4cuda17kernelHistogram1DIfslLi1ELi2ELin1ELNS0_23CUDAHistogramMemoryTypeE1EZNS0_21CUDA_tensor_histogramIfsLb1EEEbNS_6TensorES4_S4_lNS_14AccumulateTypeIT0_Lb1EE4typeES8_NS0_13TensorArgTypeES9_S9_EUllE_EEvNS0_6detail10TensorInfoIT_T1_EESF_NSC_IKS6_SE_EElS8_S8_SE_T6_.num_agpr, 0
	.set _ZN2at4cuda17kernelHistogram1DIfslLi1ELi2ELin1ELNS0_23CUDAHistogramMemoryTypeE1EZNS0_21CUDA_tensor_histogramIfsLb1EEEbNS_6TensorES4_S4_lNS_14AccumulateTypeIT0_Lb1EE4typeES8_NS0_13TensorArgTypeES9_S9_EUllE_EEvNS0_6detail10TensorInfoIT_T1_EESF_NSC_IKS6_SE_EElS8_S8_SE_T6_.numbered_sgpr, 55
	.set _ZN2at4cuda17kernelHistogram1DIfslLi1ELi2ELin1ELNS0_23CUDAHistogramMemoryTypeE1EZNS0_21CUDA_tensor_histogramIfsLb1EEEbNS_6TensorES4_S4_lNS_14AccumulateTypeIT0_Lb1EE4typeES8_NS0_13TensorArgTypeES9_S9_EUllE_EEvNS0_6detail10TensorInfoIT_T1_EESF_NSC_IKS6_SE_EElS8_S8_SE_T6_.num_named_barrier, 0
	.set _ZN2at4cuda17kernelHistogram1DIfslLi1ELi2ELin1ELNS0_23CUDAHistogramMemoryTypeE1EZNS0_21CUDA_tensor_histogramIfsLb1EEEbNS_6TensorES4_S4_lNS_14AccumulateTypeIT0_Lb1EE4typeES8_NS0_13TensorArgTypeES9_S9_EUllE_EEvNS0_6detail10TensorInfoIT_T1_EESF_NSC_IKS6_SE_EElS8_S8_SE_T6_.private_seg_size, 0
	.set _ZN2at4cuda17kernelHistogram1DIfslLi1ELi2ELin1ELNS0_23CUDAHistogramMemoryTypeE1EZNS0_21CUDA_tensor_histogramIfsLb1EEEbNS_6TensorES4_S4_lNS_14AccumulateTypeIT0_Lb1EE4typeES8_NS0_13TensorArgTypeES9_S9_EUllE_EEvNS0_6detail10TensorInfoIT_T1_EESF_NSC_IKS6_SE_EElS8_S8_SE_T6_.uses_vcc, 1
	.set _ZN2at4cuda17kernelHistogram1DIfslLi1ELi2ELin1ELNS0_23CUDAHistogramMemoryTypeE1EZNS0_21CUDA_tensor_histogramIfsLb1EEEbNS_6TensorES4_S4_lNS_14AccumulateTypeIT0_Lb1EE4typeES8_NS0_13TensorArgTypeES9_S9_EUllE_EEvNS0_6detail10TensorInfoIT_T1_EESF_NSC_IKS6_SE_EElS8_S8_SE_T6_.uses_flat_scratch, 0
	.set _ZN2at4cuda17kernelHistogram1DIfslLi1ELi2ELin1ELNS0_23CUDAHistogramMemoryTypeE1EZNS0_21CUDA_tensor_histogramIfsLb1EEEbNS_6TensorES4_S4_lNS_14AccumulateTypeIT0_Lb1EE4typeES8_NS0_13TensorArgTypeES9_S9_EUllE_EEvNS0_6detail10TensorInfoIT_T1_EESF_NSC_IKS6_SE_EElS8_S8_SE_T6_.has_dyn_sized_stack, 0
	.set _ZN2at4cuda17kernelHistogram1DIfslLi1ELi2ELin1ELNS0_23CUDAHistogramMemoryTypeE1EZNS0_21CUDA_tensor_histogramIfsLb1EEEbNS_6TensorES4_S4_lNS_14AccumulateTypeIT0_Lb1EE4typeES8_NS0_13TensorArgTypeES9_S9_EUllE_EEvNS0_6detail10TensorInfoIT_T1_EESF_NSC_IKS6_SE_EElS8_S8_SE_T6_.has_recursion, 0
	.set _ZN2at4cuda17kernelHistogram1DIfslLi1ELi2ELin1ELNS0_23CUDAHistogramMemoryTypeE1EZNS0_21CUDA_tensor_histogramIfsLb1EEEbNS_6TensorES4_S4_lNS_14AccumulateTypeIT0_Lb1EE4typeES8_NS0_13TensorArgTypeES9_S9_EUllE_EEvNS0_6detail10TensorInfoIT_T1_EESF_NSC_IKS6_SE_EElS8_S8_SE_T6_.has_indirect_call, 0
	.section	.AMDGPU.csdata,"",@progbits
; Kernel info:
; codeLenInByte = 2100
; TotalNumSgprs: 57
; NumVgprs: 22
; ScratchSize: 0
; MemoryBound: 0
; FloatMode: 240
; IeeeMode: 1
; LDSByteSize: 0 bytes/workgroup (compile time only)
; SGPRBlocks: 0
; VGPRBlocks: 1
; NumSGPRsForWavesPerEU: 57
; NumVGPRsForWavesPerEU: 22
; NamedBarCnt: 0
; Occupancy: 16
; WaveLimiterHint : 1
; COMPUTE_PGM_RSRC2:SCRATCH_EN: 0
; COMPUTE_PGM_RSRC2:USER_SGPR: 2
; COMPUTE_PGM_RSRC2:TRAP_HANDLER: 0
; COMPUTE_PGM_RSRC2:TGID_X_EN: 1
; COMPUTE_PGM_RSRC2:TGID_Y_EN: 0
; COMPUTE_PGM_RSRC2:TGID_Z_EN: 0
; COMPUTE_PGM_RSRC2:TIDIG_COMP_CNT: 0
	.section	.text._ZN2at4cuda17kernelHistogram1DIfslLi1ELi2ELin1ELNS0_23CUDAHistogramMemoryTypeE0EZNS0_21CUDA_tensor_histogramIfsLb1EEEbNS_6TensorES4_S4_lNS_14AccumulateTypeIT0_Lb1EE4typeES8_NS0_13TensorArgTypeES9_S9_EUllE0_EEvNS0_6detail10TensorInfoIT_T1_EESF_NSC_IKS6_SE_EElS8_S8_SE_T6_,"axG",@progbits,_ZN2at4cuda17kernelHistogram1DIfslLi1ELi2ELin1ELNS0_23CUDAHistogramMemoryTypeE0EZNS0_21CUDA_tensor_histogramIfsLb1EEEbNS_6TensorES4_S4_lNS_14AccumulateTypeIT0_Lb1EE4typeES8_NS0_13TensorArgTypeES9_S9_EUllE0_EEvNS0_6detail10TensorInfoIT_T1_EESF_NSC_IKS6_SE_EElS8_S8_SE_T6_,comdat
	.protected	_ZN2at4cuda17kernelHistogram1DIfslLi1ELi2ELin1ELNS0_23CUDAHistogramMemoryTypeE0EZNS0_21CUDA_tensor_histogramIfsLb1EEEbNS_6TensorES4_S4_lNS_14AccumulateTypeIT0_Lb1EE4typeES8_NS0_13TensorArgTypeES9_S9_EUllE0_EEvNS0_6detail10TensorInfoIT_T1_EESF_NSC_IKS6_SE_EElS8_S8_SE_T6_ ; -- Begin function _ZN2at4cuda17kernelHistogram1DIfslLi1ELi2ELin1ELNS0_23CUDAHistogramMemoryTypeE0EZNS0_21CUDA_tensor_histogramIfsLb1EEEbNS_6TensorES4_S4_lNS_14AccumulateTypeIT0_Lb1EE4typeES8_NS0_13TensorArgTypeES9_S9_EUllE0_EEvNS0_6detail10TensorInfoIT_T1_EESF_NSC_IKS6_SE_EElS8_S8_SE_T6_
	.globl	_ZN2at4cuda17kernelHistogram1DIfslLi1ELi2ELin1ELNS0_23CUDAHistogramMemoryTypeE0EZNS0_21CUDA_tensor_histogramIfsLb1EEEbNS_6TensorES4_S4_lNS_14AccumulateTypeIT0_Lb1EE4typeES8_NS0_13TensorArgTypeES9_S9_EUllE0_EEvNS0_6detail10TensorInfoIT_T1_EESF_NSC_IKS6_SE_EElS8_S8_SE_T6_
	.p2align	8
	.type	_ZN2at4cuda17kernelHistogram1DIfslLi1ELi2ELin1ELNS0_23CUDAHistogramMemoryTypeE0EZNS0_21CUDA_tensor_histogramIfsLb1EEEbNS_6TensorES4_S4_lNS_14AccumulateTypeIT0_Lb1EE4typeES8_NS0_13TensorArgTypeES9_S9_EUllE0_EEvNS0_6detail10TensorInfoIT_T1_EESF_NSC_IKS6_SE_EElS8_S8_SE_T6_,@function
_ZN2at4cuda17kernelHistogram1DIfslLi1ELi2ELin1ELNS0_23CUDAHistogramMemoryTypeE0EZNS0_21CUDA_tensor_histogramIfsLb1EEEbNS_6TensorES4_S4_lNS_14AccumulateTypeIT0_Lb1EE4typeES8_NS0_13TensorArgTypeES9_S9_EUllE0_EEvNS0_6detail10TensorInfoIT_T1_EESF_NSC_IKS6_SE_EElS8_S8_SE_T6_: ; @_ZN2at4cuda17kernelHistogram1DIfslLi1ELi2ELin1ELNS0_23CUDAHistogramMemoryTypeE0EZNS0_21CUDA_tensor_histogramIfsLb1EEEbNS_6TensorES4_S4_lNS_14AccumulateTypeIT0_Lb1EE4typeES8_NS0_13TensorArgTypeES9_S9_EUllE0_EEvNS0_6detail10TensorInfoIT_T1_EESF_NSC_IKS6_SE_EElS8_S8_SE_T6_
; %bb.0:
	s_load_b128 s[12:15], s[0:1], 0x0
	v_mov_b32_e32 v1, 0
	s_add_nc_u64 s[22:23], s[0:1], 0x508
	s_mov_b32 s3, exec_lo
                                        ; implicit-def: $sgpr4
	s_wait_kmcnt 0x0
	s_delay_alu instid0(VALU_DEP_1)
	v_cmp_gt_i64_e64 s2, s[14:15], v[0:1]
	v_cmpx_le_i64_e64 s[14:15], v[0:1]
	s_xor_b32 s3, exec_lo, s3
; %bb.1:
	s_load_b32 s4, s[22:23], 0xc
; %bb.2:
	s_or_saveexec_b32 s3, s3
	s_wait_kmcnt 0x0
	v_mov_b32_e32 v4, s4
	s_xor_b32 exec_lo, exec_lo, s3
	s_cbranch_execz .LBB50_12
; %bb.3:
	v_dual_mov_b32 v5, 0 :: v_dual_add_nc_u32 v4, 1, v0
	s_load_b32 s6, s[22:23], 0xc
	s_mov_b32 s8, -1
	s_delay_alu instid0(VALU_DEP_1) | instskip(SKIP_2) | instid1(SALU_CYCLE_1)
	v_max_i64 v[2:3], s[14:15], v[4:5]
	s_wait_kmcnt 0x0
	s_and_b32 s4, s6, 0xffff
	s_cmp_eq_u32 s4, 1
	s_cselect_b32 s5, -1, 0
	s_delay_alu instid0(VALU_DEP_1) | instskip(SKIP_1) | instid1(VALU_DEP_2)
	v_sub_nc_u64_e32 v[6:7], v[2:3], v[0:1]
	v_mov_b64_e32 v[2:3], v[0:1]
	v_cmp_lt_u64_e32 vcc_lo, 1, v[6:7]
	s_and_b32 s7, vcc_lo, s5
	s_delay_alu instid0(SALU_CYCLE_1)
	s_and_saveexec_b32 s5, s7
	s_cbranch_execz .LBB50_7
; %bb.4:
	v_dual_mov_b32 v3, v7 :: v_dual_bitop2_b32 v2, -2, v6 bitop3:0x40
	v_lshl_add_u32 v4, v0, 2, 0
	s_mov_b32 s7, 0
	s_delay_alu instid0(VALU_DEP_2)
	v_mov_b64_e32 v[8:9], v[2:3]
.LBB50_5:                               ; =>This Inner Loop Header: Depth=1
	s_delay_alu instid0(VALU_DEP_1) | instskip(SKIP_4) | instid1(SALU_CYCLE_1)
	v_add_nc_u64_e32 v[8:9], -2, v[8:9]
	ds_store_2addr_b32 v4, v5, v5 offset1:1
	v_add_nc_u32_e32 v4, 8, v4
	v_cmp_eq_u64_e32 vcc_lo, 0, v[8:9]
	s_or_b32 s7, vcc_lo, s7
	s_and_not1_b32 exec_lo, exec_lo, s7
	s_cbranch_execnz .LBB50_5
; %bb.6:
	s_or_b32 exec_lo, exec_lo, s7
	v_cmp_ne_u64_e32 vcc_lo, v[6:7], v[2:3]
	v_add_nc_u64_e32 v[2:3], v[2:3], v[0:1]
	s_or_not1_b32 s8, vcc_lo, exec_lo
.LBB50_7:
	s_or_b32 exec_lo, exec_lo, s5
	v_mov_b32_e32 v4, 1
	s_and_saveexec_b32 s7, s8
	s_cbranch_execz .LBB50_11
; %bb.8:
	s_delay_alu instid0(VALU_DEP_2)
	v_lshl_add_u32 v4, v2, 2, 0
	v_mov_b32_e32 v5, 0
	s_mov_b32 s5, 0
	s_lshl_b32 s9, s4, 2
	s_mov_b32 s8, s5
.LBB50_9:                               ; =>This Inner Loop Header: Depth=1
	v_add_nc_u64_e32 v[2:3], s[4:5], v[2:3]
	ds_store_b32 v4, v5
	v_add_nc_u32_e32 v4, s9, v4
	v_cmp_le_i64_e32 vcc_lo, s[14:15], v[2:3]
	s_or_b32 s8, vcc_lo, s8
	s_delay_alu instid0(SALU_CYCLE_1)
	s_and_not1_b32 exec_lo, exec_lo, s8
	s_cbranch_execnz .LBB50_9
; %bb.10:
	s_or_b32 exec_lo, exec_lo, s8
	v_mov_b32_e32 v4, s6
.LBB50_11:
	s_or_b32 exec_lo, exec_lo, s7
.LBB50_12:
	s_delay_alu instid0(SALU_CYCLE_1)
	s_or_b32 exec_lo, exec_lo, s3
	s_bfe_u32 s3, ttmp6, 0x4000c
	s_load_b256 s[4:11], s[0:1], 0x4e0
	s_add_co_i32 s3, s3, 1
	s_and_b32 s16, ttmp6, 15
	s_mul_i32 s3, ttmp9, s3
	s_getreg_b32 s17, hwreg(HW_REG_IB_STS2, 6, 4)
	v_and_b32_e32 v2, 0xffff, v4
	s_add_co_i32 s16, s16, s3
	s_cmp_eq_u32 s17, 0
	v_mov_b32_e32 v6, 0
	s_cselect_b32 s3, ttmp9, s16
	s_mov_b32 s17, 0
	v_mad_u32 v4, s3, v2, v0
	s_mov_b32 s33, exec_lo
	v_mov_b32_e32 v5, v6
	s_wait_dscnt 0x0
	s_barrier_signal -1
	s_barrier_wait -1
	s_wait_kmcnt 0x0
	s_delay_alu instid0(VALU_DEP_2)
	v_cmpx_gt_i64_e64 s[10:11], v[4:5]
	s_cbranch_execz .LBB50_28
; %bb.13:
	s_load_b32 s3, s[0:1], 0x4d8
	s_load_b32 s16, s[22:23], 0x0
	s_clause 0x1
	s_load_b64 s[18:19], s[0:1], 0x410
	s_load_b64 s[20:21], s[0:1], 0x340
	s_add_nc_u64 s[26:27], s[0:1], 0x340
	v_dual_mov_b32 v9, v6 :: v_dual_mov_b32 v3, 1.0
	s_wait_xcnt 0x0
	s_sub_nc_u64 s[22:23], s[8:9], s[6:7]
	s_mov_b64 s[24:25], 0xffffffff
	s_mov_b32 s42, 0
	s_wait_kmcnt 0x0
	s_cmp_gt_i32 s3, 1
	v_mul_lo_u32 v8, s16, v2
	s_cselect_b32 s40, -1, 0
	s_add_co_i32 s16, s3, -1
	s_add_co_i32 s41, s3, 1
	s_lshl_b64 s[28:29], s[16:17], 3
	s_delay_alu instid0(SALU_CYCLE_1)
	s_add_nc_u64 s[26:27], s[26:27], s[28:29]
	s_ashr_i32 s28, s23, 31
	s_add_nc_u64 s[26:27], s[26:27], 8
	s_branch .LBB50_16
.LBB50_14:                              ;   in Loop: Header=BB50_16 Depth=1
	s_or_b32 exec_lo, exec_lo, s3
	s_delay_alu instid0(VALU_DEP_1) | instskip(NEXT) | instid1(VALU_DEP_1)
	v_ashrrev_i32_e32 v13, 31, v12
	v_cmp_eq_u64_e32 vcc_lo, s[4:5], v[12:13]
	v_subrev_co_ci_u32_e64 v7, null, 0, v12, vcc_lo
	s_delay_alu instid0(VALU_DEP_1)
	v_lshl_add_u32 v7, v7, 2, 0
	ds_add_f32 v7, v3
.LBB50_15:                              ;   in Loop: Header=BB50_16 Depth=1
	s_or_b32 exec_lo, exec_lo, s34
	v_add_nc_u64_e32 v[4:5], v[4:5], v[8:9]
	s_delay_alu instid0(VALU_DEP_1) | instskip(SKIP_1) | instid1(SALU_CYCLE_1)
	v_cmp_le_i64_e32 vcc_lo, s[10:11], v[4:5]
	s_or_b32 s42, vcc_lo, s42
	s_and_not1_b32 exec_lo, exec_lo, s42
	s_cbranch_execz .LBB50_28
.LBB50_16:                              ; =>This Loop Header: Depth=1
                                        ;     Child Loop BB50_17 Depth 2
	v_mov_b64_e32 v[10:11], 0
	v_mov_b64_e32 v[12:13], v[4:5]
	v_mov_b64_e32 v[14:15], v[4:5]
	s_and_not1_b32 vcc_lo, exec_lo, s40
	s_mov_b64 s[30:31], s[26:27]
	s_mov_b32 s29, s41
	s_cbranch_vccnz .LBB50_23
.LBB50_17:                              ;   Parent Loop BB50_16 Depth=1
                                        ; =>  This Inner Loop Header: Depth=2
	s_load_b64 s[34:35], s[30:31], 0x0
                                        ; implicit-def: $vgpr14_vgpr15
	s_mov_b32 s3, exec_lo
	s_wait_kmcnt 0x0
	s_delay_alu instid0(VALU_DEP_1) | instskip(NEXT) | instid1(VALU_DEP_1)
	v_or_b32_e32 v7, s35, v13
	v_cmpx_ne_u64_e32 0, v[6:7]
	s_xor_b32 s43, exec_lo, s3
	s_cbranch_execz .LBB50_19
; %bb.18:                               ;   in Loop: Header=BB50_17 Depth=2
	s_ashr_i32 s36, s35, 31
	v_dual_mov_b32 v19, v6 :: v_dual_ashrrev_i32 v14, 31, v13
	s_mov_b32 s37, s36
	v_mov_b32_e32 v27, v6
	s_add_nc_u64 s[38:39], s[34:35], s[36:37]
	s_delay_alu instid0(VALU_DEP_2) | instskip(SKIP_1) | instid1(SALU_CYCLE_1)
	v_mov_b32_e32 v15, v14
	s_xor_b64 s[38:39], s[38:39], s[36:37]
	s_cvt_f32_u32 s3, s38
	s_cvt_f32_u32 s16, s39
	s_sub_nc_u64 s[46:47], 0, s[38:39]
	v_add_nc_u64_e32 v[16:17], v[12:13], v[14:15]
	v_mov_b32_e32 v23, v6
	s_fmamk_f32 s3, s16, 0x4f800000, s3
	s_delay_alu instid0(SALU_CYCLE_3) | instskip(NEXT) | instid1(VALU_DEP_2)
	v_s_rcp_f32 s3, s3
	v_xor_b32_e32 v18, v16, v14
	s_delay_alu instid0(VALU_DEP_3) | instskip(NEXT) | instid1(TRANS32_DEP_1)
	v_xor_b32_e32 v22, v17, v14
	s_mul_f32 s3, s3, 0x5f7ffffc
	s_delay_alu instid0(SALU_CYCLE_3) | instskip(NEXT) | instid1(SALU_CYCLE_3)
	s_mul_f32 s16, s3, 0x2f800000
	s_trunc_f32 s16, s16
	s_delay_alu instid0(SALU_CYCLE_3) | instskip(SKIP_1) | instid1(SALU_CYCLE_2)
	s_fmamk_f32 s3, s16, 0xcf800000, s3
	s_cvt_u32_f32 s45, s16
	s_cvt_u32_f32 s44, s3
	s_delay_alu instid0(SALU_CYCLE_3) | instskip(NEXT) | instid1(SALU_CYCLE_1)
	s_mul_u64 s[48:49], s[46:47], s[44:45]
	s_mul_hi_u32 s51, s44, s49
	s_mul_i32 s50, s44, s49
	s_mul_hi_u32 s16, s44, s48
	s_mul_i32 s37, s45, s48
	s_add_nc_u64 s[50:51], s[16:17], s[50:51]
	s_mul_hi_u32 s3, s45, s48
	s_mul_hi_u32 s52, s45, s49
	s_add_co_u32 s16, s50, s37
	s_add_co_ci_u32 s16, s51, s3
	s_mul_i32 s48, s45, s49
	s_add_co_ci_u32 s49, s52, 0
	s_delay_alu instid0(SALU_CYCLE_1) | instskip(NEXT) | instid1(SALU_CYCLE_1)
	s_add_nc_u64 s[48:49], s[16:17], s[48:49]
	s_add_co_u32 s44, s44, s48
	s_cselect_b32 s3, -1, 0
	s_delay_alu instid0(SALU_CYCLE_1) | instskip(SKIP_1) | instid1(SALU_CYCLE_1)
	s_cmp_lg_u32 s3, 0
	s_add_co_ci_u32 s45, s45, s49
	s_mul_u64 s[46:47], s[46:47], s[44:45]
	s_delay_alu instid0(SALU_CYCLE_1)
	s_mul_hi_u32 s49, s44, s47
	s_mul_i32 s48, s44, s47
	s_mul_hi_u32 s16, s44, s46
	s_mul_i32 s37, s45, s46
	s_add_nc_u64 s[48:49], s[16:17], s[48:49]
	s_mul_hi_u32 s3, s45, s46
	s_mul_hi_u32 s50, s45, s47
	s_add_co_u32 s16, s48, s37
	s_add_co_ci_u32 s16, s49, s3
	s_mul_i32 s46, s45, s47
	s_add_co_ci_u32 s47, s50, 0
	s_delay_alu instid0(SALU_CYCLE_1) | instskip(NEXT) | instid1(SALU_CYCLE_1)
	s_add_nc_u64 s[46:47], s[16:17], s[46:47]
	s_add_co_u32 s44, s44, s46
	s_cselect_b32 s3, -1, 0
	v_mul_hi_u32 v26, v18, s44
	s_cmp_lg_u32 s3, 0
	s_add_co_ci_u32 s16, s45, s47
	s_and_b64 s[46:47], s[44:45], s[24:25]
	v_mul_u64_e32 v[20:21], s[16:17], v[18:19]
	v_mul_u64_e32 v[16:17], s[46:47], v[22:23]
	;; [unrolled: 1-line block ×3, first 2 shown]
	s_delay_alu instid0(VALU_DEP_3) | instskip(NEXT) | instid1(VALU_DEP_1)
	v_add_nc_u64_e32 v[20:21], v[26:27], v[20:21]
	v_add_co_u32 v7, vcc_lo, v20, v16
	s_delay_alu instid0(VALU_DEP_2) | instskip(NEXT) | instid1(VALU_DEP_4)
	v_add_co_ci_u32_e32 v26, vcc_lo, v21, v17, vcc_lo
	v_add_co_ci_u32_e32 v25, vcc_lo, 0, v25, vcc_lo
	s_delay_alu instid0(VALU_DEP_1) | instskip(NEXT) | instid1(VALU_DEP_1)
	v_add_nc_u64_e32 v[16:17], v[26:27], v[24:25]
	v_mul_u64_e32 v[20:21], s[38:39], v[16:17]
	s_delay_alu instid0(VALU_DEP_1) | instskip(NEXT) | instid1(VALU_DEP_2)
	v_sub_nc_u32_e32 v7, v22, v21
	v_sub_co_u32 v15, vcc_lo, v18, v20
	s_delay_alu instid0(VALU_DEP_1) | instskip(NEXT) | instid1(VALU_DEP_3)
	v_sub_co_ci_u32_e64 v22, null, v22, v21, vcc_lo
	v_subrev_co_ci_u32_e64 v7, null, s39, v7, vcc_lo
	s_delay_alu instid0(VALU_DEP_3) | instskip(SKIP_1) | instid1(VALU_DEP_3)
	v_sub_co_u32 v18, s3, v15, s38
	v_add_nc_u64_e32 v[20:21], 1, v[16:17]
	v_subrev_co_ci_u32_e64 v7, null, 0, v7, s3
	s_delay_alu instid0(VALU_DEP_3) | instskip(SKIP_1) | instid1(VALU_DEP_3)
	v_cmp_le_u32_e32 vcc_lo, s38, v18
	v_cndmask_b32_e64 v18, 0, -1, vcc_lo
	v_cmp_le_u32_e32 vcc_lo, s39, v7
	v_cndmask_b32_e64 v19, 0, -1, vcc_lo
	;; [unrolled: 2-line block ×4, first 2 shown]
	v_cmp_eq_u32_e32 vcc_lo, s39, v7
	v_cndmask_b32_e32 v7, v19, v18, vcc_lo
	v_cmp_eq_u32_e32 vcc_lo, s39, v22
	v_add_nc_u64_e32 v[18:19], 2, v[16:17]
	v_cndmask_b32_e32 v15, v23, v15, vcc_lo
	s_delay_alu instid0(VALU_DEP_4) | instskip(NEXT) | instid1(VALU_DEP_2)
	v_cmp_ne_u32_e32 vcc_lo, 0, v7
	v_cmp_ne_u32_e64 s3, 0, v15
	s_delay_alu instid0(VALU_DEP_4) | instskip(NEXT) | instid1(VALU_DEP_1)
	v_dual_cndmask_b32 v7, v21, v19, vcc_lo :: v_dual_cndmask_b32 v15, v20, v18, vcc_lo
	v_dual_cndmask_b32 v7, v17, v7, s3 :: v_dual_bitop2_b32 v14, s36, v14 bitop3:0x14
	s_delay_alu instid0(VALU_DEP_1) | instskip(NEXT) | instid1(VALU_DEP_2)
	v_dual_cndmask_b32 v16, v16, v15, s3 :: v_dual_mov_b32 v15, v14
	v_xor_b32_e32 v17, v7, v14
	s_delay_alu instid0(VALU_DEP_2) | instskip(NEXT) | instid1(VALU_DEP_1)
	v_xor_b32_e32 v16, v16, v14
	v_sub_nc_u64_e32 v[14:15], v[16:17], v[14:15]
.LBB50_19:                              ;   in Loop: Header=BB50_17 Depth=2
	s_and_not1_saveexec_b32 s3, s43
	s_cbranch_execz .LBB50_21
; %bb.20:                               ;   in Loop: Header=BB50_17 Depth=2
	v_cvt_f32_u32_e32 v7, s34
	s_sub_co_i32 s16, 0, s34
	s_delay_alu instid0(VALU_DEP_1) | instskip(SKIP_1) | instid1(TRANS32_DEP_1)
	v_rcp_iflag_f32_e32 v7, v7
	v_nop
	v_mul_f32_e32 v7, 0x4f7ffffe, v7
	s_delay_alu instid0(VALU_DEP_1) | instskip(NEXT) | instid1(VALU_DEP_1)
	v_cvt_u32_f32_e32 v7, v7
	v_mul_lo_u32 v14, s16, v7
	s_delay_alu instid0(VALU_DEP_1) | instskip(NEXT) | instid1(VALU_DEP_1)
	v_mul_hi_u32 v14, v7, v14
	v_add_nc_u32_e32 v7, v7, v14
	s_delay_alu instid0(VALU_DEP_1) | instskip(NEXT) | instid1(VALU_DEP_1)
	v_mul_hi_u32 v7, v12, v7
	v_mul_lo_u32 v14, v7, s34
	s_delay_alu instid0(VALU_DEP_1) | instskip(NEXT) | instid1(VALU_DEP_1)
	v_dual_add_nc_u32 v15, 1, v7 :: v_dual_sub_nc_u32 v14, v12, v14
	v_subrev_nc_u32_e32 v16, s34, v14
	v_cmp_le_u32_e32 vcc_lo, s34, v14
	s_delay_alu instid0(VALU_DEP_2) | instskip(NEXT) | instid1(VALU_DEP_1)
	v_dual_cndmask_b32 v14, v14, v16 :: v_dual_cndmask_b32 v7, v7, v15
	v_cmp_le_u32_e32 vcc_lo, s34, v14
	s_delay_alu instid0(VALU_DEP_2) | instskip(NEXT) | instid1(VALU_DEP_1)
	v_add_nc_u32_e32 v15, 1, v7
	v_dual_cndmask_b32 v14, v7, v15 :: v_dual_mov_b32 v15, v6
.LBB50_21:                              ;   in Loop: Header=BB50_17 Depth=2
	s_or_b32 exec_lo, exec_lo, s3
	s_delay_alu instid0(VALU_DEP_1)
	v_mul_u64_e32 v[16:17], s[34:35], v[14:15]
	s_load_b64 s[34:35], s[30:31], 0xc8
	s_add_co_i32 s29, s29, -1
	s_wait_xcnt 0x0
	s_add_nc_u64 s[30:31], s[30:31], -8
	s_cmp_gt_u32 s29, 2
	s_delay_alu instid0(VALU_DEP_1) | instskip(SKIP_1) | instid1(VALU_DEP_1)
	v_sub_nc_u64_e32 v[12:13], v[12:13], v[16:17]
	s_wait_kmcnt 0x0
	v_mad_nc_u64_u32 v[10:11], s34, v12, v[10:11]
	s_delay_alu instid0(VALU_DEP_1) | instskip(NEXT) | instid1(VALU_DEP_1)
	v_mad_u32 v7, s35, v12, v11
	v_mad_u32 v11, s34, v13, v7
	s_cbranch_scc0 .LBB50_23
; %bb.22:                               ;   in Loop: Header=BB50_17 Depth=2
	v_mov_b64_e32 v[12:13], v[14:15]
	s_branch .LBB50_17
.LBB50_23:                              ;   in Loop: Header=BB50_16 Depth=1
	s_delay_alu instid0(VALU_DEP_1) | instskip(NEXT) | instid1(VALU_DEP_1)
	v_mul_u64_e32 v[12:13], s[18:19], v[14:15]
	v_lshl_add_u64 v[12:13], v[12:13], 1, s[20:21]
	s_delay_alu instid0(VALU_DEP_1) | instskip(SKIP_4) | instid1(VALU_DEP_1)
	v_lshl_add_u64 v[10:11], v[10:11], 1, v[12:13]
	global_load_u16 v7, v[10:11], off
	s_wait_loadcnt 0x0
	s_wait_xcnt 0x0
	v_bfe_i32 v10, v7, 0, 16
	v_ashrrev_i32_e32 v11, 31, v10
	s_delay_alu instid0(VALU_DEP_1) | instskip(SKIP_2) | instid1(SALU_CYCLE_1)
	v_cmp_le_i64_e32 vcc_lo, s[6:7], v[10:11]
	v_cmp_ge_i64_e64 s3, s[8:9], v[10:11]
	s_and_b32 s3, vcc_lo, s3
	s_and_saveexec_b32 s34, s3
	s_cbranch_execz .LBB50_15
; %bb.24:                               ;   in Loop: Header=BB50_16 Depth=1
	v_sub_nc_u64_e64 v[10:11], v[10:11], s[6:7]
                                        ; implicit-def: $vgpr12_vgpr13
	s_mov_b32 s3, exec_lo
	s_delay_alu instid0(VALU_DEP_1) | instskip(NEXT) | instid1(VALU_DEP_1)
	v_mul_u64_e32 v[10:11], s[4:5], v[10:11]
	v_or_b32_e32 v7, s23, v11
	s_delay_alu instid0(VALU_DEP_1)
	v_cmpx_ne_u64_e32 0, v[6:7]
	s_xor_b32 s35, exec_lo, s3
	s_cbranch_execz .LBB50_26
; %bb.25:                               ;   in Loop: Header=BB50_16 Depth=1
	s_mov_b32 s29, s28
	v_dual_mov_b32 v15, v6 :: v_dual_ashrrev_i32 v12, 31, v11
	s_add_nc_u64 s[30:31], s[22:23], s[28:29]
	v_mov_b32_e32 v23, v6
	s_xor_b64 s[30:31], s[30:31], s[28:29]
	s_delay_alu instid0(VALU_DEP_2) | instskip(SKIP_3) | instid1(VALU_DEP_1)
	v_mov_b32_e32 v13, v12
	s_cvt_f32_u32 s3, s30
	s_cvt_f32_u32 s16, s31
	s_sub_nc_u64 s[38:39], 0, s[30:31]
	v_add_nc_u64_e32 v[10:11], v[10:11], v[12:13]
	s_delay_alu instid0(SALU_CYCLE_1) | instskip(SKIP_1) | instid1(SALU_CYCLE_2)
	s_fmamk_f32 s3, s16, 0x4f800000, s3
	v_mov_b32_e32 v19, v6
	v_s_rcp_f32 s3, s3
	s_delay_alu instid0(VALU_DEP_2) | instskip(NEXT) | instid1(VALU_DEP_3)
	v_xor_b32_e32 v14, v10, v12
	v_xor_b32_e32 v18, v11, v12
	s_delay_alu instid0(TRANS32_DEP_1) | instskip(NEXT) | instid1(SALU_CYCLE_3)
	s_mul_f32 s3, s3, 0x5f7ffffc
	s_mul_f32 s16, s3, 0x2f800000
	s_delay_alu instid0(SALU_CYCLE_3) | instskip(NEXT) | instid1(SALU_CYCLE_3)
	s_trunc_f32 s16, s16
	s_fmamk_f32 s3, s16, 0xcf800000, s3
	s_cvt_u32_f32 s37, s16
	s_delay_alu instid0(SALU_CYCLE_2) | instskip(NEXT) | instid1(SALU_CYCLE_3)
	s_cvt_u32_f32 s36, s3
	s_mul_u64 s[44:45], s[38:39], s[36:37]
	s_delay_alu instid0(SALU_CYCLE_1)
	s_mul_hi_u32 s47, s36, s45
	s_mul_i32 s46, s36, s45
	s_mul_hi_u32 s16, s36, s44
	s_mul_i32 s29, s37, s44
	s_add_nc_u64 s[46:47], s[16:17], s[46:47]
	s_mul_hi_u32 s3, s37, s44
	s_mul_hi_u32 s43, s37, s45
	s_add_co_u32 s16, s46, s29
	s_add_co_ci_u32 s16, s47, s3
	s_mul_i32 s44, s37, s45
	s_add_co_ci_u32 s45, s43, 0
	s_delay_alu instid0(SALU_CYCLE_1) | instskip(NEXT) | instid1(SALU_CYCLE_1)
	s_add_nc_u64 s[44:45], s[16:17], s[44:45]
	s_add_co_u32 s36, s36, s44
	s_cselect_b32 s3, -1, 0
	s_delay_alu instid0(SALU_CYCLE_1) | instskip(SKIP_1) | instid1(SALU_CYCLE_1)
	s_cmp_lg_u32 s3, 0
	s_add_co_ci_u32 s37, s37, s45
	s_mul_u64 s[38:39], s[38:39], s[36:37]
	s_delay_alu instid0(SALU_CYCLE_1)
	s_mul_hi_u32 s45, s36, s39
	s_mul_i32 s44, s36, s39
	s_mul_hi_u32 s16, s36, s38
	s_mul_i32 s29, s37, s38
	s_add_nc_u64 s[44:45], s[16:17], s[44:45]
	s_mul_hi_u32 s3, s37, s38
	s_mul_hi_u32 s43, s37, s39
	s_add_co_u32 s16, s44, s29
	s_add_co_ci_u32 s16, s45, s3
	s_mul_i32 s38, s37, s39
	s_add_co_ci_u32 s39, s43, 0
	s_delay_alu instid0(SALU_CYCLE_1) | instskip(NEXT) | instid1(SALU_CYCLE_1)
	s_add_nc_u64 s[38:39], s[16:17], s[38:39]
	s_add_co_u32 s36, s36, s38
	s_cselect_b32 s3, -1, 0
	v_mul_hi_u32 v22, v14, s36
	s_cmp_lg_u32 s3, 0
	s_add_co_ci_u32 s16, s37, s39
	s_and_b64 s[38:39], s[36:37], s[24:25]
	v_mul_u64_e32 v[16:17], s[16:17], v[14:15]
	v_mul_u64_e32 v[10:11], s[38:39], v[18:19]
	;; [unrolled: 1-line block ×3, first 2 shown]
	s_delay_alu instid0(VALU_DEP_3) | instskip(NEXT) | instid1(VALU_DEP_1)
	v_add_nc_u64_e32 v[16:17], v[22:23], v[16:17]
	v_add_co_u32 v7, vcc_lo, v16, v10
	s_delay_alu instid0(VALU_DEP_2) | instskip(NEXT) | instid1(VALU_DEP_4)
	v_add_co_ci_u32_e32 v22, vcc_lo, v17, v11, vcc_lo
	v_add_co_ci_u32_e32 v21, vcc_lo, 0, v21, vcc_lo
	s_delay_alu instid0(VALU_DEP_1) | instskip(NEXT) | instid1(VALU_DEP_1)
	v_add_nc_u64_e32 v[10:11], v[22:23], v[20:21]
	v_mul_u64_e32 v[16:17], s[30:31], v[10:11]
	s_delay_alu instid0(VALU_DEP_1) | instskip(NEXT) | instid1(VALU_DEP_2)
	v_sub_nc_u32_e32 v7, v18, v17
	v_sub_co_u32 v13, vcc_lo, v14, v16
	s_delay_alu instid0(VALU_DEP_1) | instskip(NEXT) | instid1(VALU_DEP_3)
	v_sub_co_ci_u32_e64 v18, null, v18, v17, vcc_lo
	v_subrev_co_ci_u32_e64 v7, null, s31, v7, vcc_lo
	s_delay_alu instid0(VALU_DEP_3) | instskip(SKIP_1) | instid1(VALU_DEP_3)
	v_sub_co_u32 v14, s3, v13, s30
	v_add_nc_u64_e32 v[16:17], 1, v[10:11]
	v_subrev_co_ci_u32_e64 v7, null, 0, v7, s3
	s_delay_alu instid0(VALU_DEP_3) | instskip(SKIP_1) | instid1(VALU_DEP_3)
	v_cmp_le_u32_e32 vcc_lo, s30, v14
	v_cndmask_b32_e64 v14, 0, -1, vcc_lo
	v_cmp_le_u32_e32 vcc_lo, s31, v7
	v_cndmask_b32_e64 v15, 0, -1, vcc_lo
	;; [unrolled: 2-line block ×4, first 2 shown]
	v_cmp_eq_u32_e32 vcc_lo, s31, v7
	v_cndmask_b32_e32 v7, v15, v14, vcc_lo
	v_cmp_eq_u32_e32 vcc_lo, s31, v18
	v_add_nc_u64_e32 v[14:15], 2, v[10:11]
	v_cndmask_b32_e32 v13, v19, v13, vcc_lo
	s_delay_alu instid0(VALU_DEP_4) | instskip(NEXT) | instid1(VALU_DEP_3)
	v_cmp_ne_u32_e32 vcc_lo, 0, v7
	v_cndmask_b32_e32 v7, v17, v15, vcc_lo
	s_delay_alu instid0(VALU_DEP_3) | instskip(SKIP_1) | instid1(VALU_DEP_1)
	v_cmp_ne_u32_e64 s3, 0, v13
	v_dual_cndmask_b32 v13, v16, v14, vcc_lo :: v_dual_bitop2_b32 v12, s28, v12 bitop3:0x14
	v_dual_cndmask_b32 v7, v11, v7, s3 :: v_dual_cndmask_b32 v10, v10, v13, s3
	s_delay_alu instid0(VALU_DEP_1) | instskip(NEXT) | instid1(VALU_DEP_2)
	v_dual_mov_b32 v13, v12 :: v_dual_bitop2_b32 v11, v7, v12 bitop3:0x14
	v_xor_b32_e32 v10, v10, v12
	s_delay_alu instid0(VALU_DEP_1)
	v_sub_nc_u64_e32 v[12:13], v[10:11], v[12:13]
                                        ; implicit-def: $vgpr10_vgpr11
.LBB50_26:                              ;   in Loop: Header=BB50_16 Depth=1
	s_and_not1_saveexec_b32 s3, s35
	s_cbranch_execz .LBB50_14
; %bb.27:                               ;   in Loop: Header=BB50_16 Depth=1
	v_cvt_f32_u32_e32 v7, s22
	s_sub_co_i32 s16, 0, s22
	s_delay_alu instid0(VALU_DEP_1) | instskip(SKIP_1) | instid1(TRANS32_DEP_1)
	v_rcp_iflag_f32_e32 v7, v7
	v_nop
	v_mul_f32_e32 v7, 0x4f7ffffe, v7
	s_delay_alu instid0(VALU_DEP_1) | instskip(NEXT) | instid1(VALU_DEP_1)
	v_cvt_u32_f32_e32 v7, v7
	v_mul_lo_u32 v11, s16, v7
	s_delay_alu instid0(VALU_DEP_1) | instskip(NEXT) | instid1(VALU_DEP_1)
	v_mul_hi_u32 v11, v7, v11
	v_add_nc_u32_e32 v7, v7, v11
	s_delay_alu instid0(VALU_DEP_1) | instskip(NEXT) | instid1(VALU_DEP_1)
	v_mul_hi_u32 v7, v10, v7
	v_mul_lo_u32 v11, v7, s22
	s_delay_alu instid0(VALU_DEP_1) | instskip(SKIP_1) | instid1(VALU_DEP_2)
	v_sub_nc_u32_e32 v10, v10, v11
	v_add_nc_u32_e32 v11, 1, v7
	v_subrev_nc_u32_e32 v12, s22, v10
	v_cmp_le_u32_e32 vcc_lo, s22, v10
	s_delay_alu instid0(VALU_DEP_2) | instskip(NEXT) | instid1(VALU_DEP_1)
	v_dual_cndmask_b32 v10, v10, v12 :: v_dual_cndmask_b32 v7, v7, v11
	v_cmp_le_u32_e32 vcc_lo, s22, v10
	s_delay_alu instid0(VALU_DEP_2) | instskip(NEXT) | instid1(VALU_DEP_1)
	v_add_nc_u32_e32 v11, 1, v7
	v_cndmask_b32_e32 v12, v7, v11, vcc_lo
	s_branch .LBB50_14
.LBB50_28:
	s_or_b32 exec_lo, exec_lo, s33
	s_load_b64 s[0:1], s[0:1], 0xd0
; %bb.29:
	s_wait_dscnt 0x0
	s_barrier_signal -1
	s_barrier_wait -1
	s_and_saveexec_b32 s3, s2
	s_cbranch_execz .LBB50_32
; %bb.30:
	v_dual_mov_b32 v3, 0 :: v_dual_lshlrev_b32 v9, 2, v2
	s_wait_kmcnt 0x0
	v_mul_u64_e32 v[4:5], s[0:1], v[0:1]
	v_lshl_add_u32 v8, v0, 2, 0
	s_delay_alu instid0(VALU_DEP_3) | instskip(SKIP_1) | instid1(VALU_DEP_3)
	v_mul_u64_e32 v[6:7], s[0:1], v[2:3]
	s_mov_b32 s0, 0
	v_lshl_add_u64 v[4:5], v[4:5], 2, s[12:13]
	s_delay_alu instid0(VALU_DEP_2)
	v_lshlrev_b64_e32 v[6:7], 2, v[6:7]
.LBB50_31:                              ; =>This Inner Loop Header: Depth=1
	ds_load_b32 v10, v8
	v_add_nc_u64_e32 v[0:1], v[0:1], v[2:3]
	v_add_nc_u32_e32 v8, v8, v9
	s_delay_alu instid0(VALU_DEP_2)
	v_cmp_le_i64_e32 vcc_lo, s[14:15], v[0:1]
	s_or_b32 s0, vcc_lo, s0
	s_wait_dscnt 0x0
	global_atomic_add_f32 v[4:5], v10, off scope:SCOPE_DEV
	s_wait_xcnt 0x0
	v_add_nc_u64_e32 v[4:5], v[4:5], v[6:7]
	s_and_not1_b32 exec_lo, exec_lo, s0
	s_cbranch_execnz .LBB50_31
.LBB50_32:
	s_endpgm
	.section	.rodata,"a",@progbits
	.p2align	6, 0x0
	.amdhsa_kernel _ZN2at4cuda17kernelHistogram1DIfslLi1ELi2ELin1ELNS0_23CUDAHistogramMemoryTypeE0EZNS0_21CUDA_tensor_histogramIfsLb1EEEbNS_6TensorES4_S4_lNS_14AccumulateTypeIT0_Lb1EE4typeES8_NS0_13TensorArgTypeES9_S9_EUllE0_EEvNS0_6detail10TensorInfoIT_T1_EESF_NSC_IKS6_SE_EElS8_S8_SE_T6_
		.amdhsa_group_segment_fixed_size 0
		.amdhsa_private_segment_fixed_size 0
		.amdhsa_kernarg_size 1544
		.amdhsa_user_sgpr_count 2
		.amdhsa_user_sgpr_dispatch_ptr 0
		.amdhsa_user_sgpr_queue_ptr 0
		.amdhsa_user_sgpr_kernarg_segment_ptr 1
		.amdhsa_user_sgpr_dispatch_id 0
		.amdhsa_user_sgpr_kernarg_preload_length 0
		.amdhsa_user_sgpr_kernarg_preload_offset 0
		.amdhsa_user_sgpr_private_segment_size 0
		.amdhsa_wavefront_size32 1
		.amdhsa_uses_dynamic_stack 0
		.amdhsa_enable_private_segment 0
		.amdhsa_system_sgpr_workgroup_id_x 1
		.amdhsa_system_sgpr_workgroup_id_y 0
		.amdhsa_system_sgpr_workgroup_id_z 0
		.amdhsa_system_sgpr_workgroup_info 0
		.amdhsa_system_vgpr_workitem_id 0
		.amdhsa_next_free_vgpr 28
		.amdhsa_next_free_sgpr 53
		.amdhsa_named_barrier_count 0
		.amdhsa_reserve_vcc 1
		.amdhsa_float_round_mode_32 0
		.amdhsa_float_round_mode_16_64 0
		.amdhsa_float_denorm_mode_32 3
		.amdhsa_float_denorm_mode_16_64 3
		.amdhsa_fp16_overflow 0
		.amdhsa_memory_ordered 1
		.amdhsa_forward_progress 1
		.amdhsa_inst_pref_size 20
		.amdhsa_round_robin_scheduling 0
		.amdhsa_exception_fp_ieee_invalid_op 0
		.amdhsa_exception_fp_denorm_src 0
		.amdhsa_exception_fp_ieee_div_zero 0
		.amdhsa_exception_fp_ieee_overflow 0
		.amdhsa_exception_fp_ieee_underflow 0
		.amdhsa_exception_fp_ieee_inexact 0
		.amdhsa_exception_int_div_zero 0
	.end_amdhsa_kernel
	.section	.text._ZN2at4cuda17kernelHistogram1DIfslLi1ELi2ELin1ELNS0_23CUDAHistogramMemoryTypeE0EZNS0_21CUDA_tensor_histogramIfsLb1EEEbNS_6TensorES4_S4_lNS_14AccumulateTypeIT0_Lb1EE4typeES8_NS0_13TensorArgTypeES9_S9_EUllE0_EEvNS0_6detail10TensorInfoIT_T1_EESF_NSC_IKS6_SE_EElS8_S8_SE_T6_,"axG",@progbits,_ZN2at4cuda17kernelHistogram1DIfslLi1ELi2ELin1ELNS0_23CUDAHistogramMemoryTypeE0EZNS0_21CUDA_tensor_histogramIfsLb1EEEbNS_6TensorES4_S4_lNS_14AccumulateTypeIT0_Lb1EE4typeES8_NS0_13TensorArgTypeES9_S9_EUllE0_EEvNS0_6detail10TensorInfoIT_T1_EESF_NSC_IKS6_SE_EElS8_S8_SE_T6_,comdat
.Lfunc_end50:
	.size	_ZN2at4cuda17kernelHistogram1DIfslLi1ELi2ELin1ELNS0_23CUDAHistogramMemoryTypeE0EZNS0_21CUDA_tensor_histogramIfsLb1EEEbNS_6TensorES4_S4_lNS_14AccumulateTypeIT0_Lb1EE4typeES8_NS0_13TensorArgTypeES9_S9_EUllE0_EEvNS0_6detail10TensorInfoIT_T1_EESF_NSC_IKS6_SE_EElS8_S8_SE_T6_, .Lfunc_end50-_ZN2at4cuda17kernelHistogram1DIfslLi1ELi2ELin1ELNS0_23CUDAHistogramMemoryTypeE0EZNS0_21CUDA_tensor_histogramIfsLb1EEEbNS_6TensorES4_S4_lNS_14AccumulateTypeIT0_Lb1EE4typeES8_NS0_13TensorArgTypeES9_S9_EUllE0_EEvNS0_6detail10TensorInfoIT_T1_EESF_NSC_IKS6_SE_EElS8_S8_SE_T6_
                                        ; -- End function
	.set _ZN2at4cuda17kernelHistogram1DIfslLi1ELi2ELin1ELNS0_23CUDAHistogramMemoryTypeE0EZNS0_21CUDA_tensor_histogramIfsLb1EEEbNS_6TensorES4_S4_lNS_14AccumulateTypeIT0_Lb1EE4typeES8_NS0_13TensorArgTypeES9_S9_EUllE0_EEvNS0_6detail10TensorInfoIT_T1_EESF_NSC_IKS6_SE_EElS8_S8_SE_T6_.num_vgpr, 28
	.set _ZN2at4cuda17kernelHistogram1DIfslLi1ELi2ELin1ELNS0_23CUDAHistogramMemoryTypeE0EZNS0_21CUDA_tensor_histogramIfsLb1EEEbNS_6TensorES4_S4_lNS_14AccumulateTypeIT0_Lb1EE4typeES8_NS0_13TensorArgTypeES9_S9_EUllE0_EEvNS0_6detail10TensorInfoIT_T1_EESF_NSC_IKS6_SE_EElS8_S8_SE_T6_.num_agpr, 0
	.set _ZN2at4cuda17kernelHistogram1DIfslLi1ELi2ELin1ELNS0_23CUDAHistogramMemoryTypeE0EZNS0_21CUDA_tensor_histogramIfsLb1EEEbNS_6TensorES4_S4_lNS_14AccumulateTypeIT0_Lb1EE4typeES8_NS0_13TensorArgTypeES9_S9_EUllE0_EEvNS0_6detail10TensorInfoIT_T1_EESF_NSC_IKS6_SE_EElS8_S8_SE_T6_.numbered_sgpr, 53
	.set _ZN2at4cuda17kernelHistogram1DIfslLi1ELi2ELin1ELNS0_23CUDAHistogramMemoryTypeE0EZNS0_21CUDA_tensor_histogramIfsLb1EEEbNS_6TensorES4_S4_lNS_14AccumulateTypeIT0_Lb1EE4typeES8_NS0_13TensorArgTypeES9_S9_EUllE0_EEvNS0_6detail10TensorInfoIT_T1_EESF_NSC_IKS6_SE_EElS8_S8_SE_T6_.num_named_barrier, 0
	.set _ZN2at4cuda17kernelHistogram1DIfslLi1ELi2ELin1ELNS0_23CUDAHistogramMemoryTypeE0EZNS0_21CUDA_tensor_histogramIfsLb1EEEbNS_6TensorES4_S4_lNS_14AccumulateTypeIT0_Lb1EE4typeES8_NS0_13TensorArgTypeES9_S9_EUllE0_EEvNS0_6detail10TensorInfoIT_T1_EESF_NSC_IKS6_SE_EElS8_S8_SE_T6_.private_seg_size, 0
	.set _ZN2at4cuda17kernelHistogram1DIfslLi1ELi2ELin1ELNS0_23CUDAHistogramMemoryTypeE0EZNS0_21CUDA_tensor_histogramIfsLb1EEEbNS_6TensorES4_S4_lNS_14AccumulateTypeIT0_Lb1EE4typeES8_NS0_13TensorArgTypeES9_S9_EUllE0_EEvNS0_6detail10TensorInfoIT_T1_EESF_NSC_IKS6_SE_EElS8_S8_SE_T6_.uses_vcc, 1
	.set _ZN2at4cuda17kernelHistogram1DIfslLi1ELi2ELin1ELNS0_23CUDAHistogramMemoryTypeE0EZNS0_21CUDA_tensor_histogramIfsLb1EEEbNS_6TensorES4_S4_lNS_14AccumulateTypeIT0_Lb1EE4typeES8_NS0_13TensorArgTypeES9_S9_EUllE0_EEvNS0_6detail10TensorInfoIT_T1_EESF_NSC_IKS6_SE_EElS8_S8_SE_T6_.uses_flat_scratch, 0
	.set _ZN2at4cuda17kernelHistogram1DIfslLi1ELi2ELin1ELNS0_23CUDAHistogramMemoryTypeE0EZNS0_21CUDA_tensor_histogramIfsLb1EEEbNS_6TensorES4_S4_lNS_14AccumulateTypeIT0_Lb1EE4typeES8_NS0_13TensorArgTypeES9_S9_EUllE0_EEvNS0_6detail10TensorInfoIT_T1_EESF_NSC_IKS6_SE_EElS8_S8_SE_T6_.has_dyn_sized_stack, 0
	.set _ZN2at4cuda17kernelHistogram1DIfslLi1ELi2ELin1ELNS0_23CUDAHistogramMemoryTypeE0EZNS0_21CUDA_tensor_histogramIfsLb1EEEbNS_6TensorES4_S4_lNS_14AccumulateTypeIT0_Lb1EE4typeES8_NS0_13TensorArgTypeES9_S9_EUllE0_EEvNS0_6detail10TensorInfoIT_T1_EESF_NSC_IKS6_SE_EElS8_S8_SE_T6_.has_recursion, 0
	.set _ZN2at4cuda17kernelHistogram1DIfslLi1ELi2ELin1ELNS0_23CUDAHistogramMemoryTypeE0EZNS0_21CUDA_tensor_histogramIfsLb1EEEbNS_6TensorES4_S4_lNS_14AccumulateTypeIT0_Lb1EE4typeES8_NS0_13TensorArgTypeES9_S9_EUllE0_EEvNS0_6detail10TensorInfoIT_T1_EESF_NSC_IKS6_SE_EElS8_S8_SE_T6_.has_indirect_call, 0
	.section	.AMDGPU.csdata,"",@progbits
; Kernel info:
; codeLenInByte = 2492
; TotalNumSgprs: 55
; NumVgprs: 28
; ScratchSize: 0
; MemoryBound: 0
; FloatMode: 240
; IeeeMode: 1
; LDSByteSize: 0 bytes/workgroup (compile time only)
; SGPRBlocks: 0
; VGPRBlocks: 1
; NumSGPRsForWavesPerEU: 55
; NumVGPRsForWavesPerEU: 28
; NamedBarCnt: 0
; Occupancy: 16
; WaveLimiterHint : 1
; COMPUTE_PGM_RSRC2:SCRATCH_EN: 0
; COMPUTE_PGM_RSRC2:USER_SGPR: 2
; COMPUTE_PGM_RSRC2:TRAP_HANDLER: 0
; COMPUTE_PGM_RSRC2:TGID_X_EN: 1
; COMPUTE_PGM_RSRC2:TGID_Y_EN: 0
; COMPUTE_PGM_RSRC2:TGID_Z_EN: 0
; COMPUTE_PGM_RSRC2:TIDIG_COMP_CNT: 0
	.section	.text._ZN2at4cuda17kernelHistogram1DIfslLi1ELi2ELin1ELNS0_23CUDAHistogramMemoryTypeE1EZNS0_21CUDA_tensor_histogramIfsLb1EEEbNS_6TensorES4_S4_lNS_14AccumulateTypeIT0_Lb1EE4typeES8_NS0_13TensorArgTypeES9_S9_EUllE0_EEvNS0_6detail10TensorInfoIT_T1_EESF_NSC_IKS6_SE_EElS8_S8_SE_T6_,"axG",@progbits,_ZN2at4cuda17kernelHistogram1DIfslLi1ELi2ELin1ELNS0_23CUDAHistogramMemoryTypeE1EZNS0_21CUDA_tensor_histogramIfsLb1EEEbNS_6TensorES4_S4_lNS_14AccumulateTypeIT0_Lb1EE4typeES8_NS0_13TensorArgTypeES9_S9_EUllE0_EEvNS0_6detail10TensorInfoIT_T1_EESF_NSC_IKS6_SE_EElS8_S8_SE_T6_,comdat
	.protected	_ZN2at4cuda17kernelHistogram1DIfslLi1ELi2ELin1ELNS0_23CUDAHistogramMemoryTypeE1EZNS0_21CUDA_tensor_histogramIfsLb1EEEbNS_6TensorES4_S4_lNS_14AccumulateTypeIT0_Lb1EE4typeES8_NS0_13TensorArgTypeES9_S9_EUllE0_EEvNS0_6detail10TensorInfoIT_T1_EESF_NSC_IKS6_SE_EElS8_S8_SE_T6_ ; -- Begin function _ZN2at4cuda17kernelHistogram1DIfslLi1ELi2ELin1ELNS0_23CUDAHistogramMemoryTypeE1EZNS0_21CUDA_tensor_histogramIfsLb1EEEbNS_6TensorES4_S4_lNS_14AccumulateTypeIT0_Lb1EE4typeES8_NS0_13TensorArgTypeES9_S9_EUllE0_EEvNS0_6detail10TensorInfoIT_T1_EESF_NSC_IKS6_SE_EElS8_S8_SE_T6_
	.globl	_ZN2at4cuda17kernelHistogram1DIfslLi1ELi2ELin1ELNS0_23CUDAHistogramMemoryTypeE1EZNS0_21CUDA_tensor_histogramIfsLb1EEEbNS_6TensorES4_S4_lNS_14AccumulateTypeIT0_Lb1EE4typeES8_NS0_13TensorArgTypeES9_S9_EUllE0_EEvNS0_6detail10TensorInfoIT_T1_EESF_NSC_IKS6_SE_EElS8_S8_SE_T6_
	.p2align	8
	.type	_ZN2at4cuda17kernelHistogram1DIfslLi1ELi2ELin1ELNS0_23CUDAHistogramMemoryTypeE1EZNS0_21CUDA_tensor_histogramIfsLb1EEEbNS_6TensorES4_S4_lNS_14AccumulateTypeIT0_Lb1EE4typeES8_NS0_13TensorArgTypeES9_S9_EUllE0_EEvNS0_6detail10TensorInfoIT_T1_EESF_NSC_IKS6_SE_EElS8_S8_SE_T6_,@function
_ZN2at4cuda17kernelHistogram1DIfslLi1ELi2ELin1ELNS0_23CUDAHistogramMemoryTypeE1EZNS0_21CUDA_tensor_histogramIfsLb1EEEbNS_6TensorES4_S4_lNS_14AccumulateTypeIT0_Lb1EE4typeES8_NS0_13TensorArgTypeES9_S9_EUllE0_EEvNS0_6detail10TensorInfoIT_T1_EESF_NSC_IKS6_SE_EElS8_S8_SE_T6_: ; @_ZN2at4cuda17kernelHistogram1DIfslLi1ELi2ELin1ELNS0_23CUDAHistogramMemoryTypeE1EZNS0_21CUDA_tensor_histogramIfsLb1EEEbNS_6TensorES4_S4_lNS_14AccumulateTypeIT0_Lb1EE4typeES8_NS0_13TensorArgTypeES9_S9_EUllE0_EEvNS0_6detail10TensorInfoIT_T1_EESF_NSC_IKS6_SE_EElS8_S8_SE_T6_
; %bb.0:
	s_load_b32 s2, s[0:1], 0x514
	s_bfe_u32 s12, ttmp6, 0x4000c
	s_load_b256 s[4:11], s[0:1], 0x4e0
	s_add_co_i32 s12, s12, 1
	s_and_b32 s3, ttmp6, 15
	s_mul_i32 s12, ttmp9, s12
	s_getreg_b32 s13, hwreg(HW_REG_IB_STS2, 6, 4)
	s_add_co_i32 s3, s3, s12
	v_mov_b32_e32 v2, 0
	s_mov_b32 s12, exec_lo
	s_delay_alu instid0(VALU_DEP_1) | instskip(SKIP_4) | instid1(SALU_CYCLE_1)
	v_mov_b32_e32 v1, v2
	s_wait_kmcnt 0x0
	s_and_b32 s2, s2, 0xffff
	s_cmp_eq_u32 s13, 0
	s_cselect_b32 s3, ttmp9, s3
	v_mad_u32 v0, s3, s2, v0
	s_mov_b32 s3, 0
	s_delay_alu instid0(VALU_DEP_1)
	v_cmpx_gt_i64_e64 s[10:11], v[0:1]
	s_cbranch_execz .LBB51_16
; %bb.1:
	s_load_b32 s28, s[0:1], 0x4d8
	s_add_nc_u64 s[20:21], s[0:1], 0x508
	s_load_b32 s22, s[20:21], 0x0
	s_clause 0x3
	s_load_b64 s[12:13], s[0:1], 0x0
	s_load_b64 s[14:15], s[0:1], 0xd0
	;; [unrolled: 1-line block ×4, first 2 shown]
	s_add_nc_u64 s[26:27], s[0:1], 0x340
	v_mov_b32_e32 v10, 1.0
	s_wait_xcnt 0x0
	s_sub_nc_u64 s[20:21], s[8:9], s[6:7]
	s_mov_b32 s23, s3
	s_mov_b64 s[24:25], 0xffffffff
	s_mov_b32 s40, 0
	s_wait_kmcnt 0x0
	s_mul_i32 s22, s22, s2
	s_cmp_gt_i32 s28, 1
	s_cselect_b32 s1, -1, 0
	s_add_co_i32 s2, s28, -1
	s_add_co_i32 s33, s28, 1
	s_lshl_b64 s[28:29], s[2:3], 3
	s_delay_alu instid0(SALU_CYCLE_1)
	s_add_nc_u64 s[28:29], s[26:27], s[28:29]
	s_ashr_i32 s26, s21, 31
	s_add_nc_u64 s[28:29], s[28:29], 8
	s_branch .LBB51_4
.LBB51_2:                               ;   in Loop: Header=BB51_4 Depth=1
	s_or_b32 exec_lo, exec_lo, s0
	s_delay_alu instid0(VALU_DEP_1) | instskip(NEXT) | instid1(VALU_DEP_1)
	v_dual_ashrrev_i32 v7, 31, v6 :: v_dual_mov_b32 v5, s3
	v_cmp_eq_u64_e32 vcc_lo, s[4:5], v[6:7]
	v_cndmask_b32_e64 v4, 0, 1, vcc_lo
	s_delay_alu instid0(VALU_DEP_1) | instskip(NEXT) | instid1(VALU_DEP_1)
	v_sub_nc_u64_e32 v[4:5], v[6:7], v[4:5]
	v_mul_u64_e32 v[4:5], s[14:15], v[4:5]
	s_delay_alu instid0(VALU_DEP_1)
	v_lshl_add_u64 v[4:5], v[4:5], 2, s[12:13]
	global_atomic_add_f32 v[4:5], v10, off scope:SCOPE_DEV
.LBB51_3:                               ;   in Loop: Header=BB51_4 Depth=1
	s_wait_xcnt 0x0
	s_or_b32 exec_lo, exec_lo, s34
	v_add_nc_u64_e32 v[0:1], s[22:23], v[0:1]
	s_delay_alu instid0(VALU_DEP_1) | instskip(SKIP_1) | instid1(SALU_CYCLE_1)
	v_cmp_le_i64_e32 vcc_lo, s[10:11], v[0:1]
	s_or_b32 s40, vcc_lo, s40
	s_and_not1_b32 exec_lo, exec_lo, s40
	s_cbranch_execz .LBB51_16
.LBB51_4:                               ; =>This Loop Header: Depth=1
                                        ;     Child Loop BB51_5 Depth 2
	v_mov_b64_e32 v[4:5], 0
	v_mov_b64_e32 v[6:7], v[0:1]
	;; [unrolled: 1-line block ×3, first 2 shown]
	s_and_not1_b32 vcc_lo, exec_lo, s1
	s_mov_b64 s[30:31], s[28:29]
	s_mov_b32 s27, s33
	s_cbranch_vccnz .LBB51_11
.LBB51_5:                               ;   Parent Loop BB51_4 Depth=1
                                        ; =>  This Inner Loop Header: Depth=2
	s_load_b64 s[34:35], s[30:31], 0x0
                                        ; implicit-def: $vgpr8_vgpr9
	s_mov_b32 s0, exec_lo
	s_wait_kmcnt 0x0
	s_delay_alu instid0(VALU_DEP_1) | instskip(NEXT) | instid1(VALU_DEP_1)
	v_or_b32_e32 v3, s35, v7
	v_cmpx_ne_u64_e32 0, v[2:3]
	s_xor_b32 s41, exec_lo, s0
	s_cbranch_execz .LBB51_7
; %bb.6:                                ;   in Loop: Header=BB51_5 Depth=2
	s_ashr_i32 s36, s35, 31
	v_dual_mov_b32 v15, v2 :: v_dual_ashrrev_i32 v8, 31, v7
	s_mov_b32 s37, s36
	v_mov_b32_e32 v19, v2
	s_add_nc_u64 s[38:39], s[34:35], s[36:37]
	s_delay_alu instid0(VALU_DEP_2)
	v_mov_b32_e32 v9, v8
	s_xor_b64 s[38:39], s[38:39], s[36:37]
	v_mov_b32_e32 v23, v2
	s_cvt_f32_u32 s0, s38
	s_cvt_f32_u32 s2, s39
	s_sub_nc_u64 s[44:45], 0, s[38:39]
	v_add_nc_u64_e32 v[12:13], v[6:7], v[8:9]
	s_delay_alu instid0(SALU_CYCLE_1) | instskip(NEXT) | instid1(SALU_CYCLE_3)
	s_fmamk_f32 s0, s2, 0x4f800000, s0
	v_s_rcp_f32 s0, s0
	s_delay_alu instid0(VALU_DEP_1) | instskip(NEXT) | instid1(VALU_DEP_2)
	v_xor_b32_e32 v14, v12, v8
	v_xor_b32_e32 v18, v13, v8
	s_delay_alu instid0(TRANS32_DEP_1) | instskip(NEXT) | instid1(SALU_CYCLE_3)
	s_mul_f32 s0, s0, 0x5f7ffffc
	s_mul_f32 s2, s0, 0x2f800000
	s_delay_alu instid0(SALU_CYCLE_3) | instskip(NEXT) | instid1(SALU_CYCLE_3)
	s_trunc_f32 s2, s2
	s_fmamk_f32 s0, s2, 0xcf800000, s0
	s_cvt_u32_f32 s43, s2
	s_delay_alu instid0(SALU_CYCLE_2) | instskip(NEXT) | instid1(SALU_CYCLE_3)
	s_cvt_u32_f32 s42, s0
	s_mul_u64 s[46:47], s[44:45], s[42:43]
	s_delay_alu instid0(SALU_CYCLE_1)
	s_mul_hi_u32 s49, s42, s47
	s_mul_i32 s48, s42, s47
	s_mul_hi_u32 s2, s42, s46
	s_mul_i32 s37, s43, s46
	s_add_nc_u64 s[48:49], s[2:3], s[48:49]
	s_mul_hi_u32 s0, s43, s46
	s_mul_hi_u32 s50, s43, s47
	s_add_co_u32 s2, s48, s37
	s_add_co_ci_u32 s2, s49, s0
	s_mul_i32 s46, s43, s47
	s_add_co_ci_u32 s47, s50, 0
	s_delay_alu instid0(SALU_CYCLE_1) | instskip(NEXT) | instid1(SALU_CYCLE_1)
	s_add_nc_u64 s[46:47], s[2:3], s[46:47]
	s_add_co_u32 s42, s42, s46
	s_cselect_b32 s0, -1, 0
	s_delay_alu instid0(SALU_CYCLE_1) | instskip(SKIP_1) | instid1(SALU_CYCLE_1)
	s_cmp_lg_u32 s0, 0
	s_add_co_ci_u32 s43, s43, s47
	s_mul_u64 s[44:45], s[44:45], s[42:43]
	s_delay_alu instid0(SALU_CYCLE_1)
	s_mul_hi_u32 s47, s42, s45
	s_mul_i32 s46, s42, s45
	s_mul_hi_u32 s2, s42, s44
	s_mul_i32 s37, s43, s44
	s_add_nc_u64 s[46:47], s[2:3], s[46:47]
	s_mul_hi_u32 s0, s43, s44
	s_mul_hi_u32 s48, s43, s45
	s_add_co_u32 s2, s46, s37
	s_add_co_ci_u32 s2, s47, s0
	s_mul_i32 s44, s43, s45
	s_add_co_ci_u32 s45, s48, 0
	s_delay_alu instid0(SALU_CYCLE_1) | instskip(NEXT) | instid1(SALU_CYCLE_1)
	s_add_nc_u64 s[44:45], s[2:3], s[44:45]
	s_add_co_u32 s0, s42, s44
	s_cselect_b32 s2, -1, 0
	v_mul_hi_u32 v22, v14, s0
	s_cmp_lg_u32 s2, 0
	s_add_co_ci_u32 s2, s43, s45
	s_and_b64 s[42:43], s[0:1], s[24:25]
	v_mul_u64_e32 v[16:17], s[2:3], v[14:15]
	v_mul_u64_e32 v[12:13], s[42:43], v[18:19]
	;; [unrolled: 1-line block ×3, first 2 shown]
	s_delay_alu instid0(VALU_DEP_3) | instskip(NEXT) | instid1(VALU_DEP_1)
	v_add_nc_u64_e32 v[16:17], v[22:23], v[16:17]
	v_add_co_u32 v3, vcc_lo, v16, v12
	s_delay_alu instid0(VALU_DEP_2) | instskip(NEXT) | instid1(VALU_DEP_4)
	v_add_co_ci_u32_e32 v22, vcc_lo, v17, v13, vcc_lo
	v_add_co_ci_u32_e32 v21, vcc_lo, 0, v21, vcc_lo
	s_delay_alu instid0(VALU_DEP_1) | instskip(NEXT) | instid1(VALU_DEP_1)
	v_add_nc_u64_e32 v[12:13], v[22:23], v[20:21]
	v_mul_u64_e32 v[16:17], s[38:39], v[12:13]
	s_delay_alu instid0(VALU_DEP_1) | instskip(NEXT) | instid1(VALU_DEP_2)
	v_sub_nc_u32_e32 v3, v18, v17
	v_sub_co_u32 v9, vcc_lo, v14, v16
	s_delay_alu instid0(VALU_DEP_1) | instskip(NEXT) | instid1(VALU_DEP_3)
	v_sub_co_ci_u32_e64 v18, null, v18, v17, vcc_lo
	v_subrev_co_ci_u32_e64 v3, null, s39, v3, vcc_lo
	s_delay_alu instid0(VALU_DEP_3) | instskip(SKIP_1) | instid1(VALU_DEP_3)
	v_sub_co_u32 v11, s0, v9, s38
	v_add_nc_u64_e32 v[16:17], 1, v[12:13]
	v_subrev_co_ci_u32_e64 v3, null, 0, v3, s0
	s_delay_alu instid0(VALU_DEP_3) | instskip(SKIP_1) | instid1(VALU_DEP_3)
	v_cmp_le_u32_e32 vcc_lo, s38, v11
	v_cndmask_b32_e64 v11, 0, -1, vcc_lo
	v_cmp_le_u32_e32 vcc_lo, s39, v3
	v_cndmask_b32_e64 v14, 0, -1, vcc_lo
	;; [unrolled: 2-line block ×4, first 2 shown]
	v_cmp_eq_u32_e32 vcc_lo, s39, v3
	v_cndmask_b32_e32 v3, v14, v11, vcc_lo
	v_cmp_eq_u32_e32 vcc_lo, s39, v18
	v_add_nc_u64_e32 v[14:15], 2, v[12:13]
	v_cndmask_b32_e32 v9, v19, v9, vcc_lo
	s_delay_alu instid0(VALU_DEP_4) | instskip(NEXT) | instid1(VALU_DEP_3)
	v_cmp_ne_u32_e32 vcc_lo, 0, v3
	v_cndmask_b32_e32 v3, v17, v15, vcc_lo
	s_delay_alu instid0(VALU_DEP_3) | instskip(SKIP_1) | instid1(VALU_DEP_1)
	v_cmp_ne_u32_e64 s0, 0, v9
	v_dual_cndmask_b32 v9, v16, v14, vcc_lo :: v_dual_bitop2_b32 v8, s36, v8 bitop3:0x14
	v_dual_cndmask_b32 v3, v13, v3, s0 :: v_dual_cndmask_b32 v11, v12, v9, s0
	s_delay_alu instid0(VALU_DEP_1) | instskip(NEXT) | instid1(VALU_DEP_2)
	v_dual_mov_b32 v9, v8 :: v_dual_bitop2_b32 v13, v3, v8 bitop3:0x14
	v_xor_b32_e32 v12, v11, v8
	s_delay_alu instid0(VALU_DEP_1)
	v_sub_nc_u64_e32 v[8:9], v[12:13], v[8:9]
.LBB51_7:                               ;   in Loop: Header=BB51_5 Depth=2
	s_and_not1_saveexec_b32 s0, s41
	s_cbranch_execz .LBB51_9
; %bb.8:                                ;   in Loop: Header=BB51_5 Depth=2
	v_cvt_f32_u32_e32 v3, s34
	s_sub_co_i32 s2, 0, s34
	s_delay_alu instid0(VALU_DEP_1) | instskip(SKIP_1) | instid1(TRANS32_DEP_1)
	v_rcp_iflag_f32_e32 v3, v3
	v_nop
	v_mul_f32_e32 v3, 0x4f7ffffe, v3
	s_delay_alu instid0(VALU_DEP_1) | instskip(NEXT) | instid1(VALU_DEP_1)
	v_cvt_u32_f32_e32 v3, v3
	v_mul_lo_u32 v8, s2, v3
	s_delay_alu instid0(VALU_DEP_1) | instskip(NEXT) | instid1(VALU_DEP_1)
	v_mul_hi_u32 v8, v3, v8
	v_add_nc_u32_e32 v3, v3, v8
	s_delay_alu instid0(VALU_DEP_1) | instskip(NEXT) | instid1(VALU_DEP_1)
	v_mul_hi_u32 v3, v6, v3
	v_mul_lo_u32 v8, v3, s34
	s_delay_alu instid0(VALU_DEP_1) | instskip(NEXT) | instid1(VALU_DEP_1)
	v_dual_add_nc_u32 v9, 1, v3 :: v_dual_sub_nc_u32 v8, v6, v8
	v_subrev_nc_u32_e32 v11, s34, v8
	v_cmp_le_u32_e32 vcc_lo, s34, v8
	s_delay_alu instid0(VALU_DEP_2) | instskip(NEXT) | instid1(VALU_DEP_1)
	v_dual_cndmask_b32 v8, v8, v11 :: v_dual_cndmask_b32 v3, v3, v9
	v_cmp_le_u32_e32 vcc_lo, s34, v8
	s_delay_alu instid0(VALU_DEP_2) | instskip(NEXT) | instid1(VALU_DEP_1)
	v_add_nc_u32_e32 v9, 1, v3
	v_dual_cndmask_b32 v8, v3, v9 :: v_dual_mov_b32 v9, v2
.LBB51_9:                               ;   in Loop: Header=BB51_5 Depth=2
	s_or_b32 exec_lo, exec_lo, s0
	s_delay_alu instid0(VALU_DEP_1)
	v_mul_u64_e32 v[12:13], s[34:35], v[8:9]
	s_load_b64 s[34:35], s[30:31], 0xc8
	s_add_co_i32 s27, s27, -1
	s_wait_xcnt 0x0
	s_add_nc_u64 s[30:31], s[30:31], -8
	s_cmp_gt_u32 s27, 2
	s_delay_alu instid0(VALU_DEP_1) | instskip(SKIP_1) | instid1(VALU_DEP_1)
	v_sub_nc_u64_e32 v[6:7], v[6:7], v[12:13]
	s_wait_kmcnt 0x0
	v_mad_nc_u64_u32 v[4:5], s34, v6, v[4:5]
	s_delay_alu instid0(VALU_DEP_1) | instskip(NEXT) | instid1(VALU_DEP_1)
	v_mad_u32 v3, s35, v6, v5
	v_mad_u32 v5, s34, v7, v3
	s_cbranch_scc0 .LBB51_11
; %bb.10:                               ;   in Loop: Header=BB51_5 Depth=2
	v_mov_b64_e32 v[6:7], v[8:9]
	s_branch .LBB51_5
.LBB51_11:                              ;   in Loop: Header=BB51_4 Depth=1
	s_delay_alu instid0(VALU_DEP_1) | instskip(NEXT) | instid1(VALU_DEP_1)
	v_mul_u64_e32 v[6:7], s[16:17], v[8:9]
	v_lshl_add_u64 v[6:7], v[6:7], 1, s[18:19]
	s_delay_alu instid0(VALU_DEP_1) | instskip(SKIP_4) | instid1(VALU_DEP_1)
	v_lshl_add_u64 v[4:5], v[4:5], 1, v[6:7]
	global_load_u16 v3, v[4:5], off
	s_wait_loadcnt 0x0
	s_wait_xcnt 0x0
	v_bfe_i32 v4, v3, 0, 16
	v_ashrrev_i32_e32 v5, 31, v4
	s_delay_alu instid0(VALU_DEP_1) | instskip(SKIP_2) | instid1(SALU_CYCLE_1)
	v_cmp_le_i64_e32 vcc_lo, s[6:7], v[4:5]
	v_cmp_ge_i64_e64 s0, s[8:9], v[4:5]
	s_and_b32 s0, vcc_lo, s0
	s_and_saveexec_b32 s34, s0
	s_cbranch_execz .LBB51_3
; %bb.12:                               ;   in Loop: Header=BB51_4 Depth=1
	v_sub_nc_u64_e64 v[4:5], v[4:5], s[6:7]
                                        ; implicit-def: $vgpr6_vgpr7
	s_mov_b32 s0, exec_lo
	s_delay_alu instid0(VALU_DEP_1) | instskip(NEXT) | instid1(VALU_DEP_1)
	v_mul_u64_e32 v[4:5], s[4:5], v[4:5]
	v_or_b32_e32 v3, s21, v5
	s_delay_alu instid0(VALU_DEP_1)
	v_cmpx_ne_u64_e32 0, v[2:3]
	s_xor_b32 s35, exec_lo, s0
	s_cbranch_execz .LBB51_14
; %bb.13:                               ;   in Loop: Header=BB51_4 Depth=1
	s_mov_b32 s27, s26
	v_dual_mov_b32 v9, v2 :: v_dual_ashrrev_i32 v6, 31, v5
	s_add_nc_u64 s[30:31], s[20:21], s[26:27]
	v_mov_b32_e32 v19, v2
	s_xor_b64 s[30:31], s[30:31], s[26:27]
	s_delay_alu instid0(VALU_DEP_2) | instskip(SKIP_3) | instid1(VALU_DEP_1)
	v_mov_b32_e32 v7, v6
	s_cvt_f32_u32 s0, s30
	s_cvt_f32_u32 s2, s31
	s_sub_nc_u64 s[38:39], 0, s[30:31]
	v_add_nc_u64_e32 v[4:5], v[4:5], v[6:7]
	s_delay_alu instid0(SALU_CYCLE_1) | instskip(SKIP_1) | instid1(SALU_CYCLE_2)
	s_fmamk_f32 s0, s2, 0x4f800000, s0
	v_mov_b32_e32 v15, v2
	v_s_rcp_f32 s0, s0
	s_delay_alu instid0(VALU_DEP_2) | instskip(NEXT) | instid1(VALU_DEP_3)
	v_xor_b32_e32 v8, v4, v6
	v_xor_b32_e32 v14, v5, v6
	s_delay_alu instid0(TRANS32_DEP_1) | instskip(NEXT) | instid1(SALU_CYCLE_3)
	s_mul_f32 s0, s0, 0x5f7ffffc
	s_mul_f32 s2, s0, 0x2f800000
	s_delay_alu instid0(SALU_CYCLE_3) | instskip(NEXT) | instid1(SALU_CYCLE_3)
	s_trunc_f32 s2, s2
	s_fmamk_f32 s0, s2, 0xcf800000, s0
	s_cvt_u32_f32 s37, s2
	s_delay_alu instid0(SALU_CYCLE_2) | instskip(NEXT) | instid1(SALU_CYCLE_3)
	s_cvt_u32_f32 s36, s0
	s_mul_u64 s[42:43], s[38:39], s[36:37]
	s_delay_alu instid0(SALU_CYCLE_1)
	s_mul_hi_u32 s45, s36, s43
	s_mul_i32 s44, s36, s43
	s_mul_hi_u32 s2, s36, s42
	s_mul_i32 s27, s37, s42
	s_add_nc_u64 s[44:45], s[2:3], s[44:45]
	s_mul_hi_u32 s0, s37, s42
	s_mul_hi_u32 s41, s37, s43
	s_add_co_u32 s2, s44, s27
	s_add_co_ci_u32 s2, s45, s0
	s_mul_i32 s42, s37, s43
	s_add_co_ci_u32 s43, s41, 0
	s_delay_alu instid0(SALU_CYCLE_1) | instskip(NEXT) | instid1(SALU_CYCLE_1)
	s_add_nc_u64 s[42:43], s[2:3], s[42:43]
	s_add_co_u32 s36, s36, s42
	s_cselect_b32 s0, -1, 0
	s_delay_alu instid0(SALU_CYCLE_1) | instskip(SKIP_1) | instid1(SALU_CYCLE_1)
	s_cmp_lg_u32 s0, 0
	s_add_co_ci_u32 s37, s37, s43
	s_mul_u64 s[38:39], s[38:39], s[36:37]
	s_delay_alu instid0(SALU_CYCLE_1)
	s_mul_hi_u32 s43, s36, s39
	s_mul_i32 s42, s36, s39
	s_mul_hi_u32 s2, s36, s38
	s_mul_i32 s27, s37, s38
	s_add_nc_u64 s[42:43], s[2:3], s[42:43]
	s_mul_hi_u32 s0, s37, s38
	s_mul_hi_u32 s41, s37, s39
	s_add_co_u32 s2, s42, s27
	s_add_co_ci_u32 s2, s43, s0
	s_mul_i32 s38, s37, s39
	s_add_co_ci_u32 s39, s41, 0
	s_delay_alu instid0(SALU_CYCLE_1) | instskip(NEXT) | instid1(SALU_CYCLE_1)
	s_add_nc_u64 s[38:39], s[2:3], s[38:39]
	s_add_co_u32 s0, s36, s38
	s_cselect_b32 s2, -1, 0
	v_mul_hi_u32 v18, v8, s0
	s_cmp_lg_u32 s2, 0
	s_add_co_ci_u32 s2, s37, s39
	s_and_b64 s[36:37], s[0:1], s[24:25]
	v_mul_u64_e32 v[12:13], s[2:3], v[8:9]
	v_mul_u64_e32 v[4:5], s[36:37], v[14:15]
	;; [unrolled: 1-line block ×3, first 2 shown]
	s_delay_alu instid0(VALU_DEP_3) | instskip(NEXT) | instid1(VALU_DEP_1)
	v_add_nc_u64_e32 v[12:13], v[18:19], v[12:13]
	v_add_co_u32 v3, vcc_lo, v12, v4
	s_delay_alu instid0(VALU_DEP_2) | instskip(NEXT) | instid1(VALU_DEP_4)
	v_add_co_ci_u32_e32 v18, vcc_lo, v13, v5, vcc_lo
	v_add_co_ci_u32_e32 v17, vcc_lo, 0, v17, vcc_lo
	s_delay_alu instid0(VALU_DEP_1) | instskip(NEXT) | instid1(VALU_DEP_1)
	v_add_nc_u64_e32 v[4:5], v[18:19], v[16:17]
	v_mul_u64_e32 v[12:13], s[30:31], v[4:5]
	s_delay_alu instid0(VALU_DEP_1) | instskip(NEXT) | instid1(VALU_DEP_2)
	v_sub_nc_u32_e32 v3, v14, v13
	v_sub_co_u32 v7, vcc_lo, v8, v12
	s_delay_alu instid0(VALU_DEP_1) | instskip(NEXT) | instid1(VALU_DEP_3)
	v_sub_co_ci_u32_e64 v11, null, v14, v13, vcc_lo
	v_subrev_co_ci_u32_e64 v3, null, s31, v3, vcc_lo
	s_delay_alu instid0(VALU_DEP_3) | instskip(SKIP_1) | instid1(VALU_DEP_3)
	v_sub_co_u32 v8, s0, v7, s30
	v_add_nc_u64_e32 v[12:13], 1, v[4:5]
	v_subrev_co_ci_u32_e64 v3, null, 0, v3, s0
	s_delay_alu instid0(VALU_DEP_3) | instskip(SKIP_1) | instid1(VALU_DEP_3)
	v_cmp_le_u32_e32 vcc_lo, s30, v8
	v_cndmask_b32_e64 v8, 0, -1, vcc_lo
	v_cmp_le_u32_e32 vcc_lo, s31, v3
	v_cndmask_b32_e64 v9, 0, -1, vcc_lo
	;; [unrolled: 2-line block ×4, first 2 shown]
	v_cmp_eq_u32_e32 vcc_lo, s31, v3
	v_cndmask_b32_e32 v3, v9, v8, vcc_lo
	v_cmp_eq_u32_e32 vcc_lo, s31, v11
	v_add_nc_u64_e32 v[8:9], 2, v[4:5]
	v_cndmask_b32_e32 v7, v14, v7, vcc_lo
	s_delay_alu instid0(VALU_DEP_4) | instskip(NEXT) | instid1(VALU_DEP_2)
	v_cmp_ne_u32_e32 vcc_lo, 0, v3
	v_cmp_ne_u32_e64 s0, 0, v7
	s_delay_alu instid0(VALU_DEP_4) | instskip(NEXT) | instid1(VALU_DEP_1)
	v_dual_cndmask_b32 v3, v13, v9, vcc_lo :: v_dual_cndmask_b32 v7, v12, v8, vcc_lo
	v_dual_cndmask_b32 v3, v5, v3, s0 :: v_dual_bitop2_b32 v6, s26, v6 bitop3:0x14
	s_delay_alu instid0(VALU_DEP_1) | instskip(NEXT) | instid1(VALU_DEP_2)
	v_dual_cndmask_b32 v4, v4, v7, s0 :: v_dual_mov_b32 v7, v6
	v_xor_b32_e32 v5, v3, v6
	s_delay_alu instid0(VALU_DEP_2) | instskip(NEXT) | instid1(VALU_DEP_1)
	v_xor_b32_e32 v4, v4, v6
	v_sub_nc_u64_e32 v[6:7], v[4:5], v[6:7]
                                        ; implicit-def: $vgpr4_vgpr5
.LBB51_14:                              ;   in Loop: Header=BB51_4 Depth=1
	s_and_not1_saveexec_b32 s0, s35
	s_cbranch_execz .LBB51_2
; %bb.15:                               ;   in Loop: Header=BB51_4 Depth=1
	v_cvt_f32_u32_e32 v3, s20
	s_sub_co_i32 s2, 0, s20
	s_delay_alu instid0(VALU_DEP_1) | instskip(SKIP_1) | instid1(TRANS32_DEP_1)
	v_rcp_iflag_f32_e32 v3, v3
	v_nop
	v_mul_f32_e32 v3, 0x4f7ffffe, v3
	s_delay_alu instid0(VALU_DEP_1) | instskip(NEXT) | instid1(VALU_DEP_1)
	v_cvt_u32_f32_e32 v3, v3
	v_mul_lo_u32 v5, s2, v3
	s_delay_alu instid0(VALU_DEP_1) | instskip(NEXT) | instid1(VALU_DEP_1)
	v_mul_hi_u32 v5, v3, v5
	v_add_nc_u32_e32 v3, v3, v5
	s_delay_alu instid0(VALU_DEP_1) | instskip(NEXT) | instid1(VALU_DEP_1)
	v_mul_hi_u32 v3, v4, v3
	v_mul_lo_u32 v5, v3, s20
	s_delay_alu instid0(VALU_DEP_1) | instskip(NEXT) | instid1(VALU_DEP_1)
	v_dual_sub_nc_u32 v4, v4, v5 :: v_dual_add_nc_u32 v5, 1, v3
	v_subrev_nc_u32_e32 v6, s20, v4
	v_cmp_le_u32_e32 vcc_lo, s20, v4
	s_delay_alu instid0(VALU_DEP_2) | instskip(NEXT) | instid1(VALU_DEP_1)
	v_dual_cndmask_b32 v4, v4, v6 :: v_dual_cndmask_b32 v3, v3, v5
	v_cmp_le_u32_e32 vcc_lo, s20, v4
	s_delay_alu instid0(VALU_DEP_2) | instskip(NEXT) | instid1(VALU_DEP_1)
	v_add_nc_u32_e32 v5, 1, v3
	v_cndmask_b32_e32 v6, v3, v5, vcc_lo
	s_branch .LBB51_2
.LBB51_16:
	s_endpgm
	.section	.rodata,"a",@progbits
	.p2align	6, 0x0
	.amdhsa_kernel _ZN2at4cuda17kernelHistogram1DIfslLi1ELi2ELin1ELNS0_23CUDAHistogramMemoryTypeE1EZNS0_21CUDA_tensor_histogramIfsLb1EEEbNS_6TensorES4_S4_lNS_14AccumulateTypeIT0_Lb1EE4typeES8_NS0_13TensorArgTypeES9_S9_EUllE0_EEvNS0_6detail10TensorInfoIT_T1_EESF_NSC_IKS6_SE_EElS8_S8_SE_T6_
		.amdhsa_group_segment_fixed_size 0
		.amdhsa_private_segment_fixed_size 0
		.amdhsa_kernarg_size 1544
		.amdhsa_user_sgpr_count 2
		.amdhsa_user_sgpr_dispatch_ptr 0
		.amdhsa_user_sgpr_queue_ptr 0
		.amdhsa_user_sgpr_kernarg_segment_ptr 1
		.amdhsa_user_sgpr_dispatch_id 0
		.amdhsa_user_sgpr_kernarg_preload_length 0
		.amdhsa_user_sgpr_kernarg_preload_offset 0
		.amdhsa_user_sgpr_private_segment_size 0
		.amdhsa_wavefront_size32 1
		.amdhsa_uses_dynamic_stack 0
		.amdhsa_enable_private_segment 0
		.amdhsa_system_sgpr_workgroup_id_x 1
		.amdhsa_system_sgpr_workgroup_id_y 0
		.amdhsa_system_sgpr_workgroup_id_z 0
		.amdhsa_system_sgpr_workgroup_info 0
		.amdhsa_system_vgpr_workitem_id 0
		.amdhsa_next_free_vgpr 24
		.amdhsa_next_free_sgpr 51
		.amdhsa_named_barrier_count 0
		.amdhsa_reserve_vcc 1
		.amdhsa_float_round_mode_32 0
		.amdhsa_float_round_mode_16_64 0
		.amdhsa_float_denorm_mode_32 3
		.amdhsa_float_denorm_mode_16_64 3
		.amdhsa_fp16_overflow 0
		.amdhsa_memory_ordered 1
		.amdhsa_forward_progress 1
		.amdhsa_inst_pref_size 16
		.amdhsa_round_robin_scheduling 0
		.amdhsa_exception_fp_ieee_invalid_op 0
		.amdhsa_exception_fp_denorm_src 0
		.amdhsa_exception_fp_ieee_div_zero 0
		.amdhsa_exception_fp_ieee_overflow 0
		.amdhsa_exception_fp_ieee_underflow 0
		.amdhsa_exception_fp_ieee_inexact 0
		.amdhsa_exception_int_div_zero 0
	.end_amdhsa_kernel
	.section	.text._ZN2at4cuda17kernelHistogram1DIfslLi1ELi2ELin1ELNS0_23CUDAHistogramMemoryTypeE1EZNS0_21CUDA_tensor_histogramIfsLb1EEEbNS_6TensorES4_S4_lNS_14AccumulateTypeIT0_Lb1EE4typeES8_NS0_13TensorArgTypeES9_S9_EUllE0_EEvNS0_6detail10TensorInfoIT_T1_EESF_NSC_IKS6_SE_EElS8_S8_SE_T6_,"axG",@progbits,_ZN2at4cuda17kernelHistogram1DIfslLi1ELi2ELin1ELNS0_23CUDAHistogramMemoryTypeE1EZNS0_21CUDA_tensor_histogramIfsLb1EEEbNS_6TensorES4_S4_lNS_14AccumulateTypeIT0_Lb1EE4typeES8_NS0_13TensorArgTypeES9_S9_EUllE0_EEvNS0_6detail10TensorInfoIT_T1_EESF_NSC_IKS6_SE_EElS8_S8_SE_T6_,comdat
.Lfunc_end51:
	.size	_ZN2at4cuda17kernelHistogram1DIfslLi1ELi2ELin1ELNS0_23CUDAHistogramMemoryTypeE1EZNS0_21CUDA_tensor_histogramIfsLb1EEEbNS_6TensorES4_S4_lNS_14AccumulateTypeIT0_Lb1EE4typeES8_NS0_13TensorArgTypeES9_S9_EUllE0_EEvNS0_6detail10TensorInfoIT_T1_EESF_NSC_IKS6_SE_EElS8_S8_SE_T6_, .Lfunc_end51-_ZN2at4cuda17kernelHistogram1DIfslLi1ELi2ELin1ELNS0_23CUDAHistogramMemoryTypeE1EZNS0_21CUDA_tensor_histogramIfsLb1EEEbNS_6TensorES4_S4_lNS_14AccumulateTypeIT0_Lb1EE4typeES8_NS0_13TensorArgTypeES9_S9_EUllE0_EEvNS0_6detail10TensorInfoIT_T1_EESF_NSC_IKS6_SE_EElS8_S8_SE_T6_
                                        ; -- End function
	.set _ZN2at4cuda17kernelHistogram1DIfslLi1ELi2ELin1ELNS0_23CUDAHistogramMemoryTypeE1EZNS0_21CUDA_tensor_histogramIfsLb1EEEbNS_6TensorES4_S4_lNS_14AccumulateTypeIT0_Lb1EE4typeES8_NS0_13TensorArgTypeES9_S9_EUllE0_EEvNS0_6detail10TensorInfoIT_T1_EESF_NSC_IKS6_SE_EElS8_S8_SE_T6_.num_vgpr, 24
	.set _ZN2at4cuda17kernelHistogram1DIfslLi1ELi2ELin1ELNS0_23CUDAHistogramMemoryTypeE1EZNS0_21CUDA_tensor_histogramIfsLb1EEEbNS_6TensorES4_S4_lNS_14AccumulateTypeIT0_Lb1EE4typeES8_NS0_13TensorArgTypeES9_S9_EUllE0_EEvNS0_6detail10TensorInfoIT_T1_EESF_NSC_IKS6_SE_EElS8_S8_SE_T6_.num_agpr, 0
	.set _ZN2at4cuda17kernelHistogram1DIfslLi1ELi2ELin1ELNS0_23CUDAHistogramMemoryTypeE1EZNS0_21CUDA_tensor_histogramIfsLb1EEEbNS_6TensorES4_S4_lNS_14AccumulateTypeIT0_Lb1EE4typeES8_NS0_13TensorArgTypeES9_S9_EUllE0_EEvNS0_6detail10TensorInfoIT_T1_EESF_NSC_IKS6_SE_EElS8_S8_SE_T6_.numbered_sgpr, 51
	.set _ZN2at4cuda17kernelHistogram1DIfslLi1ELi2ELin1ELNS0_23CUDAHistogramMemoryTypeE1EZNS0_21CUDA_tensor_histogramIfsLb1EEEbNS_6TensorES4_S4_lNS_14AccumulateTypeIT0_Lb1EE4typeES8_NS0_13TensorArgTypeES9_S9_EUllE0_EEvNS0_6detail10TensorInfoIT_T1_EESF_NSC_IKS6_SE_EElS8_S8_SE_T6_.num_named_barrier, 0
	.set _ZN2at4cuda17kernelHistogram1DIfslLi1ELi2ELin1ELNS0_23CUDAHistogramMemoryTypeE1EZNS0_21CUDA_tensor_histogramIfsLb1EEEbNS_6TensorES4_S4_lNS_14AccumulateTypeIT0_Lb1EE4typeES8_NS0_13TensorArgTypeES9_S9_EUllE0_EEvNS0_6detail10TensorInfoIT_T1_EESF_NSC_IKS6_SE_EElS8_S8_SE_T6_.private_seg_size, 0
	.set _ZN2at4cuda17kernelHistogram1DIfslLi1ELi2ELin1ELNS0_23CUDAHistogramMemoryTypeE1EZNS0_21CUDA_tensor_histogramIfsLb1EEEbNS_6TensorES4_S4_lNS_14AccumulateTypeIT0_Lb1EE4typeES8_NS0_13TensorArgTypeES9_S9_EUllE0_EEvNS0_6detail10TensorInfoIT_T1_EESF_NSC_IKS6_SE_EElS8_S8_SE_T6_.uses_vcc, 1
	.set _ZN2at4cuda17kernelHistogram1DIfslLi1ELi2ELin1ELNS0_23CUDAHistogramMemoryTypeE1EZNS0_21CUDA_tensor_histogramIfsLb1EEEbNS_6TensorES4_S4_lNS_14AccumulateTypeIT0_Lb1EE4typeES8_NS0_13TensorArgTypeES9_S9_EUllE0_EEvNS0_6detail10TensorInfoIT_T1_EESF_NSC_IKS6_SE_EElS8_S8_SE_T6_.uses_flat_scratch, 0
	.set _ZN2at4cuda17kernelHistogram1DIfslLi1ELi2ELin1ELNS0_23CUDAHistogramMemoryTypeE1EZNS0_21CUDA_tensor_histogramIfsLb1EEEbNS_6TensorES4_S4_lNS_14AccumulateTypeIT0_Lb1EE4typeES8_NS0_13TensorArgTypeES9_S9_EUllE0_EEvNS0_6detail10TensorInfoIT_T1_EESF_NSC_IKS6_SE_EElS8_S8_SE_T6_.has_dyn_sized_stack, 0
	.set _ZN2at4cuda17kernelHistogram1DIfslLi1ELi2ELin1ELNS0_23CUDAHistogramMemoryTypeE1EZNS0_21CUDA_tensor_histogramIfsLb1EEEbNS_6TensorES4_S4_lNS_14AccumulateTypeIT0_Lb1EE4typeES8_NS0_13TensorArgTypeES9_S9_EUllE0_EEvNS0_6detail10TensorInfoIT_T1_EESF_NSC_IKS6_SE_EElS8_S8_SE_T6_.has_recursion, 0
	.set _ZN2at4cuda17kernelHistogram1DIfslLi1ELi2ELin1ELNS0_23CUDAHistogramMemoryTypeE1EZNS0_21CUDA_tensor_histogramIfsLb1EEEbNS_6TensorES4_S4_lNS_14AccumulateTypeIT0_Lb1EE4typeES8_NS0_13TensorArgTypeES9_S9_EUllE0_EEvNS0_6detail10TensorInfoIT_T1_EESF_NSC_IKS6_SE_EElS8_S8_SE_T6_.has_indirect_call, 0
	.section	.AMDGPU.csdata,"",@progbits
; Kernel info:
; codeLenInByte = 2048
; TotalNumSgprs: 53
; NumVgprs: 24
; ScratchSize: 0
; MemoryBound: 0
; FloatMode: 240
; IeeeMode: 1
; LDSByteSize: 0 bytes/workgroup (compile time only)
; SGPRBlocks: 0
; VGPRBlocks: 1
; NumSGPRsForWavesPerEU: 53
; NumVGPRsForWavesPerEU: 24
; NamedBarCnt: 0
; Occupancy: 16
; WaveLimiterHint : 1
; COMPUTE_PGM_RSRC2:SCRATCH_EN: 0
; COMPUTE_PGM_RSRC2:USER_SGPR: 2
; COMPUTE_PGM_RSRC2:TRAP_HANDLER: 0
; COMPUTE_PGM_RSRC2:TGID_X_EN: 1
; COMPUTE_PGM_RSRC2:TGID_Y_EN: 0
; COMPUTE_PGM_RSRC2:TGID_Z_EN: 0
; COMPUTE_PGM_RSRC2:TIDIG_COMP_CNT: 0
	.section	.text._ZN2at4cuda17kernelHistogram1DIlslLi1ELi2ELin1ELNS0_23CUDAHistogramMemoryTypeE0EZNS0_21CUDA_tensor_histogramIlsLb0EEEbNS_6TensorES4_S4_lNS_14AccumulateTypeIT0_Lb1EE4typeES8_NS0_13TensorArgTypeES9_S9_EUllE_EEvNS0_6detail10TensorInfoIT_T1_EESF_NSC_IKS6_SE_EElS8_S8_SE_T6_,"axG",@progbits,_ZN2at4cuda17kernelHistogram1DIlslLi1ELi2ELin1ELNS0_23CUDAHistogramMemoryTypeE0EZNS0_21CUDA_tensor_histogramIlsLb0EEEbNS_6TensorES4_S4_lNS_14AccumulateTypeIT0_Lb1EE4typeES8_NS0_13TensorArgTypeES9_S9_EUllE_EEvNS0_6detail10TensorInfoIT_T1_EESF_NSC_IKS6_SE_EElS8_S8_SE_T6_,comdat
	.protected	_ZN2at4cuda17kernelHistogram1DIlslLi1ELi2ELin1ELNS0_23CUDAHistogramMemoryTypeE0EZNS0_21CUDA_tensor_histogramIlsLb0EEEbNS_6TensorES4_S4_lNS_14AccumulateTypeIT0_Lb1EE4typeES8_NS0_13TensorArgTypeES9_S9_EUllE_EEvNS0_6detail10TensorInfoIT_T1_EESF_NSC_IKS6_SE_EElS8_S8_SE_T6_ ; -- Begin function _ZN2at4cuda17kernelHistogram1DIlslLi1ELi2ELin1ELNS0_23CUDAHistogramMemoryTypeE0EZNS0_21CUDA_tensor_histogramIlsLb0EEEbNS_6TensorES4_S4_lNS_14AccumulateTypeIT0_Lb1EE4typeES8_NS0_13TensorArgTypeES9_S9_EUllE_EEvNS0_6detail10TensorInfoIT_T1_EESF_NSC_IKS6_SE_EElS8_S8_SE_T6_
	.globl	_ZN2at4cuda17kernelHistogram1DIlslLi1ELi2ELin1ELNS0_23CUDAHistogramMemoryTypeE0EZNS0_21CUDA_tensor_histogramIlsLb0EEEbNS_6TensorES4_S4_lNS_14AccumulateTypeIT0_Lb1EE4typeES8_NS0_13TensorArgTypeES9_S9_EUllE_EEvNS0_6detail10TensorInfoIT_T1_EESF_NSC_IKS6_SE_EElS8_S8_SE_T6_
	.p2align	8
	.type	_ZN2at4cuda17kernelHistogram1DIlslLi1ELi2ELin1ELNS0_23CUDAHistogramMemoryTypeE0EZNS0_21CUDA_tensor_histogramIlsLb0EEEbNS_6TensorES4_S4_lNS_14AccumulateTypeIT0_Lb1EE4typeES8_NS0_13TensorArgTypeES9_S9_EUllE_EEvNS0_6detail10TensorInfoIT_T1_EESF_NSC_IKS6_SE_EElS8_S8_SE_T6_,@function
_ZN2at4cuda17kernelHistogram1DIlslLi1ELi2ELin1ELNS0_23CUDAHistogramMemoryTypeE0EZNS0_21CUDA_tensor_histogramIlsLb0EEEbNS_6TensorES4_S4_lNS_14AccumulateTypeIT0_Lb1EE4typeES8_NS0_13TensorArgTypeES9_S9_EUllE_EEvNS0_6detail10TensorInfoIT_T1_EESF_NSC_IKS6_SE_EElS8_S8_SE_T6_: ; @_ZN2at4cuda17kernelHistogram1DIlslLi1ELi2ELin1ELNS0_23CUDAHistogramMemoryTypeE0EZNS0_21CUDA_tensor_histogramIlsLb0EEEbNS_6TensorES4_S4_lNS_14AccumulateTypeIT0_Lb1EE4typeES8_NS0_13TensorArgTypeES9_S9_EUllE_EEvNS0_6detail10TensorInfoIT_T1_EESF_NSC_IKS6_SE_EElS8_S8_SE_T6_
; %bb.0:
	s_clause 0x2
	s_load_b128 s[12:15], s[0:1], 0x0
	s_load_b64 s[16:17], s[0:1], 0x500
	s_load_b256 s[4:11], s[0:1], 0x4e0
	v_mov_b32_e32 v1, 0
	s_add_nc_u64 s[28:29], s[0:1], 0x6a0
	s_mov_b32 s3, exec_lo
                                        ; implicit-def: $sgpr18
                                        ; implicit-def: $sgpr19
	s_wait_kmcnt 0x0
	s_delay_alu instid0(VALU_DEP_1)
	v_cmp_gt_i64_e64 s2, s[14:15], v[0:1]
	v_cmpx_le_i64_e64 s[14:15], v[0:1]
	s_xor_b32 s3, exec_lo, s3
	s_cbranch_execz .LBB52_2
; %bb.1:
	s_load_b32 s18, s[28:29], 0xc
	s_wait_kmcnt 0x0
	s_and_b32 s19, s18, 0xffff
.LBB52_2:
	s_or_saveexec_b32 s3, s3
	v_dual_mov_b32 v16, s18 :: v_dual_mov_b32 v15, s19
	v_lshl_add_u32 v14, v0, 3, 0
	s_xor_b32 exec_lo, exec_lo, s3
	s_cbranch_execz .LBB52_6
; %bb.3:
	s_load_b32 s20, s[28:29], 0xc
	v_mov_b64_e32 v[2:3], 0
	v_mov_b64_e32 v[4:5], v[0:1]
	v_lshl_add_u32 v6, v0, 3, 0
	s_mov_b32 s19, 0
	s_delay_alu instid0(SALU_CYCLE_1) | instskip(SKIP_2) | instid1(SALU_CYCLE_1)
	s_mov_b32 s21, s19
	s_wait_kmcnt 0x0
	s_and_b32 s18, s20, 0xffff
	s_lshl_b32 s22, s18, 3
.LBB52_4:                               ; =>This Inner Loop Header: Depth=1
	v_add_nc_u64_e32 v[4:5], s[18:19], v[4:5]
	ds_store_b64 v6, v[2:3]
	v_add_nc_u32_e32 v6, s22, v6
	v_cmp_le_i64_e32 vcc_lo, s[14:15], v[4:5]
	s_or_b32 s21, vcc_lo, s21
	s_delay_alu instid0(SALU_CYCLE_1)
	s_and_not1_b32 exec_lo, exec_lo, s21
	s_cbranch_execnz .LBB52_4
; %bb.5:
	s_or_b32 exec_lo, exec_lo, s21
	v_dual_mov_b32 v16, s20 :: v_dual_mov_b32 v15, s18
.LBB52_6:
	s_or_b32 exec_lo, exec_lo, s3
	s_bfe_u32 s3, ttmp6, 0x4000c
	s_clause 0x1
	s_load_b64 s[18:19], s[0:1], 0xd0
	s_load_b64 s[20:21], s[0:1], 0x5d0
	s_add_co_i32 s3, s3, 1
	s_and_b32 s22, ttmp6, 15
	s_mul_i32 s3, ttmp9, s3
	s_getreg_b32 s23, hwreg(HW_REG_IB_STS2, 6, 4)
	s_add_co_i32 s22, s22, s3
	s_cmp_eq_u32 s23, 0
	v_mov_b32_e32 v4, 0
	s_cselect_b32 s3, ttmp9, s22
	s_mov_b32 s23, 0
	v_mad_u32 v2, s3, v15, v0
	s_mov_b32 s3, exec_lo
	v_mov_b32_e32 v3, v4
	s_wait_dscnt 0x0
	s_barrier_signal -1
	s_barrier_wait -1
	s_delay_alu instid0(VALU_DEP_1)
	v_cmpx_gt_i64_e64 s[10:11], v[2:3]
	s_cbranch_execz .LBB52_22
; %bb.7:
	s_load_b32 s33, s[0:1], 0x4d8
	s_load_b32 s22, s[28:29], 0x0
	s_clause 0x1
	s_load_b64 s[24:25], s[0:1], 0x410
	s_load_b64 s[26:27], s[0:1], 0x340
	s_add_nc_u64 s[34:35], s[0:1], 0x340
	v_mov_b32_e32 v7, v4
	s_wait_xcnt 0x0
	s_sub_nc_u64 s[28:29], s[8:9], s[6:7]
	s_mov_b64 s[30:31], 0xffffffff
	s_mov_b32 s46, 0
	s_wait_kmcnt 0x0
	s_cmp_gt_i32 s33, 1
	v_mul_lo_u32 v6, s22, v15
	s_cselect_b32 s1, -1, 0
	s_add_co_i32 s22, s33, -1
	s_add_co_i32 s33, s33, 1
	s_lshl_b64 s[36:37], s[22:23], 3
	s_delay_alu instid0(SALU_CYCLE_1)
	s_add_nc_u64 s[34:35], s[34:35], s[36:37]
	s_ashr_i32 s36, s29, 31
	s_add_nc_u64 s[34:35], s[34:35], 8
	s_branch .LBB52_10
.LBB52_8:                               ;   in Loop: Header=BB52_10 Depth=1
	s_or_b32 exec_lo, exec_lo, s0
	v_mul_u64_e32 v[8:9], s[20:21], v[2:3]
	s_delay_alu instid0(VALU_DEP_2) | instskip(NEXT) | instid1(VALU_DEP_1)
	v_ashrrev_i32_e32 v11, 31, v10
	v_cmp_eq_u64_e32 vcc_lo, s[4:5], v[10:11]
	v_subrev_co_ci_u32_e64 v5, null, 0, v10, vcc_lo
	s_delay_alu instid0(VALU_DEP_1)
	v_lshl_add_u32 v5, v5, 3, 0
	v_lshl_add_u64 v[8:9], v[8:9], 3, s[16:17]
	global_load_b64 v[8:9], v[8:9], off
	s_wait_loadcnt 0x0
	ds_add_u64 v5, v[8:9]
.LBB52_9:                               ;   in Loop: Header=BB52_10 Depth=1
	s_wait_xcnt 0x0
	s_or_b32 exec_lo, exec_lo, s40
	v_add_nc_u64_e32 v[2:3], v[2:3], v[6:7]
	s_delay_alu instid0(VALU_DEP_1) | instskip(SKIP_1) | instid1(SALU_CYCLE_1)
	v_cmp_le_i64_e32 vcc_lo, s[10:11], v[2:3]
	s_or_b32 s46, vcc_lo, s46
	s_and_not1_b32 exec_lo, exec_lo, s46
	s_cbranch_execz .LBB52_22
.LBB52_10:                              ; =>This Loop Header: Depth=1
                                        ;     Child Loop BB52_11 Depth 2
	v_mov_b64_e32 v[8:9], 0
	v_mov_b64_e32 v[10:11], v[2:3]
	;; [unrolled: 1-line block ×3, first 2 shown]
	s_and_not1_b32 vcc_lo, exec_lo, s1
	s_mov_b64 s[38:39], s[34:35]
	s_mov_b32 s37, s33
	s_cbranch_vccnz .LBB52_17
.LBB52_11:                              ;   Parent Loop BB52_10 Depth=1
                                        ; =>  This Inner Loop Header: Depth=2
	s_load_b64 s[40:41], s[38:39], 0x0
                                        ; implicit-def: $vgpr12_vgpr13
	s_mov_b32 s0, exec_lo
	s_wait_kmcnt 0x0
	s_delay_alu instid0(VALU_DEP_1) | instskip(NEXT) | instid1(VALU_DEP_1)
	v_or_b32_e32 v5, s41, v11
	v_cmpx_ne_u64_e32 0, v[4:5]
	s_xor_b32 s47, exec_lo, s0
	s_cbranch_execz .LBB52_13
; %bb.12:                               ;   in Loop: Header=BB52_11 Depth=2
	s_ashr_i32 s42, s41, 31
	v_dual_mov_b32 v21, v4 :: v_dual_ashrrev_i32 v12, 31, v11
	s_mov_b32 s43, s42
	v_mov_b32_e32 v29, v4
	s_add_nc_u64 s[44:45], s[40:41], s[42:43]
	s_delay_alu instid0(VALU_DEP_2) | instskip(SKIP_1) | instid1(SALU_CYCLE_1)
	v_mov_b32_e32 v13, v12
	s_xor_b64 s[44:45], s[44:45], s[42:43]
	s_cvt_f32_u32 s0, s44
	s_cvt_f32_u32 s22, s45
	s_sub_nc_u64 s[50:51], 0, s[44:45]
	v_add_nc_u64_e32 v[18:19], v[10:11], v[12:13]
	v_mov_b32_e32 v25, v4
	s_fmamk_f32 s0, s22, 0x4f800000, s0
	s_delay_alu instid0(SALU_CYCLE_3) | instskip(NEXT) | instid1(VALU_DEP_2)
	v_s_rcp_f32 s0, s0
	v_xor_b32_e32 v20, v18, v12
	s_delay_alu instid0(VALU_DEP_3) | instskip(SKIP_1) | instid1(TRANS32_DEP_1)
	v_xor_b32_e32 v24, v19, v12
	v_xor_b32_e32 v12, s42, v12
	s_mul_f32 s0, s0, 0x5f7ffffc
	s_delay_alu instid0(SALU_CYCLE_3) | instskip(NEXT) | instid1(SALU_CYCLE_3)
	s_mul_f32 s22, s0, 0x2f800000
	s_trunc_f32 s22, s22
	s_delay_alu instid0(SALU_CYCLE_3) | instskip(SKIP_1) | instid1(SALU_CYCLE_2)
	s_fmamk_f32 s0, s22, 0xcf800000, s0
	s_cvt_u32_f32 s49, s22
	s_cvt_u32_f32 s48, s0
	s_delay_alu instid0(SALU_CYCLE_3) | instskip(NEXT) | instid1(SALU_CYCLE_1)
	s_mul_u64 s[52:53], s[50:51], s[48:49]
	s_mul_hi_u32 s55, s48, s53
	s_mul_i32 s54, s48, s53
	s_mul_hi_u32 s22, s48, s52
	s_mul_i32 s43, s49, s52
	s_add_nc_u64 s[54:55], s[22:23], s[54:55]
	s_mul_hi_u32 s0, s49, s52
	s_mul_hi_u32 s56, s49, s53
	s_add_co_u32 s22, s54, s43
	s_add_co_ci_u32 s22, s55, s0
	s_mul_i32 s52, s49, s53
	s_add_co_ci_u32 s53, s56, 0
	s_delay_alu instid0(SALU_CYCLE_1) | instskip(NEXT) | instid1(SALU_CYCLE_1)
	s_add_nc_u64 s[52:53], s[22:23], s[52:53]
	s_add_co_u32 s48, s48, s52
	s_cselect_b32 s0, -1, 0
	s_delay_alu instid0(SALU_CYCLE_1) | instskip(SKIP_1) | instid1(SALU_CYCLE_1)
	s_cmp_lg_u32 s0, 0
	s_add_co_ci_u32 s49, s49, s53
	s_mul_u64 s[50:51], s[50:51], s[48:49]
	s_delay_alu instid0(SALU_CYCLE_1)
	s_mul_hi_u32 s53, s48, s51
	s_mul_i32 s52, s48, s51
	s_mul_hi_u32 s22, s48, s50
	s_mul_i32 s43, s49, s50
	s_add_nc_u64 s[52:53], s[22:23], s[52:53]
	s_mul_hi_u32 s0, s49, s50
	s_mul_hi_u32 s54, s49, s51
	s_add_co_u32 s22, s52, s43
	s_add_co_ci_u32 s22, s53, s0
	s_mul_i32 s50, s49, s51
	s_add_co_ci_u32 s51, s54, 0
	s_delay_alu instid0(SALU_CYCLE_1) | instskip(NEXT) | instid1(SALU_CYCLE_1)
	s_add_nc_u64 s[50:51], s[22:23], s[50:51]
	s_add_co_u32 s0, s48, s50
	s_cselect_b32 s22, -1, 0
	v_mul_hi_u32 v28, v20, s0
	s_cmp_lg_u32 s22, 0
	s_add_co_ci_u32 s22, s49, s51
	s_and_b64 s[48:49], s[0:1], s[30:31]
	v_mul_u64_e32 v[22:23], s[22:23], v[20:21]
	v_mul_u64_e32 v[18:19], s[48:49], v[24:25]
	;; [unrolled: 1-line block ×3, first 2 shown]
	s_delay_alu instid0(VALU_DEP_3) | instskip(NEXT) | instid1(VALU_DEP_1)
	v_add_nc_u64_e32 v[22:23], v[28:29], v[22:23]
	v_add_co_u32 v5, vcc_lo, v22, v18
	s_delay_alu instid0(VALU_DEP_2) | instskip(NEXT) | instid1(VALU_DEP_4)
	v_add_co_ci_u32_e32 v28, vcc_lo, v23, v19, vcc_lo
	v_add_co_ci_u32_e32 v27, vcc_lo, 0, v27, vcc_lo
	s_delay_alu instid0(VALU_DEP_1) | instskip(NEXT) | instid1(VALU_DEP_1)
	v_add_nc_u64_e32 v[18:19], v[28:29], v[26:27]
	v_mul_u64_e32 v[22:23], s[44:45], v[18:19]
	s_delay_alu instid0(VALU_DEP_1) | instskip(NEXT) | instid1(VALU_DEP_2)
	v_sub_nc_u32_e32 v5, v24, v23
	v_sub_co_u32 v13, vcc_lo, v20, v22
	s_delay_alu instid0(VALU_DEP_1) | instskip(NEXT) | instid1(VALU_DEP_3)
	v_sub_co_ci_u32_e64 v24, null, v24, v23, vcc_lo
	v_subrev_co_ci_u32_e64 v5, null, s45, v5, vcc_lo
	s_delay_alu instid0(VALU_DEP_3) | instskip(SKIP_1) | instid1(VALU_DEP_3)
	v_sub_co_u32 v17, s0, v13, s44
	v_add_nc_u64_e32 v[22:23], 1, v[18:19]
	v_subrev_co_ci_u32_e64 v5, null, 0, v5, s0
	s_delay_alu instid0(VALU_DEP_3) | instskip(SKIP_1) | instid1(VALU_DEP_3)
	v_cmp_le_u32_e32 vcc_lo, s44, v17
	v_cndmask_b32_e64 v17, 0, -1, vcc_lo
	v_cmp_le_u32_e32 vcc_lo, s45, v5
	v_cndmask_b32_e64 v20, 0, -1, vcc_lo
	;; [unrolled: 2-line block ×4, first 2 shown]
	v_cmp_eq_u32_e32 vcc_lo, s45, v5
	v_cndmask_b32_e32 v5, v20, v17, vcc_lo
	v_cmp_eq_u32_e32 vcc_lo, s45, v24
	v_add_nc_u64_e32 v[20:21], 2, v[18:19]
	v_cndmask_b32_e32 v13, v25, v13, vcc_lo
	s_delay_alu instid0(VALU_DEP_4) | instskip(NEXT) | instid1(VALU_DEP_2)
	v_cmp_ne_u32_e32 vcc_lo, 0, v5
	v_cmp_ne_u32_e64 s0, 0, v13
	s_delay_alu instid0(VALU_DEP_4) | instskip(NEXT) | instid1(VALU_DEP_1)
	v_dual_cndmask_b32 v5, v23, v21, vcc_lo :: v_dual_cndmask_b32 v13, v22, v20, vcc_lo
	v_dual_cndmask_b32 v17, v18, v13, s0 :: v_dual_mov_b32 v13, v12
	s_delay_alu instid0(VALU_DEP_1) | instskip(NEXT) | instid1(VALU_DEP_1)
	v_dual_cndmask_b32 v5, v19, v5, s0 :: v_dual_bitop2_b32 v18, v17, v12 bitop3:0x14
	v_xor_b32_e32 v19, v5, v12
	s_delay_alu instid0(VALU_DEP_1)
	v_sub_nc_u64_e32 v[12:13], v[18:19], v[12:13]
.LBB52_13:                              ;   in Loop: Header=BB52_11 Depth=2
	s_and_not1_saveexec_b32 s0, s47
	s_cbranch_execz .LBB52_15
; %bb.14:                               ;   in Loop: Header=BB52_11 Depth=2
	v_cvt_f32_u32_e32 v5, s40
	s_sub_co_i32 s22, 0, s40
	s_delay_alu instid0(VALU_DEP_1) | instskip(SKIP_1) | instid1(TRANS32_DEP_1)
	v_rcp_iflag_f32_e32 v5, v5
	v_nop
	v_mul_f32_e32 v5, 0x4f7ffffe, v5
	s_delay_alu instid0(VALU_DEP_1) | instskip(NEXT) | instid1(VALU_DEP_1)
	v_cvt_u32_f32_e32 v5, v5
	v_mul_lo_u32 v12, s22, v5
	s_delay_alu instid0(VALU_DEP_1) | instskip(NEXT) | instid1(VALU_DEP_1)
	v_mul_hi_u32 v12, v5, v12
	v_add_nc_u32_e32 v5, v5, v12
	s_delay_alu instid0(VALU_DEP_1) | instskip(NEXT) | instid1(VALU_DEP_1)
	v_mul_hi_u32 v5, v10, v5
	v_mul_lo_u32 v12, v5, s40
	s_delay_alu instid0(VALU_DEP_1) | instskip(NEXT) | instid1(VALU_DEP_1)
	v_dual_add_nc_u32 v13, 1, v5 :: v_dual_sub_nc_u32 v12, v10, v12
	v_subrev_nc_u32_e32 v17, s40, v12
	v_cmp_le_u32_e32 vcc_lo, s40, v12
	s_delay_alu instid0(VALU_DEP_2) | instskip(NEXT) | instid1(VALU_DEP_4)
	v_cndmask_b32_e32 v12, v12, v17, vcc_lo
	v_cndmask_b32_e32 v5, v5, v13, vcc_lo
	s_delay_alu instid0(VALU_DEP_2) | instskip(NEXT) | instid1(VALU_DEP_2)
	v_cmp_le_u32_e32 vcc_lo, s40, v12
	v_add_nc_u32_e32 v13, 1, v5
	s_delay_alu instid0(VALU_DEP_1)
	v_dual_cndmask_b32 v12, v5, v13 :: v_dual_mov_b32 v13, v4
.LBB52_15:                              ;   in Loop: Header=BB52_11 Depth=2
	s_or_b32 exec_lo, exec_lo, s0
	s_delay_alu instid0(VALU_DEP_1)
	v_mul_u64_e32 v[18:19], s[40:41], v[12:13]
	s_load_b64 s[40:41], s[38:39], 0xc8
	s_add_co_i32 s37, s37, -1
	s_wait_xcnt 0x0
	s_add_nc_u64 s[38:39], s[38:39], -8
	s_cmp_gt_u32 s37, 2
	s_delay_alu instid0(VALU_DEP_1) | instskip(SKIP_1) | instid1(VALU_DEP_1)
	v_sub_nc_u64_e32 v[10:11], v[10:11], v[18:19]
	s_wait_kmcnt 0x0
	v_mad_nc_u64_u32 v[8:9], s40, v10, v[8:9]
	s_delay_alu instid0(VALU_DEP_1) | instskip(NEXT) | instid1(VALU_DEP_1)
	v_mad_u32 v5, s41, v10, v9
	v_mad_u32 v9, s40, v11, v5
	s_cbranch_scc0 .LBB52_17
; %bb.16:                               ;   in Loop: Header=BB52_11 Depth=2
	v_mov_b64_e32 v[10:11], v[12:13]
	s_branch .LBB52_11
.LBB52_17:                              ;   in Loop: Header=BB52_10 Depth=1
	s_delay_alu instid0(VALU_DEP_1) | instskip(NEXT) | instid1(VALU_DEP_1)
	v_mul_u64_e32 v[10:11], s[24:25], v[12:13]
	v_lshl_add_u64 v[10:11], v[10:11], 1, s[26:27]
	s_delay_alu instid0(VALU_DEP_1) | instskip(SKIP_4) | instid1(VALU_DEP_1)
	v_lshl_add_u64 v[8:9], v[8:9], 1, v[10:11]
	global_load_u16 v5, v[8:9], off
	s_wait_loadcnt 0x0
	s_wait_xcnt 0x0
	v_bfe_i32 v8, v5, 0, 16
	v_ashrrev_i32_e32 v9, 31, v8
	s_delay_alu instid0(VALU_DEP_1) | instskip(SKIP_2) | instid1(SALU_CYCLE_1)
	v_cmp_le_i64_e32 vcc_lo, s[6:7], v[8:9]
	v_cmp_ge_i64_e64 s0, s[8:9], v[8:9]
	s_and_b32 s0, vcc_lo, s0
	s_and_saveexec_b32 s40, s0
	s_cbranch_execz .LBB52_9
; %bb.18:                               ;   in Loop: Header=BB52_10 Depth=1
	v_sub_nc_u64_e64 v[8:9], v[8:9], s[6:7]
                                        ; implicit-def: $vgpr10_vgpr11
	s_mov_b32 s0, exec_lo
	s_delay_alu instid0(VALU_DEP_1) | instskip(NEXT) | instid1(VALU_DEP_1)
	v_mul_u64_e32 v[8:9], s[4:5], v[8:9]
	v_or_b32_e32 v5, s29, v9
	s_delay_alu instid0(VALU_DEP_1)
	v_cmpx_ne_u64_e32 0, v[4:5]
	s_xor_b32 s41, exec_lo, s0
	s_cbranch_execz .LBB52_20
; %bb.19:                               ;   in Loop: Header=BB52_10 Depth=1
	s_mov_b32 s37, s36
	v_dual_mov_b32 v13, v4 :: v_dual_ashrrev_i32 v10, 31, v9
	s_add_nc_u64 s[38:39], s[28:29], s[36:37]
	v_mov_b32_e32 v25, v4
	s_xor_b64 s[38:39], s[38:39], s[36:37]
	s_delay_alu instid0(VALU_DEP_2) | instskip(SKIP_3) | instid1(VALU_DEP_1)
	v_mov_b32_e32 v11, v10
	s_cvt_f32_u32 s0, s38
	s_cvt_f32_u32 s22, s39
	s_sub_nc_u64 s[44:45], 0, s[38:39]
	v_add_nc_u64_e32 v[8:9], v[8:9], v[10:11]
	s_delay_alu instid0(SALU_CYCLE_1) | instskip(SKIP_1) | instid1(SALU_CYCLE_2)
	s_fmamk_f32 s0, s22, 0x4f800000, s0
	v_mov_b32_e32 v21, v4
	v_s_rcp_f32 s0, s0
	s_delay_alu instid0(VALU_DEP_2) | instskip(NEXT) | instid1(VALU_DEP_3)
	v_xor_b32_e32 v12, v8, v10
	v_xor_b32_e32 v20, v9, v10
	s_delay_alu instid0(TRANS32_DEP_1) | instskip(NEXT) | instid1(SALU_CYCLE_3)
	s_mul_f32 s0, s0, 0x5f7ffffc
	s_mul_f32 s22, s0, 0x2f800000
	s_delay_alu instid0(SALU_CYCLE_3) | instskip(NEXT) | instid1(SALU_CYCLE_3)
	s_trunc_f32 s22, s22
	s_fmamk_f32 s0, s22, 0xcf800000, s0
	s_cvt_u32_f32 s43, s22
	s_delay_alu instid0(SALU_CYCLE_2) | instskip(NEXT) | instid1(SALU_CYCLE_3)
	s_cvt_u32_f32 s42, s0
	s_mul_u64 s[48:49], s[44:45], s[42:43]
	s_delay_alu instid0(SALU_CYCLE_1)
	s_mul_hi_u32 s51, s42, s49
	s_mul_i32 s50, s42, s49
	s_mul_hi_u32 s22, s42, s48
	s_mul_i32 s37, s43, s48
	s_add_nc_u64 s[50:51], s[22:23], s[50:51]
	s_mul_hi_u32 s0, s43, s48
	s_mul_hi_u32 s47, s43, s49
	s_add_co_u32 s22, s50, s37
	s_add_co_ci_u32 s22, s51, s0
	s_mul_i32 s48, s43, s49
	s_add_co_ci_u32 s49, s47, 0
	s_delay_alu instid0(SALU_CYCLE_1) | instskip(NEXT) | instid1(SALU_CYCLE_1)
	s_add_nc_u64 s[48:49], s[22:23], s[48:49]
	s_add_co_u32 s42, s42, s48
	s_cselect_b32 s0, -1, 0
	s_delay_alu instid0(SALU_CYCLE_1) | instskip(SKIP_1) | instid1(SALU_CYCLE_1)
	s_cmp_lg_u32 s0, 0
	s_add_co_ci_u32 s43, s43, s49
	s_mul_u64 s[44:45], s[44:45], s[42:43]
	s_delay_alu instid0(SALU_CYCLE_1)
	s_mul_hi_u32 s49, s42, s45
	s_mul_i32 s48, s42, s45
	s_mul_hi_u32 s22, s42, s44
	s_mul_i32 s37, s43, s44
	s_add_nc_u64 s[48:49], s[22:23], s[48:49]
	s_mul_hi_u32 s0, s43, s44
	s_mul_hi_u32 s47, s43, s45
	s_add_co_u32 s22, s48, s37
	s_add_co_ci_u32 s22, s49, s0
	s_mul_i32 s44, s43, s45
	s_add_co_ci_u32 s45, s47, 0
	s_delay_alu instid0(SALU_CYCLE_1) | instskip(NEXT) | instid1(SALU_CYCLE_1)
	s_add_nc_u64 s[44:45], s[22:23], s[44:45]
	s_add_co_u32 s0, s42, s44
	s_cselect_b32 s22, -1, 0
	v_mul_hi_u32 v24, v12, s0
	s_cmp_lg_u32 s22, 0
	s_add_co_ci_u32 s22, s43, s45
	s_and_b64 s[42:43], s[0:1], s[30:31]
	v_mul_u64_e32 v[18:19], s[22:23], v[12:13]
	v_mul_u64_e32 v[8:9], s[42:43], v[20:21]
	;; [unrolled: 1-line block ×3, first 2 shown]
	s_delay_alu instid0(VALU_DEP_3) | instskip(NEXT) | instid1(VALU_DEP_1)
	v_add_nc_u64_e32 v[18:19], v[24:25], v[18:19]
	v_add_co_u32 v5, vcc_lo, v18, v8
	s_delay_alu instid0(VALU_DEP_2) | instskip(NEXT) | instid1(VALU_DEP_4)
	v_add_co_ci_u32_e32 v24, vcc_lo, v19, v9, vcc_lo
	v_add_co_ci_u32_e32 v23, vcc_lo, 0, v23, vcc_lo
	s_delay_alu instid0(VALU_DEP_1) | instskip(NEXT) | instid1(VALU_DEP_1)
	v_add_nc_u64_e32 v[8:9], v[24:25], v[22:23]
	v_mul_u64_e32 v[18:19], s[38:39], v[8:9]
	s_delay_alu instid0(VALU_DEP_1) | instskip(NEXT) | instid1(VALU_DEP_2)
	v_sub_nc_u32_e32 v5, v20, v19
	v_sub_co_u32 v11, vcc_lo, v12, v18
	s_delay_alu instid0(VALU_DEP_1) | instskip(NEXT) | instid1(VALU_DEP_3)
	v_sub_co_ci_u32_e64 v17, null, v20, v19, vcc_lo
	v_subrev_co_ci_u32_e64 v5, null, s39, v5, vcc_lo
	s_delay_alu instid0(VALU_DEP_3) | instskip(SKIP_1) | instid1(VALU_DEP_3)
	v_sub_co_u32 v12, s0, v11, s38
	v_add_nc_u64_e32 v[18:19], 1, v[8:9]
	v_subrev_co_ci_u32_e64 v5, null, 0, v5, s0
	s_delay_alu instid0(VALU_DEP_3) | instskip(SKIP_1) | instid1(VALU_DEP_3)
	v_cmp_le_u32_e32 vcc_lo, s38, v12
	v_cndmask_b32_e64 v12, 0, -1, vcc_lo
	v_cmp_le_u32_e32 vcc_lo, s39, v5
	v_cndmask_b32_e64 v13, 0, -1, vcc_lo
	;; [unrolled: 2-line block ×4, first 2 shown]
	v_cmp_eq_u32_e32 vcc_lo, s39, v5
	v_cndmask_b32_e32 v5, v13, v12, vcc_lo
	v_cmp_eq_u32_e32 vcc_lo, s39, v17
	v_add_nc_u64_e32 v[12:13], 2, v[8:9]
	v_cndmask_b32_e32 v11, v20, v11, vcc_lo
	s_delay_alu instid0(VALU_DEP_4) | instskip(NEXT) | instid1(VALU_DEP_3)
	v_cmp_ne_u32_e32 vcc_lo, 0, v5
	v_cndmask_b32_e32 v5, v19, v13, vcc_lo
	s_delay_alu instid0(VALU_DEP_3) | instskip(SKIP_1) | instid1(VALU_DEP_1)
	v_cmp_ne_u32_e64 s0, 0, v11
	v_dual_cndmask_b32 v11, v18, v12, vcc_lo :: v_dual_bitop2_b32 v10, s36, v10 bitop3:0x14
	v_dual_cndmask_b32 v5, v9, v5, s0 :: v_dual_cndmask_b32 v8, v8, v11, s0
	s_delay_alu instid0(VALU_DEP_1) | instskip(NEXT) | instid1(VALU_DEP_2)
	v_dual_mov_b32 v11, v10 :: v_dual_bitop2_b32 v9, v5, v10 bitop3:0x14
	v_xor_b32_e32 v8, v8, v10
	s_delay_alu instid0(VALU_DEP_1)
	v_sub_nc_u64_e32 v[10:11], v[8:9], v[10:11]
                                        ; implicit-def: $vgpr8_vgpr9
.LBB52_20:                              ;   in Loop: Header=BB52_10 Depth=1
	s_and_not1_saveexec_b32 s0, s41
	s_cbranch_execz .LBB52_8
; %bb.21:                               ;   in Loop: Header=BB52_10 Depth=1
	v_cvt_f32_u32_e32 v5, s28
	s_sub_co_i32 s22, 0, s28
	s_delay_alu instid0(VALU_DEP_1) | instskip(SKIP_1) | instid1(TRANS32_DEP_1)
	v_rcp_iflag_f32_e32 v5, v5
	v_nop
	v_mul_f32_e32 v5, 0x4f7ffffe, v5
	s_delay_alu instid0(VALU_DEP_1) | instskip(NEXT) | instid1(VALU_DEP_1)
	v_cvt_u32_f32_e32 v5, v5
	v_mul_lo_u32 v9, s22, v5
	s_delay_alu instid0(VALU_DEP_1) | instskip(NEXT) | instid1(VALU_DEP_1)
	v_mul_hi_u32 v9, v5, v9
	v_add_nc_u32_e32 v5, v5, v9
	s_delay_alu instid0(VALU_DEP_1) | instskip(NEXT) | instid1(VALU_DEP_1)
	v_mul_hi_u32 v5, v8, v5
	v_mul_lo_u32 v9, v5, s28
	s_delay_alu instid0(VALU_DEP_1) | instskip(SKIP_1) | instid1(VALU_DEP_2)
	v_sub_nc_u32_e32 v8, v8, v9
	v_add_nc_u32_e32 v9, 1, v5
	v_subrev_nc_u32_e32 v10, s28, v8
	v_cmp_le_u32_e32 vcc_lo, s28, v8
	s_delay_alu instid0(VALU_DEP_2) | instskip(NEXT) | instid1(VALU_DEP_1)
	v_dual_cndmask_b32 v8, v8, v10 :: v_dual_cndmask_b32 v5, v5, v9
	v_cmp_le_u32_e32 vcc_lo, s28, v8
	s_delay_alu instid0(VALU_DEP_2) | instskip(NEXT) | instid1(VALU_DEP_1)
	v_add_nc_u32_e32 v9, 1, v5
	v_cndmask_b32_e32 v10, v5, v9, vcc_lo
	s_branch .LBB52_8
.LBB52_22:
	s_or_b32 exec_lo, exec_lo, s3
; %bb.23:
	s_wait_dscnt 0x0
	s_barrier_signal -1
	s_barrier_wait -1
	s_wait_xcnt 0x0
	s_and_saveexec_b32 s0, s2
	s_cbranch_execz .LBB52_26
; %bb.24:
	s_mov_b32 s0, 0
	v_and_b32_e32 v2, 0xffff, v16
	v_dual_mov_b32 v3, s0 :: v_dual_lshlrev_b32 v8, 3, v15
	s_wait_kmcnt 0x0
	v_mul_u64_e32 v[6:7], s[18:19], v[0:1]
	s_delay_alu instid0(VALU_DEP_2) | instskip(NEXT) | instid1(VALU_DEP_2)
	v_mul_u64_e32 v[4:5], s[18:19], v[2:3]
	v_lshl_add_u64 v[6:7], v[6:7], 3, s[12:13]
	s_delay_alu instid0(VALU_DEP_2)
	v_lshlrev_b64_e32 v[4:5], 3, v[4:5]
.LBB52_25:                              ; =>This Inner Loop Header: Depth=1
	ds_load_b64 v[10:11], v14
	v_add_nc_u64_e32 v[0:1], v[0:1], v[2:3]
	v_add_nc_u32_e32 v14, v14, v8
	s_delay_alu instid0(VALU_DEP_2)
	v_cmp_le_i64_e32 vcc_lo, s[14:15], v[0:1]
	s_or_b32 s0, vcc_lo, s0
	s_wait_dscnt 0x0
	global_atomic_add_u64 v[6:7], v[10:11], off scope:SCOPE_SYS
	s_wait_xcnt 0x0
	v_add_nc_u64_e32 v[6:7], v[6:7], v[4:5]
	s_and_not1_b32 exec_lo, exec_lo, s0
	s_cbranch_execnz .LBB52_25
.LBB52_26:
	s_endpgm
	.section	.rodata,"a",@progbits
	.p2align	6, 0x0
	.amdhsa_kernel _ZN2at4cuda17kernelHistogram1DIlslLi1ELi2ELin1ELNS0_23CUDAHistogramMemoryTypeE0EZNS0_21CUDA_tensor_histogramIlsLb0EEEbNS_6TensorES4_S4_lNS_14AccumulateTypeIT0_Lb1EE4typeES8_NS0_13TensorArgTypeES9_S9_EUllE_EEvNS0_6detail10TensorInfoIT_T1_EESF_NSC_IKS6_SE_EElS8_S8_SE_T6_
		.amdhsa_group_segment_fixed_size 0
		.amdhsa_private_segment_fixed_size 0
		.amdhsa_kernarg_size 1952
		.amdhsa_user_sgpr_count 2
		.amdhsa_user_sgpr_dispatch_ptr 0
		.amdhsa_user_sgpr_queue_ptr 0
		.amdhsa_user_sgpr_kernarg_segment_ptr 1
		.amdhsa_user_sgpr_dispatch_id 0
		.amdhsa_user_sgpr_kernarg_preload_length 0
		.amdhsa_user_sgpr_kernarg_preload_offset 0
		.amdhsa_user_sgpr_private_segment_size 0
		.amdhsa_wavefront_size32 1
		.amdhsa_uses_dynamic_stack 0
		.amdhsa_enable_private_segment 0
		.amdhsa_system_sgpr_workgroup_id_x 1
		.amdhsa_system_sgpr_workgroup_id_y 0
		.amdhsa_system_sgpr_workgroup_id_z 0
		.amdhsa_system_sgpr_workgroup_info 0
		.amdhsa_system_vgpr_workitem_id 0
		.amdhsa_next_free_vgpr 30
		.amdhsa_next_free_sgpr 57
		.amdhsa_named_barrier_count 0
		.amdhsa_reserve_vcc 1
		.amdhsa_float_round_mode_32 0
		.amdhsa_float_round_mode_16_64 0
		.amdhsa_float_denorm_mode_32 3
		.amdhsa_float_denorm_mode_16_64 3
		.amdhsa_fp16_overflow 0
		.amdhsa_memory_ordered 1
		.amdhsa_forward_progress 1
		.amdhsa_inst_pref_size 19
		.amdhsa_round_robin_scheduling 0
		.amdhsa_exception_fp_ieee_invalid_op 0
		.amdhsa_exception_fp_denorm_src 0
		.amdhsa_exception_fp_ieee_div_zero 0
		.amdhsa_exception_fp_ieee_overflow 0
		.amdhsa_exception_fp_ieee_underflow 0
		.amdhsa_exception_fp_ieee_inexact 0
		.amdhsa_exception_int_div_zero 0
	.end_amdhsa_kernel
	.section	.text._ZN2at4cuda17kernelHistogram1DIlslLi1ELi2ELin1ELNS0_23CUDAHistogramMemoryTypeE0EZNS0_21CUDA_tensor_histogramIlsLb0EEEbNS_6TensorES4_S4_lNS_14AccumulateTypeIT0_Lb1EE4typeES8_NS0_13TensorArgTypeES9_S9_EUllE_EEvNS0_6detail10TensorInfoIT_T1_EESF_NSC_IKS6_SE_EElS8_S8_SE_T6_,"axG",@progbits,_ZN2at4cuda17kernelHistogram1DIlslLi1ELi2ELin1ELNS0_23CUDAHistogramMemoryTypeE0EZNS0_21CUDA_tensor_histogramIlsLb0EEEbNS_6TensorES4_S4_lNS_14AccumulateTypeIT0_Lb1EE4typeES8_NS0_13TensorArgTypeES9_S9_EUllE_EEvNS0_6detail10TensorInfoIT_T1_EESF_NSC_IKS6_SE_EElS8_S8_SE_T6_,comdat
.Lfunc_end52:
	.size	_ZN2at4cuda17kernelHistogram1DIlslLi1ELi2ELin1ELNS0_23CUDAHistogramMemoryTypeE0EZNS0_21CUDA_tensor_histogramIlsLb0EEEbNS_6TensorES4_S4_lNS_14AccumulateTypeIT0_Lb1EE4typeES8_NS0_13TensorArgTypeES9_S9_EUllE_EEvNS0_6detail10TensorInfoIT_T1_EESF_NSC_IKS6_SE_EElS8_S8_SE_T6_, .Lfunc_end52-_ZN2at4cuda17kernelHistogram1DIlslLi1ELi2ELin1ELNS0_23CUDAHistogramMemoryTypeE0EZNS0_21CUDA_tensor_histogramIlsLb0EEEbNS_6TensorES4_S4_lNS_14AccumulateTypeIT0_Lb1EE4typeES8_NS0_13TensorArgTypeES9_S9_EUllE_EEvNS0_6detail10TensorInfoIT_T1_EESF_NSC_IKS6_SE_EElS8_S8_SE_T6_
                                        ; -- End function
	.set _ZN2at4cuda17kernelHistogram1DIlslLi1ELi2ELin1ELNS0_23CUDAHistogramMemoryTypeE0EZNS0_21CUDA_tensor_histogramIlsLb0EEEbNS_6TensorES4_S4_lNS_14AccumulateTypeIT0_Lb1EE4typeES8_NS0_13TensorArgTypeES9_S9_EUllE_EEvNS0_6detail10TensorInfoIT_T1_EESF_NSC_IKS6_SE_EElS8_S8_SE_T6_.num_vgpr, 30
	.set _ZN2at4cuda17kernelHistogram1DIlslLi1ELi2ELin1ELNS0_23CUDAHistogramMemoryTypeE0EZNS0_21CUDA_tensor_histogramIlsLb0EEEbNS_6TensorES4_S4_lNS_14AccumulateTypeIT0_Lb1EE4typeES8_NS0_13TensorArgTypeES9_S9_EUllE_EEvNS0_6detail10TensorInfoIT_T1_EESF_NSC_IKS6_SE_EElS8_S8_SE_T6_.num_agpr, 0
	.set _ZN2at4cuda17kernelHistogram1DIlslLi1ELi2ELin1ELNS0_23CUDAHistogramMemoryTypeE0EZNS0_21CUDA_tensor_histogramIlsLb0EEEbNS_6TensorES4_S4_lNS_14AccumulateTypeIT0_Lb1EE4typeES8_NS0_13TensorArgTypeES9_S9_EUllE_EEvNS0_6detail10TensorInfoIT_T1_EESF_NSC_IKS6_SE_EElS8_S8_SE_T6_.numbered_sgpr, 57
	.set _ZN2at4cuda17kernelHistogram1DIlslLi1ELi2ELin1ELNS0_23CUDAHistogramMemoryTypeE0EZNS0_21CUDA_tensor_histogramIlsLb0EEEbNS_6TensorES4_S4_lNS_14AccumulateTypeIT0_Lb1EE4typeES8_NS0_13TensorArgTypeES9_S9_EUllE_EEvNS0_6detail10TensorInfoIT_T1_EESF_NSC_IKS6_SE_EElS8_S8_SE_T6_.num_named_barrier, 0
	.set _ZN2at4cuda17kernelHistogram1DIlslLi1ELi2ELin1ELNS0_23CUDAHistogramMemoryTypeE0EZNS0_21CUDA_tensor_histogramIlsLb0EEEbNS_6TensorES4_S4_lNS_14AccumulateTypeIT0_Lb1EE4typeES8_NS0_13TensorArgTypeES9_S9_EUllE_EEvNS0_6detail10TensorInfoIT_T1_EESF_NSC_IKS6_SE_EElS8_S8_SE_T6_.private_seg_size, 0
	.set _ZN2at4cuda17kernelHistogram1DIlslLi1ELi2ELin1ELNS0_23CUDAHistogramMemoryTypeE0EZNS0_21CUDA_tensor_histogramIlsLb0EEEbNS_6TensorES4_S4_lNS_14AccumulateTypeIT0_Lb1EE4typeES8_NS0_13TensorArgTypeES9_S9_EUllE_EEvNS0_6detail10TensorInfoIT_T1_EESF_NSC_IKS6_SE_EElS8_S8_SE_T6_.uses_vcc, 1
	.set _ZN2at4cuda17kernelHistogram1DIlslLi1ELi2ELin1ELNS0_23CUDAHistogramMemoryTypeE0EZNS0_21CUDA_tensor_histogramIlsLb0EEEbNS_6TensorES4_S4_lNS_14AccumulateTypeIT0_Lb1EE4typeES8_NS0_13TensorArgTypeES9_S9_EUllE_EEvNS0_6detail10TensorInfoIT_T1_EESF_NSC_IKS6_SE_EElS8_S8_SE_T6_.uses_flat_scratch, 0
	.set _ZN2at4cuda17kernelHistogram1DIlslLi1ELi2ELin1ELNS0_23CUDAHistogramMemoryTypeE0EZNS0_21CUDA_tensor_histogramIlsLb0EEEbNS_6TensorES4_S4_lNS_14AccumulateTypeIT0_Lb1EE4typeES8_NS0_13TensorArgTypeES9_S9_EUllE_EEvNS0_6detail10TensorInfoIT_T1_EESF_NSC_IKS6_SE_EElS8_S8_SE_T6_.has_dyn_sized_stack, 0
	.set _ZN2at4cuda17kernelHistogram1DIlslLi1ELi2ELin1ELNS0_23CUDAHistogramMemoryTypeE0EZNS0_21CUDA_tensor_histogramIlsLb0EEEbNS_6TensorES4_S4_lNS_14AccumulateTypeIT0_Lb1EE4typeES8_NS0_13TensorArgTypeES9_S9_EUllE_EEvNS0_6detail10TensorInfoIT_T1_EESF_NSC_IKS6_SE_EElS8_S8_SE_T6_.has_recursion, 0
	.set _ZN2at4cuda17kernelHistogram1DIlslLi1ELi2ELin1ELNS0_23CUDAHistogramMemoryTypeE0EZNS0_21CUDA_tensor_histogramIlsLb0EEEbNS_6TensorES4_S4_lNS_14AccumulateTypeIT0_Lb1EE4typeES8_NS0_13TensorArgTypeES9_S9_EUllE_EEvNS0_6detail10TensorInfoIT_T1_EESF_NSC_IKS6_SE_EElS8_S8_SE_T6_.has_indirect_call, 0
	.section	.AMDGPU.csdata,"",@progbits
; Kernel info:
; codeLenInByte = 2392
; TotalNumSgprs: 59
; NumVgprs: 30
; ScratchSize: 0
; MemoryBound: 0
; FloatMode: 240
; IeeeMode: 1
; LDSByteSize: 0 bytes/workgroup (compile time only)
; SGPRBlocks: 0
; VGPRBlocks: 1
; NumSGPRsForWavesPerEU: 59
; NumVGPRsForWavesPerEU: 30
; NamedBarCnt: 0
; Occupancy: 16
; WaveLimiterHint : 1
; COMPUTE_PGM_RSRC2:SCRATCH_EN: 0
; COMPUTE_PGM_RSRC2:USER_SGPR: 2
; COMPUTE_PGM_RSRC2:TRAP_HANDLER: 0
; COMPUTE_PGM_RSRC2:TGID_X_EN: 1
; COMPUTE_PGM_RSRC2:TGID_Y_EN: 0
; COMPUTE_PGM_RSRC2:TGID_Z_EN: 0
; COMPUTE_PGM_RSRC2:TIDIG_COMP_CNT: 0
	.section	.text._ZN2at4cuda17kernelHistogram1DIlslLi1ELi2ELin1ELNS0_23CUDAHistogramMemoryTypeE1EZNS0_21CUDA_tensor_histogramIlsLb0EEEbNS_6TensorES4_S4_lNS_14AccumulateTypeIT0_Lb1EE4typeES8_NS0_13TensorArgTypeES9_S9_EUllE_EEvNS0_6detail10TensorInfoIT_T1_EESF_NSC_IKS6_SE_EElS8_S8_SE_T6_,"axG",@progbits,_ZN2at4cuda17kernelHistogram1DIlslLi1ELi2ELin1ELNS0_23CUDAHistogramMemoryTypeE1EZNS0_21CUDA_tensor_histogramIlsLb0EEEbNS_6TensorES4_S4_lNS_14AccumulateTypeIT0_Lb1EE4typeES8_NS0_13TensorArgTypeES9_S9_EUllE_EEvNS0_6detail10TensorInfoIT_T1_EESF_NSC_IKS6_SE_EElS8_S8_SE_T6_,comdat
	.protected	_ZN2at4cuda17kernelHistogram1DIlslLi1ELi2ELin1ELNS0_23CUDAHistogramMemoryTypeE1EZNS0_21CUDA_tensor_histogramIlsLb0EEEbNS_6TensorES4_S4_lNS_14AccumulateTypeIT0_Lb1EE4typeES8_NS0_13TensorArgTypeES9_S9_EUllE_EEvNS0_6detail10TensorInfoIT_T1_EESF_NSC_IKS6_SE_EElS8_S8_SE_T6_ ; -- Begin function _ZN2at4cuda17kernelHistogram1DIlslLi1ELi2ELin1ELNS0_23CUDAHistogramMemoryTypeE1EZNS0_21CUDA_tensor_histogramIlsLb0EEEbNS_6TensorES4_S4_lNS_14AccumulateTypeIT0_Lb1EE4typeES8_NS0_13TensorArgTypeES9_S9_EUllE_EEvNS0_6detail10TensorInfoIT_T1_EESF_NSC_IKS6_SE_EElS8_S8_SE_T6_
	.globl	_ZN2at4cuda17kernelHistogram1DIlslLi1ELi2ELin1ELNS0_23CUDAHistogramMemoryTypeE1EZNS0_21CUDA_tensor_histogramIlsLb0EEEbNS_6TensorES4_S4_lNS_14AccumulateTypeIT0_Lb1EE4typeES8_NS0_13TensorArgTypeES9_S9_EUllE_EEvNS0_6detail10TensorInfoIT_T1_EESF_NSC_IKS6_SE_EElS8_S8_SE_T6_
	.p2align	8
	.type	_ZN2at4cuda17kernelHistogram1DIlslLi1ELi2ELin1ELNS0_23CUDAHistogramMemoryTypeE1EZNS0_21CUDA_tensor_histogramIlsLb0EEEbNS_6TensorES4_S4_lNS_14AccumulateTypeIT0_Lb1EE4typeES8_NS0_13TensorArgTypeES9_S9_EUllE_EEvNS0_6detail10TensorInfoIT_T1_EESF_NSC_IKS6_SE_EElS8_S8_SE_T6_,@function
_ZN2at4cuda17kernelHistogram1DIlslLi1ELi2ELin1ELNS0_23CUDAHistogramMemoryTypeE1EZNS0_21CUDA_tensor_histogramIlsLb0EEEbNS_6TensorES4_S4_lNS_14AccumulateTypeIT0_Lb1EE4typeES8_NS0_13TensorArgTypeES9_S9_EUllE_EEvNS0_6detail10TensorInfoIT_T1_EESF_NSC_IKS6_SE_EElS8_S8_SE_T6_: ; @_ZN2at4cuda17kernelHistogram1DIlslLi1ELi2ELin1ELNS0_23CUDAHistogramMemoryTypeE1EZNS0_21CUDA_tensor_histogramIlsLb0EEEbNS_6TensorES4_S4_lNS_14AccumulateTypeIT0_Lb1EE4typeES8_NS0_13TensorArgTypeES9_S9_EUllE_EEvNS0_6detail10TensorInfoIT_T1_EESF_NSC_IKS6_SE_EElS8_S8_SE_T6_
; %bb.0:
	s_load_b32 s2, s[0:1], 0x6ac
	s_bfe_u32 s12, ttmp6, 0x4000c
	s_load_b256 s[4:11], s[0:1], 0x4e0
	s_add_co_i32 s12, s12, 1
	s_and_b32 s3, ttmp6, 15
	s_mul_i32 s12, ttmp9, s12
	s_getreg_b32 s13, hwreg(HW_REG_IB_STS2, 6, 4)
	s_add_co_i32 s3, s3, s12
	v_mov_b32_e32 v2, 0
	s_mov_b32 s12, exec_lo
	s_delay_alu instid0(VALU_DEP_1) | instskip(SKIP_4) | instid1(SALU_CYCLE_1)
	v_mov_b32_e32 v1, v2
	s_wait_kmcnt 0x0
	s_and_b32 s2, s2, 0xffff
	s_cmp_eq_u32 s13, 0
	s_cselect_b32 s3, ttmp9, s3
	v_mad_u32 v0, s3, s2, v0
	s_mov_b32 s3, 0
	s_delay_alu instid0(VALU_DEP_1)
	v_cmpx_gt_i64_e64 s[10:11], v[0:1]
	s_cbranch_execz .LBB53_16
; %bb.1:
	s_clause 0x1
	s_load_b64 s[12:13], s[0:1], 0x5d0
	s_load_b32 s33, s[0:1], 0x4d8
	s_add_nc_u64 s[24:25], s[0:1], 0x6a0
	s_load_b32 s26, s[24:25], 0x0
	s_clause 0x4
	s_load_b64 s[14:15], s[0:1], 0x500
	s_load_b64 s[16:17], s[0:1], 0x0
	;; [unrolled: 1-line block ×5, first 2 shown]
	s_add_nc_u64 s[30:31], s[0:1], 0x340
	s_wait_xcnt 0x0
	s_sub_nc_u64 s[24:25], s[8:9], s[6:7]
	s_mov_b32 s27, s3
	s_mov_b64 s[28:29], 0xffffffff
	s_mov_b32 s44, 0
	s_wait_kmcnt 0x0
	s_mul_i32 s26, s26, s2
	s_cmp_gt_i32 s33, 1
	s_cselect_b32 s1, -1, 0
	s_add_co_i32 s2, s33, -1
	s_add_co_i32 s33, s33, 1
	s_lshl_b64 s[34:35], s[2:3], 3
	s_delay_alu instid0(SALU_CYCLE_1)
	s_add_nc_u64 s[34:35], s[30:31], s[34:35]
	s_ashr_i32 s30, s25, 31
	s_add_nc_u64 s[34:35], s[34:35], 8
	s_branch .LBB53_4
.LBB53_2:                               ;   in Loop: Header=BB53_4 Depth=1
	s_or_b32 exec_lo, exec_lo, s0
	v_mul_u64_e32 v[4:5], s[12:13], v[0:1]
	s_delay_alu instid0(VALU_DEP_2) | instskip(NEXT) | instid1(VALU_DEP_1)
	v_dual_ashrrev_i32 v7, 31, v6 :: v_dual_mov_b32 v9, s3
	v_cmp_eq_u64_e32 vcc_lo, s[4:5], v[6:7]
	v_cndmask_b32_e64 v8, 0, 1, vcc_lo
	s_delay_alu instid0(VALU_DEP_1) | instskip(NEXT) | instid1(VALU_DEP_1)
	v_sub_nc_u64_e32 v[6:7], v[6:7], v[8:9]
	v_mul_u64_e32 v[6:7], s[18:19], v[6:7]
	v_lshl_add_u64 v[4:5], v[4:5], 3, s[14:15]
	global_load_b64 v[4:5], v[4:5], off
	v_lshl_add_u64 v[6:7], v[6:7], 3, s[16:17]
	s_wait_xcnt 0x0
	s_wait_loadcnt 0x0
	global_atomic_add_u64 v[6:7], v[4:5], off scope:SCOPE_SYS
.LBB53_3:                               ;   in Loop: Header=BB53_4 Depth=1
	s_wait_xcnt 0x0
	s_or_b32 exec_lo, exec_lo, s38
	v_add_nc_u64_e32 v[0:1], s[26:27], v[0:1]
	s_delay_alu instid0(VALU_DEP_1) | instskip(SKIP_1) | instid1(SALU_CYCLE_1)
	v_cmp_le_i64_e32 vcc_lo, s[10:11], v[0:1]
	s_or_b32 s44, vcc_lo, s44
	s_and_not1_b32 exec_lo, exec_lo, s44
	s_cbranch_execz .LBB53_16
.LBB53_4:                               ; =>This Loop Header: Depth=1
                                        ;     Child Loop BB53_5 Depth 2
	v_mov_b64_e32 v[4:5], 0
	v_mov_b64_e32 v[6:7], v[0:1]
	;; [unrolled: 1-line block ×3, first 2 shown]
	s_and_not1_b32 vcc_lo, exec_lo, s1
	s_mov_b64 s[36:37], s[34:35]
	s_mov_b32 s31, s33
	s_cbranch_vccnz .LBB53_11
.LBB53_5:                               ;   Parent Loop BB53_4 Depth=1
                                        ; =>  This Inner Loop Header: Depth=2
	s_load_b64 s[38:39], s[36:37], 0x0
                                        ; implicit-def: $vgpr8_vgpr9
	s_mov_b32 s0, exec_lo
	s_wait_kmcnt 0x0
	s_delay_alu instid0(VALU_DEP_1) | instskip(NEXT) | instid1(VALU_DEP_1)
	v_or_b32_e32 v3, s39, v7
	v_cmpx_ne_u64_e32 0, v[2:3]
	s_xor_b32 s45, exec_lo, s0
	s_cbranch_execz .LBB53_7
; %bb.6:                                ;   in Loop: Header=BB53_5 Depth=2
	s_ashr_i32 s40, s39, 31
	v_dual_mov_b32 v13, v2 :: v_dual_ashrrev_i32 v8, 31, v7
	s_mov_b32 s41, s40
	s_delay_alu instid0(SALU_CYCLE_1) | instskip(NEXT) | instid1(VALU_DEP_1)
	s_add_nc_u64 s[42:43], s[38:39], s[40:41]
	v_mov_b32_e32 v9, v8
	s_xor_b64 s[42:43], s[42:43], s[40:41]
	s_delay_alu instid0(SALU_CYCLE_1)
	s_cvt_f32_u32 s0, s42
	s_cvt_f32_u32 s2, s43
	s_sub_nc_u64 s[48:49], 0, s[42:43]
	v_add_nc_u64_e32 v[10:11], v[6:7], v[8:9]
	v_mov_b32_e32 v17, v2
	s_fmamk_f32 s0, s2, 0x4f800000, s0
	s_delay_alu instid0(SALU_CYCLE_3) | instskip(NEXT) | instid1(VALU_DEP_2)
	v_s_rcp_f32 s0, s0
	v_xor_b32_e32 v12, v10, v8
	s_delay_alu instid0(VALU_DEP_3) | instskip(SKIP_1) | instid1(TRANS32_DEP_1)
	v_dual_mov_b32 v21, v2 :: v_dual_bitop2_b32 v16, v11, v8 bitop3:0x14
	v_xor_b32_e32 v8, s40, v8
	s_mul_f32 s0, s0, 0x5f7ffffc
	s_delay_alu instid0(SALU_CYCLE_3) | instskip(NEXT) | instid1(SALU_CYCLE_3)
	s_mul_f32 s2, s0, 0x2f800000
	s_trunc_f32 s2, s2
	s_delay_alu instid0(SALU_CYCLE_3) | instskip(SKIP_1) | instid1(SALU_CYCLE_2)
	s_fmamk_f32 s0, s2, 0xcf800000, s0
	s_cvt_u32_f32 s47, s2
	s_cvt_u32_f32 s46, s0
	s_delay_alu instid0(SALU_CYCLE_3) | instskip(NEXT) | instid1(SALU_CYCLE_1)
	s_mul_u64 s[50:51], s[48:49], s[46:47]
	s_mul_hi_u32 s53, s46, s51
	s_mul_i32 s52, s46, s51
	s_mul_hi_u32 s2, s46, s50
	s_mul_i32 s41, s47, s50
	s_add_nc_u64 s[52:53], s[2:3], s[52:53]
	s_mul_hi_u32 s0, s47, s50
	s_mul_hi_u32 s54, s47, s51
	s_add_co_u32 s2, s52, s41
	s_add_co_ci_u32 s2, s53, s0
	s_mul_i32 s50, s47, s51
	s_add_co_ci_u32 s51, s54, 0
	s_delay_alu instid0(SALU_CYCLE_1) | instskip(NEXT) | instid1(SALU_CYCLE_1)
	s_add_nc_u64 s[50:51], s[2:3], s[50:51]
	s_add_co_u32 s46, s46, s50
	s_cselect_b32 s0, -1, 0
	s_delay_alu instid0(SALU_CYCLE_1) | instskip(SKIP_1) | instid1(SALU_CYCLE_1)
	s_cmp_lg_u32 s0, 0
	s_add_co_ci_u32 s47, s47, s51
	s_mul_u64 s[48:49], s[48:49], s[46:47]
	s_delay_alu instid0(SALU_CYCLE_1)
	s_mul_hi_u32 s51, s46, s49
	s_mul_i32 s50, s46, s49
	s_mul_hi_u32 s2, s46, s48
	s_mul_i32 s41, s47, s48
	s_add_nc_u64 s[50:51], s[2:3], s[50:51]
	s_mul_hi_u32 s0, s47, s48
	s_mul_hi_u32 s52, s47, s49
	s_add_co_u32 s2, s50, s41
	s_add_co_ci_u32 s2, s51, s0
	s_mul_i32 s48, s47, s49
	s_add_co_ci_u32 s49, s52, 0
	s_delay_alu instid0(SALU_CYCLE_1) | instskip(NEXT) | instid1(SALU_CYCLE_1)
	s_add_nc_u64 s[48:49], s[2:3], s[48:49]
	s_add_co_u32 s0, s46, s48
	s_cselect_b32 s2, -1, 0
	v_mul_hi_u32 v20, v12, s0
	s_cmp_lg_u32 s2, 0
	s_add_co_ci_u32 s2, s47, s49
	s_and_b64 s[46:47], s[0:1], s[28:29]
	v_mul_u64_e32 v[14:15], s[2:3], v[12:13]
	v_mul_u64_e32 v[10:11], s[46:47], v[16:17]
	;; [unrolled: 1-line block ×3, first 2 shown]
	s_delay_alu instid0(VALU_DEP_3) | instskip(NEXT) | instid1(VALU_DEP_1)
	v_add_nc_u64_e32 v[14:15], v[20:21], v[14:15]
	v_add_co_u32 v3, vcc_lo, v14, v10
	s_delay_alu instid0(VALU_DEP_2) | instskip(NEXT) | instid1(VALU_DEP_4)
	v_add_co_ci_u32_e32 v20, vcc_lo, v15, v11, vcc_lo
	v_add_co_ci_u32_e32 v19, vcc_lo, 0, v19, vcc_lo
	s_delay_alu instid0(VALU_DEP_1) | instskip(NEXT) | instid1(VALU_DEP_1)
	v_add_nc_u64_e32 v[10:11], v[20:21], v[18:19]
	v_mul_u64_e32 v[14:15], s[42:43], v[10:11]
	s_delay_alu instid0(VALU_DEP_1) | instskip(NEXT) | instid1(VALU_DEP_2)
	v_sub_nc_u32_e32 v3, v16, v15
	v_sub_co_u32 v9, vcc_lo, v12, v14
	s_delay_alu instid0(VALU_DEP_1) | instskip(NEXT) | instid1(VALU_DEP_3)
	v_sub_co_ci_u32_e64 v16, null, v16, v15, vcc_lo
	v_subrev_co_ci_u32_e64 v3, null, s43, v3, vcc_lo
	s_delay_alu instid0(VALU_DEP_3) | instskip(SKIP_1) | instid1(VALU_DEP_3)
	v_sub_co_u32 v12, s0, v9, s42
	v_add_nc_u64_e32 v[14:15], 1, v[10:11]
	v_subrev_co_ci_u32_e64 v3, null, 0, v3, s0
	s_delay_alu instid0(VALU_DEP_3) | instskip(SKIP_1) | instid1(VALU_DEP_3)
	v_cmp_le_u32_e32 vcc_lo, s42, v12
	v_cndmask_b32_e64 v12, 0, -1, vcc_lo
	v_cmp_le_u32_e32 vcc_lo, s43, v3
	v_cndmask_b32_e64 v13, 0, -1, vcc_lo
	;; [unrolled: 2-line block ×4, first 2 shown]
	v_cmp_eq_u32_e32 vcc_lo, s43, v3
	v_cndmask_b32_e32 v3, v13, v12, vcc_lo
	v_cmp_eq_u32_e32 vcc_lo, s43, v16
	v_add_nc_u64_e32 v[12:13], 2, v[10:11]
	v_cndmask_b32_e32 v9, v17, v9, vcc_lo
	s_delay_alu instid0(VALU_DEP_4) | instskip(NEXT) | instid1(VALU_DEP_2)
	v_cmp_ne_u32_e32 vcc_lo, 0, v3
	v_cmp_ne_u32_e64 s0, 0, v9
	s_delay_alu instid0(VALU_DEP_4) | instskip(NEXT) | instid1(VALU_DEP_1)
	v_dual_cndmask_b32 v3, v15, v13, vcc_lo :: v_dual_cndmask_b32 v9, v14, v12, vcc_lo
	v_dual_cndmask_b32 v10, v10, v9, s0 :: v_dual_mov_b32 v9, v8
	s_delay_alu instid0(VALU_DEP_1) | instskip(NEXT) | instid1(VALU_DEP_1)
	v_dual_cndmask_b32 v3, v11, v3, s0 :: v_dual_bitop2_b32 v10, v10, v8 bitop3:0x14
	v_xor_b32_e32 v11, v3, v8
	s_delay_alu instid0(VALU_DEP_1)
	v_sub_nc_u64_e32 v[8:9], v[10:11], v[8:9]
.LBB53_7:                               ;   in Loop: Header=BB53_5 Depth=2
	s_and_not1_saveexec_b32 s0, s45
	s_cbranch_execz .LBB53_9
; %bb.8:                                ;   in Loop: Header=BB53_5 Depth=2
	v_cvt_f32_u32_e32 v3, s38
	s_sub_co_i32 s2, 0, s38
	s_delay_alu instid0(VALU_DEP_1) | instskip(SKIP_1) | instid1(TRANS32_DEP_1)
	v_rcp_iflag_f32_e32 v3, v3
	v_nop
	v_mul_f32_e32 v3, 0x4f7ffffe, v3
	s_delay_alu instid0(VALU_DEP_1) | instskip(NEXT) | instid1(VALU_DEP_1)
	v_cvt_u32_f32_e32 v3, v3
	v_mul_lo_u32 v8, s2, v3
	s_delay_alu instid0(VALU_DEP_1) | instskip(NEXT) | instid1(VALU_DEP_1)
	v_mul_hi_u32 v8, v3, v8
	v_add_nc_u32_e32 v3, v3, v8
	s_delay_alu instid0(VALU_DEP_1) | instskip(NEXT) | instid1(VALU_DEP_1)
	v_mul_hi_u32 v3, v6, v3
	v_mul_lo_u32 v8, v3, s38
	s_delay_alu instid0(VALU_DEP_1) | instskip(NEXT) | instid1(VALU_DEP_1)
	v_dual_add_nc_u32 v9, 1, v3 :: v_dual_sub_nc_u32 v8, v6, v8
	v_subrev_nc_u32_e32 v10, s38, v8
	v_cmp_le_u32_e32 vcc_lo, s38, v8
	s_delay_alu instid0(VALU_DEP_2) | instskip(NEXT) | instid1(VALU_DEP_1)
	v_dual_cndmask_b32 v8, v8, v10 :: v_dual_cndmask_b32 v3, v3, v9
	v_cmp_le_u32_e32 vcc_lo, s38, v8
	s_delay_alu instid0(VALU_DEP_2) | instskip(NEXT) | instid1(VALU_DEP_1)
	v_add_nc_u32_e32 v9, 1, v3
	v_dual_cndmask_b32 v8, v3, v9 :: v_dual_mov_b32 v9, v2
.LBB53_9:                               ;   in Loop: Header=BB53_5 Depth=2
	s_or_b32 exec_lo, exec_lo, s0
	s_delay_alu instid0(VALU_DEP_1)
	v_mul_u64_e32 v[10:11], s[38:39], v[8:9]
	s_load_b64 s[38:39], s[36:37], 0xc8
	s_add_co_i32 s31, s31, -1
	s_wait_xcnt 0x0
	s_add_nc_u64 s[36:37], s[36:37], -8
	s_cmp_gt_u32 s31, 2
	s_delay_alu instid0(VALU_DEP_1) | instskip(SKIP_1) | instid1(VALU_DEP_1)
	v_sub_nc_u64_e32 v[6:7], v[6:7], v[10:11]
	s_wait_kmcnt 0x0
	v_mad_nc_u64_u32 v[4:5], s38, v6, v[4:5]
	s_delay_alu instid0(VALU_DEP_1) | instskip(NEXT) | instid1(VALU_DEP_1)
	v_mad_u32 v3, s39, v6, v5
	v_mad_u32 v5, s38, v7, v3
	s_cbranch_scc0 .LBB53_11
; %bb.10:                               ;   in Loop: Header=BB53_5 Depth=2
	v_mov_b64_e32 v[6:7], v[8:9]
	s_branch .LBB53_5
.LBB53_11:                              ;   in Loop: Header=BB53_4 Depth=1
	s_delay_alu instid0(VALU_DEP_1) | instskip(NEXT) | instid1(VALU_DEP_1)
	v_mul_u64_e32 v[6:7], s[20:21], v[8:9]
	v_lshl_add_u64 v[6:7], v[6:7], 1, s[22:23]
	s_delay_alu instid0(VALU_DEP_1) | instskip(SKIP_4) | instid1(VALU_DEP_1)
	v_lshl_add_u64 v[4:5], v[4:5], 1, v[6:7]
	global_load_u16 v3, v[4:5], off
	s_wait_loadcnt 0x0
	s_wait_xcnt 0x0
	v_bfe_i32 v4, v3, 0, 16
	v_ashrrev_i32_e32 v5, 31, v4
	s_delay_alu instid0(VALU_DEP_1) | instskip(SKIP_2) | instid1(SALU_CYCLE_1)
	v_cmp_le_i64_e32 vcc_lo, s[6:7], v[4:5]
	v_cmp_ge_i64_e64 s0, s[8:9], v[4:5]
	s_and_b32 s0, vcc_lo, s0
	s_and_saveexec_b32 s38, s0
	s_cbranch_execz .LBB53_3
; %bb.12:                               ;   in Loop: Header=BB53_4 Depth=1
	v_sub_nc_u64_e64 v[4:5], v[4:5], s[6:7]
                                        ; implicit-def: $vgpr6_vgpr7
	s_mov_b32 s0, exec_lo
	s_delay_alu instid0(VALU_DEP_1) | instskip(NEXT) | instid1(VALU_DEP_1)
	v_mul_u64_e32 v[4:5], s[4:5], v[4:5]
	v_or_b32_e32 v3, s25, v5
	s_delay_alu instid0(VALU_DEP_1)
	v_cmpx_ne_u64_e32 0, v[2:3]
	s_xor_b32 s39, exec_lo, s0
	s_cbranch_execz .LBB53_14
; %bb.13:                               ;   in Loop: Header=BB53_4 Depth=1
	s_mov_b32 s31, s30
	v_dual_mov_b32 v9, v2 :: v_dual_ashrrev_i32 v6, 31, v5
	s_add_nc_u64 s[36:37], s[24:25], s[30:31]
	s_delay_alu instid0(SALU_CYCLE_1) | instskip(NEXT) | instid1(VALU_DEP_1)
	s_xor_b64 s[36:37], s[36:37], s[30:31]
	v_mov_b32_e32 v7, v6
	s_cvt_f32_u32 s0, s36
	s_cvt_f32_u32 s2, s37
	s_sub_nc_u64 s[42:43], 0, s[36:37]
	s_delay_alu instid0(VALU_DEP_1) | instskip(NEXT) | instid1(SALU_CYCLE_1)
	v_add_nc_u64_e32 v[4:5], v[4:5], v[6:7]
	s_fmamk_f32 s0, s2, 0x4f800000, s0
	v_mov_b32_e32 v13, v2
	s_delay_alu instid0(SALU_CYCLE_2) | instskip(NEXT) | instid1(VALU_DEP_2)
	v_s_rcp_f32 s0, s0
	v_xor_b32_e32 v8, v4, v6
	s_delay_alu instid0(VALU_DEP_3) | instskip(NEXT) | instid1(TRANS32_DEP_1)
	v_dual_mov_b32 v17, v2 :: v_dual_bitop2_b32 v12, v5, v6 bitop3:0x14
	s_mul_f32 s0, s0, 0x5f7ffffc
	s_delay_alu instid0(SALU_CYCLE_3) | instskip(NEXT) | instid1(SALU_CYCLE_3)
	s_mul_f32 s2, s0, 0x2f800000
	s_trunc_f32 s2, s2
	s_delay_alu instid0(SALU_CYCLE_3) | instskip(SKIP_1) | instid1(SALU_CYCLE_2)
	s_fmamk_f32 s0, s2, 0xcf800000, s0
	s_cvt_u32_f32 s41, s2
	s_cvt_u32_f32 s40, s0
	s_delay_alu instid0(SALU_CYCLE_3) | instskip(NEXT) | instid1(SALU_CYCLE_1)
	s_mul_u64 s[46:47], s[42:43], s[40:41]
	s_mul_hi_u32 s49, s40, s47
	s_mul_i32 s48, s40, s47
	s_mul_hi_u32 s2, s40, s46
	s_mul_i32 s31, s41, s46
	s_add_nc_u64 s[48:49], s[2:3], s[48:49]
	s_mul_hi_u32 s0, s41, s46
	s_mul_hi_u32 s45, s41, s47
	s_add_co_u32 s2, s48, s31
	s_add_co_ci_u32 s2, s49, s0
	s_mul_i32 s46, s41, s47
	s_add_co_ci_u32 s47, s45, 0
	s_delay_alu instid0(SALU_CYCLE_1) | instskip(NEXT) | instid1(SALU_CYCLE_1)
	s_add_nc_u64 s[46:47], s[2:3], s[46:47]
	s_add_co_u32 s40, s40, s46
	s_cselect_b32 s0, -1, 0
	s_delay_alu instid0(SALU_CYCLE_1) | instskip(SKIP_1) | instid1(SALU_CYCLE_1)
	s_cmp_lg_u32 s0, 0
	s_add_co_ci_u32 s41, s41, s47
	s_mul_u64 s[42:43], s[42:43], s[40:41]
	s_delay_alu instid0(SALU_CYCLE_1)
	s_mul_hi_u32 s47, s40, s43
	s_mul_i32 s46, s40, s43
	s_mul_hi_u32 s2, s40, s42
	s_mul_i32 s31, s41, s42
	s_add_nc_u64 s[46:47], s[2:3], s[46:47]
	s_mul_hi_u32 s0, s41, s42
	s_mul_hi_u32 s45, s41, s43
	s_add_co_u32 s2, s46, s31
	s_add_co_ci_u32 s2, s47, s0
	s_mul_i32 s42, s41, s43
	s_add_co_ci_u32 s43, s45, 0
	s_delay_alu instid0(SALU_CYCLE_1) | instskip(NEXT) | instid1(SALU_CYCLE_1)
	s_add_nc_u64 s[42:43], s[2:3], s[42:43]
	s_add_co_u32 s0, s40, s42
	s_cselect_b32 s2, -1, 0
	v_mul_hi_u32 v16, v8, s0
	s_cmp_lg_u32 s2, 0
	s_add_co_ci_u32 s2, s41, s43
	s_and_b64 s[40:41], s[0:1], s[28:29]
	v_mul_u64_e32 v[10:11], s[2:3], v[8:9]
	v_mul_u64_e32 v[4:5], s[40:41], v[12:13]
	;; [unrolled: 1-line block ×3, first 2 shown]
	s_delay_alu instid0(VALU_DEP_3) | instskip(NEXT) | instid1(VALU_DEP_1)
	v_add_nc_u64_e32 v[10:11], v[16:17], v[10:11]
	v_add_co_u32 v3, vcc_lo, v10, v4
	s_delay_alu instid0(VALU_DEP_2) | instskip(NEXT) | instid1(VALU_DEP_4)
	v_add_co_ci_u32_e32 v16, vcc_lo, v11, v5, vcc_lo
	v_add_co_ci_u32_e32 v15, vcc_lo, 0, v15, vcc_lo
	s_delay_alu instid0(VALU_DEP_1) | instskip(NEXT) | instid1(VALU_DEP_1)
	v_add_nc_u64_e32 v[4:5], v[16:17], v[14:15]
	v_mul_u64_e32 v[10:11], s[36:37], v[4:5]
	s_delay_alu instid0(VALU_DEP_1) | instskip(NEXT) | instid1(VALU_DEP_2)
	v_sub_nc_u32_e32 v3, v12, v11
	v_sub_co_u32 v7, vcc_lo, v8, v10
	s_delay_alu instid0(VALU_DEP_1) | instskip(NEXT) | instid1(VALU_DEP_3)
	v_sub_co_ci_u32_e64 v12, null, v12, v11, vcc_lo
	v_subrev_co_ci_u32_e64 v3, null, s37, v3, vcc_lo
	s_delay_alu instid0(VALU_DEP_3) | instskip(SKIP_1) | instid1(VALU_DEP_3)
	v_sub_co_u32 v8, s0, v7, s36
	v_add_nc_u64_e32 v[10:11], 1, v[4:5]
	v_subrev_co_ci_u32_e64 v3, null, 0, v3, s0
	s_delay_alu instid0(VALU_DEP_3) | instskip(SKIP_1) | instid1(VALU_DEP_3)
	v_cmp_le_u32_e32 vcc_lo, s36, v8
	v_cndmask_b32_e64 v8, 0, -1, vcc_lo
	v_cmp_le_u32_e32 vcc_lo, s37, v3
	v_cndmask_b32_e64 v9, 0, -1, vcc_lo
	;; [unrolled: 2-line block ×4, first 2 shown]
	v_cmp_eq_u32_e32 vcc_lo, s37, v3
	v_cndmask_b32_e32 v3, v9, v8, vcc_lo
	v_cmp_eq_u32_e32 vcc_lo, s37, v12
	v_add_nc_u64_e32 v[8:9], 2, v[4:5]
	v_cndmask_b32_e32 v7, v13, v7, vcc_lo
	s_delay_alu instid0(VALU_DEP_4) | instskip(NEXT) | instid1(VALU_DEP_3)
	v_cmp_ne_u32_e32 vcc_lo, 0, v3
	v_cndmask_b32_e32 v3, v11, v9, vcc_lo
	s_delay_alu instid0(VALU_DEP_3) | instskip(SKIP_1) | instid1(VALU_DEP_2)
	v_cmp_ne_u32_e64 s0, 0, v7
	v_dual_cndmask_b32 v7, v10, v8, vcc_lo :: v_dual_bitop2_b32 v6, s30, v6 bitop3:0x14
	v_cndmask_b32_e64 v3, v5, v3, s0
	s_delay_alu instid0(VALU_DEP_2) | instskip(NEXT) | instid1(VALU_DEP_2)
	v_dual_cndmask_b32 v4, v4, v7, s0 :: v_dual_mov_b32 v7, v6
	v_xor_b32_e32 v5, v3, v6
	s_delay_alu instid0(VALU_DEP_2) | instskip(NEXT) | instid1(VALU_DEP_1)
	v_xor_b32_e32 v4, v4, v6
	v_sub_nc_u64_e32 v[6:7], v[4:5], v[6:7]
                                        ; implicit-def: $vgpr4_vgpr5
.LBB53_14:                              ;   in Loop: Header=BB53_4 Depth=1
	s_and_not1_saveexec_b32 s0, s39
	s_cbranch_execz .LBB53_2
; %bb.15:                               ;   in Loop: Header=BB53_4 Depth=1
	v_cvt_f32_u32_e32 v3, s24
	s_sub_co_i32 s2, 0, s24
	s_delay_alu instid0(VALU_DEP_1) | instskip(SKIP_1) | instid1(TRANS32_DEP_1)
	v_rcp_iflag_f32_e32 v3, v3
	v_nop
	v_mul_f32_e32 v3, 0x4f7ffffe, v3
	s_delay_alu instid0(VALU_DEP_1) | instskip(NEXT) | instid1(VALU_DEP_1)
	v_cvt_u32_f32_e32 v3, v3
	v_mul_lo_u32 v5, s2, v3
	s_delay_alu instid0(VALU_DEP_1) | instskip(NEXT) | instid1(VALU_DEP_1)
	v_mul_hi_u32 v5, v3, v5
	v_add_nc_u32_e32 v3, v3, v5
	s_delay_alu instid0(VALU_DEP_1) | instskip(NEXT) | instid1(VALU_DEP_1)
	v_mul_hi_u32 v3, v4, v3
	v_mul_lo_u32 v5, v3, s24
	s_delay_alu instid0(VALU_DEP_1) | instskip(NEXT) | instid1(VALU_DEP_1)
	v_dual_sub_nc_u32 v4, v4, v5 :: v_dual_add_nc_u32 v5, 1, v3
	v_subrev_nc_u32_e32 v6, s24, v4
	v_cmp_le_u32_e32 vcc_lo, s24, v4
	s_delay_alu instid0(VALU_DEP_2) | instskip(NEXT) | instid1(VALU_DEP_1)
	v_dual_cndmask_b32 v4, v4, v6 :: v_dual_cndmask_b32 v3, v3, v5
	v_cmp_le_u32_e32 vcc_lo, s24, v4
	s_delay_alu instid0(VALU_DEP_2) | instskip(NEXT) | instid1(VALU_DEP_1)
	v_add_nc_u32_e32 v5, 1, v3
	v_cndmask_b32_e32 v6, v3, v5, vcc_lo
	s_branch .LBB53_2
.LBB53_16:
	s_endpgm
	.section	.rodata,"a",@progbits
	.p2align	6, 0x0
	.amdhsa_kernel _ZN2at4cuda17kernelHistogram1DIlslLi1ELi2ELin1ELNS0_23CUDAHistogramMemoryTypeE1EZNS0_21CUDA_tensor_histogramIlsLb0EEEbNS_6TensorES4_S4_lNS_14AccumulateTypeIT0_Lb1EE4typeES8_NS0_13TensorArgTypeES9_S9_EUllE_EEvNS0_6detail10TensorInfoIT_T1_EESF_NSC_IKS6_SE_EElS8_S8_SE_T6_
		.amdhsa_group_segment_fixed_size 0
		.amdhsa_private_segment_fixed_size 0
		.amdhsa_kernarg_size 1952
		.amdhsa_user_sgpr_count 2
		.amdhsa_user_sgpr_dispatch_ptr 0
		.amdhsa_user_sgpr_queue_ptr 0
		.amdhsa_user_sgpr_kernarg_segment_ptr 1
		.amdhsa_user_sgpr_dispatch_id 0
		.amdhsa_user_sgpr_kernarg_preload_length 0
		.amdhsa_user_sgpr_kernarg_preload_offset 0
		.amdhsa_user_sgpr_private_segment_size 0
		.amdhsa_wavefront_size32 1
		.amdhsa_uses_dynamic_stack 0
		.amdhsa_enable_private_segment 0
		.amdhsa_system_sgpr_workgroup_id_x 1
		.amdhsa_system_sgpr_workgroup_id_y 0
		.amdhsa_system_sgpr_workgroup_id_z 0
		.amdhsa_system_sgpr_workgroup_info 0
		.amdhsa_system_vgpr_workitem_id 0
		.amdhsa_next_free_vgpr 22
		.amdhsa_next_free_sgpr 55
		.amdhsa_named_barrier_count 0
		.amdhsa_reserve_vcc 1
		.amdhsa_float_round_mode_32 0
		.amdhsa_float_round_mode_16_64 0
		.amdhsa_float_denorm_mode_32 3
		.amdhsa_float_denorm_mode_16_64 3
		.amdhsa_fp16_overflow 0
		.amdhsa_memory_ordered 1
		.amdhsa_forward_progress 1
		.amdhsa_inst_pref_size 17
		.amdhsa_round_robin_scheduling 0
		.amdhsa_exception_fp_ieee_invalid_op 0
		.amdhsa_exception_fp_denorm_src 0
		.amdhsa_exception_fp_ieee_div_zero 0
		.amdhsa_exception_fp_ieee_overflow 0
		.amdhsa_exception_fp_ieee_underflow 0
		.amdhsa_exception_fp_ieee_inexact 0
		.amdhsa_exception_int_div_zero 0
	.end_amdhsa_kernel
	.section	.text._ZN2at4cuda17kernelHistogram1DIlslLi1ELi2ELin1ELNS0_23CUDAHistogramMemoryTypeE1EZNS0_21CUDA_tensor_histogramIlsLb0EEEbNS_6TensorES4_S4_lNS_14AccumulateTypeIT0_Lb1EE4typeES8_NS0_13TensorArgTypeES9_S9_EUllE_EEvNS0_6detail10TensorInfoIT_T1_EESF_NSC_IKS6_SE_EElS8_S8_SE_T6_,"axG",@progbits,_ZN2at4cuda17kernelHistogram1DIlslLi1ELi2ELin1ELNS0_23CUDAHistogramMemoryTypeE1EZNS0_21CUDA_tensor_histogramIlsLb0EEEbNS_6TensorES4_S4_lNS_14AccumulateTypeIT0_Lb1EE4typeES8_NS0_13TensorArgTypeES9_S9_EUllE_EEvNS0_6detail10TensorInfoIT_T1_EESF_NSC_IKS6_SE_EElS8_S8_SE_T6_,comdat
.Lfunc_end53:
	.size	_ZN2at4cuda17kernelHistogram1DIlslLi1ELi2ELin1ELNS0_23CUDAHistogramMemoryTypeE1EZNS0_21CUDA_tensor_histogramIlsLb0EEEbNS_6TensorES4_S4_lNS_14AccumulateTypeIT0_Lb1EE4typeES8_NS0_13TensorArgTypeES9_S9_EUllE_EEvNS0_6detail10TensorInfoIT_T1_EESF_NSC_IKS6_SE_EElS8_S8_SE_T6_, .Lfunc_end53-_ZN2at4cuda17kernelHistogram1DIlslLi1ELi2ELin1ELNS0_23CUDAHistogramMemoryTypeE1EZNS0_21CUDA_tensor_histogramIlsLb0EEEbNS_6TensorES4_S4_lNS_14AccumulateTypeIT0_Lb1EE4typeES8_NS0_13TensorArgTypeES9_S9_EUllE_EEvNS0_6detail10TensorInfoIT_T1_EESF_NSC_IKS6_SE_EElS8_S8_SE_T6_
                                        ; -- End function
	.set _ZN2at4cuda17kernelHistogram1DIlslLi1ELi2ELin1ELNS0_23CUDAHistogramMemoryTypeE1EZNS0_21CUDA_tensor_histogramIlsLb0EEEbNS_6TensorES4_S4_lNS_14AccumulateTypeIT0_Lb1EE4typeES8_NS0_13TensorArgTypeES9_S9_EUllE_EEvNS0_6detail10TensorInfoIT_T1_EESF_NSC_IKS6_SE_EElS8_S8_SE_T6_.num_vgpr, 22
	.set _ZN2at4cuda17kernelHistogram1DIlslLi1ELi2ELin1ELNS0_23CUDAHistogramMemoryTypeE1EZNS0_21CUDA_tensor_histogramIlsLb0EEEbNS_6TensorES4_S4_lNS_14AccumulateTypeIT0_Lb1EE4typeES8_NS0_13TensorArgTypeES9_S9_EUllE_EEvNS0_6detail10TensorInfoIT_T1_EESF_NSC_IKS6_SE_EElS8_S8_SE_T6_.num_agpr, 0
	.set _ZN2at4cuda17kernelHistogram1DIlslLi1ELi2ELin1ELNS0_23CUDAHistogramMemoryTypeE1EZNS0_21CUDA_tensor_histogramIlsLb0EEEbNS_6TensorES4_S4_lNS_14AccumulateTypeIT0_Lb1EE4typeES8_NS0_13TensorArgTypeES9_S9_EUllE_EEvNS0_6detail10TensorInfoIT_T1_EESF_NSC_IKS6_SE_EElS8_S8_SE_T6_.numbered_sgpr, 55
	.set _ZN2at4cuda17kernelHistogram1DIlslLi1ELi2ELin1ELNS0_23CUDAHistogramMemoryTypeE1EZNS0_21CUDA_tensor_histogramIlsLb0EEEbNS_6TensorES4_S4_lNS_14AccumulateTypeIT0_Lb1EE4typeES8_NS0_13TensorArgTypeES9_S9_EUllE_EEvNS0_6detail10TensorInfoIT_T1_EESF_NSC_IKS6_SE_EElS8_S8_SE_T6_.num_named_barrier, 0
	.set _ZN2at4cuda17kernelHistogram1DIlslLi1ELi2ELin1ELNS0_23CUDAHistogramMemoryTypeE1EZNS0_21CUDA_tensor_histogramIlsLb0EEEbNS_6TensorES4_S4_lNS_14AccumulateTypeIT0_Lb1EE4typeES8_NS0_13TensorArgTypeES9_S9_EUllE_EEvNS0_6detail10TensorInfoIT_T1_EESF_NSC_IKS6_SE_EElS8_S8_SE_T6_.private_seg_size, 0
	.set _ZN2at4cuda17kernelHistogram1DIlslLi1ELi2ELin1ELNS0_23CUDAHistogramMemoryTypeE1EZNS0_21CUDA_tensor_histogramIlsLb0EEEbNS_6TensorES4_S4_lNS_14AccumulateTypeIT0_Lb1EE4typeES8_NS0_13TensorArgTypeES9_S9_EUllE_EEvNS0_6detail10TensorInfoIT_T1_EESF_NSC_IKS6_SE_EElS8_S8_SE_T6_.uses_vcc, 1
	.set _ZN2at4cuda17kernelHistogram1DIlslLi1ELi2ELin1ELNS0_23CUDAHistogramMemoryTypeE1EZNS0_21CUDA_tensor_histogramIlsLb0EEEbNS_6TensorES4_S4_lNS_14AccumulateTypeIT0_Lb1EE4typeES8_NS0_13TensorArgTypeES9_S9_EUllE_EEvNS0_6detail10TensorInfoIT_T1_EESF_NSC_IKS6_SE_EElS8_S8_SE_T6_.uses_flat_scratch, 0
	.set _ZN2at4cuda17kernelHistogram1DIlslLi1ELi2ELin1ELNS0_23CUDAHistogramMemoryTypeE1EZNS0_21CUDA_tensor_histogramIlsLb0EEEbNS_6TensorES4_S4_lNS_14AccumulateTypeIT0_Lb1EE4typeES8_NS0_13TensorArgTypeES9_S9_EUllE_EEvNS0_6detail10TensorInfoIT_T1_EESF_NSC_IKS6_SE_EElS8_S8_SE_T6_.has_dyn_sized_stack, 0
	.set _ZN2at4cuda17kernelHistogram1DIlslLi1ELi2ELin1ELNS0_23CUDAHistogramMemoryTypeE1EZNS0_21CUDA_tensor_histogramIlsLb0EEEbNS_6TensorES4_S4_lNS_14AccumulateTypeIT0_Lb1EE4typeES8_NS0_13TensorArgTypeES9_S9_EUllE_EEvNS0_6detail10TensorInfoIT_T1_EESF_NSC_IKS6_SE_EElS8_S8_SE_T6_.has_recursion, 0
	.set _ZN2at4cuda17kernelHistogram1DIlslLi1ELi2ELin1ELNS0_23CUDAHistogramMemoryTypeE1EZNS0_21CUDA_tensor_histogramIlsLb0EEEbNS_6TensorES4_S4_lNS_14AccumulateTypeIT0_Lb1EE4typeES8_NS0_13TensorArgTypeES9_S9_EUllE_EEvNS0_6detail10TensorInfoIT_T1_EESF_NSC_IKS6_SE_EElS8_S8_SE_T6_.has_indirect_call, 0
	.section	.AMDGPU.csdata,"",@progbits
; Kernel info:
; codeLenInByte = 2100
; TotalNumSgprs: 57
; NumVgprs: 22
; ScratchSize: 0
; MemoryBound: 0
; FloatMode: 240
; IeeeMode: 1
; LDSByteSize: 0 bytes/workgroup (compile time only)
; SGPRBlocks: 0
; VGPRBlocks: 1
; NumSGPRsForWavesPerEU: 57
; NumVGPRsForWavesPerEU: 22
; NamedBarCnt: 0
; Occupancy: 16
; WaveLimiterHint : 1
; COMPUTE_PGM_RSRC2:SCRATCH_EN: 0
; COMPUTE_PGM_RSRC2:USER_SGPR: 2
; COMPUTE_PGM_RSRC2:TRAP_HANDLER: 0
; COMPUTE_PGM_RSRC2:TGID_X_EN: 1
; COMPUTE_PGM_RSRC2:TGID_Y_EN: 0
; COMPUTE_PGM_RSRC2:TGID_Z_EN: 0
; COMPUTE_PGM_RSRC2:TIDIG_COMP_CNT: 0
	.section	.text._ZN2at4cuda17kernelHistogram1DIlslLi1ELi2ELin1ELNS0_23CUDAHistogramMemoryTypeE0EZNS0_21CUDA_tensor_histogramIlsLb0EEEbNS_6TensorES4_S4_lNS_14AccumulateTypeIT0_Lb1EE4typeES8_NS0_13TensorArgTypeES9_S9_EUllE0_EEvNS0_6detail10TensorInfoIT_T1_EESF_NSC_IKS6_SE_EElS8_S8_SE_T6_,"axG",@progbits,_ZN2at4cuda17kernelHistogram1DIlslLi1ELi2ELin1ELNS0_23CUDAHistogramMemoryTypeE0EZNS0_21CUDA_tensor_histogramIlsLb0EEEbNS_6TensorES4_S4_lNS_14AccumulateTypeIT0_Lb1EE4typeES8_NS0_13TensorArgTypeES9_S9_EUllE0_EEvNS0_6detail10TensorInfoIT_T1_EESF_NSC_IKS6_SE_EElS8_S8_SE_T6_,comdat
	.protected	_ZN2at4cuda17kernelHistogram1DIlslLi1ELi2ELin1ELNS0_23CUDAHistogramMemoryTypeE0EZNS0_21CUDA_tensor_histogramIlsLb0EEEbNS_6TensorES4_S4_lNS_14AccumulateTypeIT0_Lb1EE4typeES8_NS0_13TensorArgTypeES9_S9_EUllE0_EEvNS0_6detail10TensorInfoIT_T1_EESF_NSC_IKS6_SE_EElS8_S8_SE_T6_ ; -- Begin function _ZN2at4cuda17kernelHistogram1DIlslLi1ELi2ELin1ELNS0_23CUDAHistogramMemoryTypeE0EZNS0_21CUDA_tensor_histogramIlsLb0EEEbNS_6TensorES4_S4_lNS_14AccumulateTypeIT0_Lb1EE4typeES8_NS0_13TensorArgTypeES9_S9_EUllE0_EEvNS0_6detail10TensorInfoIT_T1_EESF_NSC_IKS6_SE_EElS8_S8_SE_T6_
	.globl	_ZN2at4cuda17kernelHistogram1DIlslLi1ELi2ELin1ELNS0_23CUDAHistogramMemoryTypeE0EZNS0_21CUDA_tensor_histogramIlsLb0EEEbNS_6TensorES4_S4_lNS_14AccumulateTypeIT0_Lb1EE4typeES8_NS0_13TensorArgTypeES9_S9_EUllE0_EEvNS0_6detail10TensorInfoIT_T1_EESF_NSC_IKS6_SE_EElS8_S8_SE_T6_
	.p2align	8
	.type	_ZN2at4cuda17kernelHistogram1DIlslLi1ELi2ELin1ELNS0_23CUDAHistogramMemoryTypeE0EZNS0_21CUDA_tensor_histogramIlsLb0EEEbNS_6TensorES4_S4_lNS_14AccumulateTypeIT0_Lb1EE4typeES8_NS0_13TensorArgTypeES9_S9_EUllE0_EEvNS0_6detail10TensorInfoIT_T1_EESF_NSC_IKS6_SE_EElS8_S8_SE_T6_,@function
_ZN2at4cuda17kernelHistogram1DIlslLi1ELi2ELin1ELNS0_23CUDAHistogramMemoryTypeE0EZNS0_21CUDA_tensor_histogramIlsLb0EEEbNS_6TensorES4_S4_lNS_14AccumulateTypeIT0_Lb1EE4typeES8_NS0_13TensorArgTypeES9_S9_EUllE0_EEvNS0_6detail10TensorInfoIT_T1_EESF_NSC_IKS6_SE_EElS8_S8_SE_T6_: ; @_ZN2at4cuda17kernelHistogram1DIlslLi1ELi2ELin1ELNS0_23CUDAHistogramMemoryTypeE0EZNS0_21CUDA_tensor_histogramIlsLb0EEEbNS_6TensorES4_S4_lNS_14AccumulateTypeIT0_Lb1EE4typeES8_NS0_13TensorArgTypeES9_S9_EUllE0_EEvNS0_6detail10TensorInfoIT_T1_EESF_NSC_IKS6_SE_EElS8_S8_SE_T6_
; %bb.0:
	s_load_b128 s[12:15], s[0:1], 0x0
	v_mov_b32_e32 v1, 0
	s_add_nc_u64 s[24:25], s[0:1], 0x508
	s_mov_b32 s3, exec_lo
                                        ; implicit-def: $sgpr4
                                        ; implicit-def: $sgpr5
	s_wait_kmcnt 0x0
	s_delay_alu instid0(VALU_DEP_1)
	v_cmp_gt_i64_e64 s2, s[14:15], v[0:1]
	v_cmpx_le_i64_e64 s[14:15], v[0:1]
	s_xor_b32 s3, exec_lo, s3
	s_cbranch_execz .LBB54_2
; %bb.1:
	s_load_b32 s4, s[24:25], 0xc
	s_wait_kmcnt 0x0
	s_and_b32 s5, s4, 0xffff
.LBB54_2:
	s_or_saveexec_b32 s3, s3
	v_dual_mov_b32 v18, s4 :: v_dual_mov_b32 v17, s5
	v_lshl_add_u32 v16, v0, 3, 0
	s_xor_b32 exec_lo, exec_lo, s3
	s_cbranch_execz .LBB54_6
; %bb.3:
	s_load_b32 s6, s[24:25], 0xc
	v_mov_b64_e32 v[2:3], 0
	v_mov_b64_e32 v[4:5], v[0:1]
	v_lshl_add_u32 v6, v0, 3, 0
	s_mov_b32 s5, 0
	s_delay_alu instid0(SALU_CYCLE_1) | instskip(SKIP_2) | instid1(SALU_CYCLE_1)
	s_mov_b32 s7, s5
	s_wait_kmcnt 0x0
	s_and_b32 s4, s6, 0xffff
	s_lshl_b32 s8, s4, 3
.LBB54_4:                               ; =>This Inner Loop Header: Depth=1
	v_add_nc_u64_e32 v[4:5], s[4:5], v[4:5]
	ds_store_b64 v6, v[2:3]
	v_add_nc_u32_e32 v6, s8, v6
	v_cmp_le_i64_e32 vcc_lo, s[14:15], v[4:5]
	s_or_b32 s7, vcc_lo, s7
	s_delay_alu instid0(SALU_CYCLE_1)
	s_and_not1_b32 exec_lo, exec_lo, s7
	s_cbranch_execnz .LBB54_4
; %bb.5:
	s_or_b32 exec_lo, exec_lo, s7
	v_dual_mov_b32 v18, s6 :: v_dual_mov_b32 v17, s4
.LBB54_6:
	s_or_b32 exec_lo, exec_lo, s3
	s_bfe_u32 s3, ttmp6, 0x4000c
	s_clause 0x1
	s_load_b64 s[16:17], s[0:1], 0xd0
	s_load_b256 s[4:11], s[0:1], 0x4e0
	s_add_co_i32 s3, s3, 1
	s_and_b32 s18, ttmp6, 15
	s_mul_i32 s3, ttmp9, s3
	s_getreg_b32 s19, hwreg(HW_REG_IB_STS2, 6, 4)
	s_add_co_i32 s18, s18, s3
	s_cmp_eq_u32 s19, 0
	v_mov_b32_e32 v4, 0
	s_cselect_b32 s3, ttmp9, s18
	s_mov_b32 s19, 0
	v_mad_u32 v2, s3, v17, v0
	s_mov_b32 s3, exec_lo
	v_mov_b32_e32 v3, v4
	s_wait_dscnt 0x0
	s_barrier_signal -1
	s_barrier_wait -1
	s_wait_kmcnt 0x0
	s_delay_alu instid0(VALU_DEP_2)
	v_cmpx_gt_i64_e64 s[10:11], v[2:3]
	s_cbranch_execz .LBB54_22
; %bb.7:
	s_load_b32 s33, s[0:1], 0x4d8
	s_load_b32 s18, s[24:25], 0x0
	s_clause 0x1
	s_load_b64 s[20:21], s[0:1], 0x410
	s_load_b64 s[22:23], s[0:1], 0x340
	s_add_nc_u64 s[28:29], s[0:1], 0x340
	v_mov_b64_e32 v[8:9], 1
	v_mov_b32_e32 v7, v4
	s_wait_xcnt 0x0
	s_sub_nc_u64 s[24:25], s[8:9], s[6:7]
	s_mov_b64 s[26:27], 0xffffffff
	s_mov_b32 s42, 0
	s_wait_kmcnt 0x0
	s_cmp_gt_i32 s33, 1
	v_mul_lo_u32 v6, s18, v17
	s_cselect_b32 s1, -1, 0
	s_add_co_i32 s18, s33, -1
	s_add_co_i32 s33, s33, 1
	s_lshl_b64 s[30:31], s[18:19], 3
	s_delay_alu instid0(SALU_CYCLE_1)
	s_add_nc_u64 s[28:29], s[28:29], s[30:31]
	s_ashr_i32 s30, s25, 31
	s_add_nc_u64 s[28:29], s[28:29], 8
	s_branch .LBB54_10
.LBB54_8:                               ;   in Loop: Header=BB54_10 Depth=1
	s_or_b32 exec_lo, exec_lo, s0
	s_delay_alu instid0(VALU_DEP_1) | instskip(NEXT) | instid1(VALU_DEP_1)
	v_ashrrev_i32_e32 v13, 31, v12
	v_cmp_eq_u64_e32 vcc_lo, s[4:5], v[12:13]
	v_subrev_co_ci_u32_e64 v5, null, 0, v12, vcc_lo
	s_delay_alu instid0(VALU_DEP_1)
	v_lshl_add_u32 v5, v5, 3, 0
	ds_add_u64 v5, v[8:9]
.LBB54_9:                               ;   in Loop: Header=BB54_10 Depth=1
	s_or_b32 exec_lo, exec_lo, s36
	v_add_nc_u64_e32 v[2:3], v[2:3], v[6:7]
	s_delay_alu instid0(VALU_DEP_1) | instskip(SKIP_1) | instid1(SALU_CYCLE_1)
	v_cmp_le_i64_e32 vcc_lo, s[10:11], v[2:3]
	s_or_b32 s42, vcc_lo, s42
	s_and_not1_b32 exec_lo, exec_lo, s42
	s_cbranch_execz .LBB54_22
.LBB54_10:                              ; =>This Loop Header: Depth=1
                                        ;     Child Loop BB54_11 Depth 2
	v_mov_b64_e32 v[10:11], 0
	v_mov_b64_e32 v[12:13], v[2:3]
	;; [unrolled: 1-line block ×3, first 2 shown]
	s_and_not1_b32 vcc_lo, exec_lo, s1
	s_mov_b64 s[34:35], s[28:29]
	s_mov_b32 s31, s33
	s_cbranch_vccnz .LBB54_17
.LBB54_11:                              ;   Parent Loop BB54_10 Depth=1
                                        ; =>  This Inner Loop Header: Depth=2
	s_load_b64 s[36:37], s[34:35], 0x0
                                        ; implicit-def: $vgpr14_vgpr15
	s_mov_b32 s0, exec_lo
	s_wait_kmcnt 0x0
	s_delay_alu instid0(VALU_DEP_1) | instskip(NEXT) | instid1(VALU_DEP_1)
	v_or_b32_e32 v5, s37, v13
	v_cmpx_ne_u64_e32 0, v[4:5]
	s_xor_b32 s43, exec_lo, s0
	s_cbranch_execz .LBB54_13
; %bb.12:                               ;   in Loop: Header=BB54_11 Depth=2
	s_ashr_i32 s38, s37, 31
	v_dual_mov_b32 v23, v4 :: v_dual_ashrrev_i32 v14, 31, v13
	s_mov_b32 s39, s38
	s_delay_alu instid0(SALU_CYCLE_1) | instskip(NEXT) | instid1(VALU_DEP_1)
	s_add_nc_u64 s[40:41], s[36:37], s[38:39]
	v_mov_b32_e32 v15, v14
	s_xor_b64 s[40:41], s[40:41], s[38:39]
	s_delay_alu instid0(SALU_CYCLE_1)
	s_cvt_f32_u32 s0, s40
	s_cvt_f32_u32 s18, s41
	s_sub_nc_u64 s[46:47], 0, s[40:41]
	v_add_nc_u64_e32 v[20:21], v[12:13], v[14:15]
	v_mov_b32_e32 v27, v4
	s_fmamk_f32 s0, s18, 0x4f800000, s0
	s_delay_alu instid0(SALU_CYCLE_3) | instskip(NEXT) | instid1(VALU_DEP_2)
	v_s_rcp_f32 s0, s0
	v_xor_b32_e32 v22, v20, v14
	s_delay_alu instid0(VALU_DEP_3) | instskip(SKIP_1) | instid1(TRANS32_DEP_1)
	v_dual_mov_b32 v31, v4 :: v_dual_bitop2_b32 v26, v21, v14 bitop3:0x14
	v_xor_b32_e32 v14, s38, v14
	s_mul_f32 s0, s0, 0x5f7ffffc
	s_delay_alu instid0(SALU_CYCLE_3) | instskip(NEXT) | instid1(SALU_CYCLE_3)
	s_mul_f32 s18, s0, 0x2f800000
	s_trunc_f32 s18, s18
	s_delay_alu instid0(SALU_CYCLE_3) | instskip(SKIP_1) | instid1(SALU_CYCLE_2)
	s_fmamk_f32 s0, s18, 0xcf800000, s0
	s_cvt_u32_f32 s45, s18
	s_cvt_u32_f32 s44, s0
	s_delay_alu instid0(SALU_CYCLE_3) | instskip(NEXT) | instid1(SALU_CYCLE_1)
	s_mul_u64 s[48:49], s[46:47], s[44:45]
	s_mul_hi_u32 s51, s44, s49
	s_mul_i32 s50, s44, s49
	s_mul_hi_u32 s18, s44, s48
	s_mul_i32 s39, s45, s48
	s_add_nc_u64 s[50:51], s[18:19], s[50:51]
	s_mul_hi_u32 s0, s45, s48
	s_mul_hi_u32 s52, s45, s49
	s_add_co_u32 s18, s50, s39
	s_add_co_ci_u32 s18, s51, s0
	s_mul_i32 s48, s45, s49
	s_add_co_ci_u32 s49, s52, 0
	s_delay_alu instid0(SALU_CYCLE_1) | instskip(NEXT) | instid1(SALU_CYCLE_1)
	s_add_nc_u64 s[48:49], s[18:19], s[48:49]
	s_add_co_u32 s44, s44, s48
	s_cselect_b32 s0, -1, 0
	s_delay_alu instid0(SALU_CYCLE_1) | instskip(SKIP_1) | instid1(SALU_CYCLE_1)
	s_cmp_lg_u32 s0, 0
	s_add_co_ci_u32 s45, s45, s49
	s_mul_u64 s[46:47], s[46:47], s[44:45]
	s_delay_alu instid0(SALU_CYCLE_1)
	s_mul_hi_u32 s49, s44, s47
	s_mul_i32 s48, s44, s47
	s_mul_hi_u32 s18, s44, s46
	s_mul_i32 s39, s45, s46
	s_add_nc_u64 s[48:49], s[18:19], s[48:49]
	s_mul_hi_u32 s0, s45, s46
	s_mul_hi_u32 s50, s45, s47
	s_add_co_u32 s18, s48, s39
	s_add_co_ci_u32 s18, s49, s0
	s_mul_i32 s46, s45, s47
	s_add_co_ci_u32 s47, s50, 0
	s_delay_alu instid0(SALU_CYCLE_1) | instskip(NEXT) | instid1(SALU_CYCLE_1)
	s_add_nc_u64 s[46:47], s[18:19], s[46:47]
	s_add_co_u32 s0, s44, s46
	s_cselect_b32 s18, -1, 0
	v_mul_hi_u32 v30, v22, s0
	s_cmp_lg_u32 s18, 0
	s_add_co_ci_u32 s18, s45, s47
	s_and_b64 s[44:45], s[0:1], s[26:27]
	v_mul_u64_e32 v[24:25], s[18:19], v[22:23]
	v_mul_u64_e32 v[20:21], s[44:45], v[26:27]
	;; [unrolled: 1-line block ×3, first 2 shown]
	s_delay_alu instid0(VALU_DEP_3) | instskip(NEXT) | instid1(VALU_DEP_1)
	v_add_nc_u64_e32 v[24:25], v[30:31], v[24:25]
	v_add_co_u32 v5, vcc_lo, v24, v20
	s_delay_alu instid0(VALU_DEP_2) | instskip(NEXT) | instid1(VALU_DEP_4)
	v_add_co_ci_u32_e32 v30, vcc_lo, v25, v21, vcc_lo
	v_add_co_ci_u32_e32 v29, vcc_lo, 0, v29, vcc_lo
	s_delay_alu instid0(VALU_DEP_1) | instskip(NEXT) | instid1(VALU_DEP_1)
	v_add_nc_u64_e32 v[20:21], v[30:31], v[28:29]
	v_mul_u64_e32 v[24:25], s[40:41], v[20:21]
	s_delay_alu instid0(VALU_DEP_1) | instskip(NEXT) | instid1(VALU_DEP_2)
	v_sub_nc_u32_e32 v5, v26, v25
	v_sub_co_u32 v15, vcc_lo, v22, v24
	s_delay_alu instid0(VALU_DEP_1) | instskip(NEXT) | instid1(VALU_DEP_3)
	v_sub_co_ci_u32_e64 v26, null, v26, v25, vcc_lo
	v_subrev_co_ci_u32_e64 v5, null, s41, v5, vcc_lo
	s_delay_alu instid0(VALU_DEP_3) | instskip(SKIP_1) | instid1(VALU_DEP_3)
	v_sub_co_u32 v19, s0, v15, s40
	v_add_nc_u64_e32 v[24:25], 1, v[20:21]
	v_subrev_co_ci_u32_e64 v5, null, 0, v5, s0
	s_delay_alu instid0(VALU_DEP_3) | instskip(SKIP_1) | instid1(VALU_DEP_3)
	v_cmp_le_u32_e32 vcc_lo, s40, v19
	v_cndmask_b32_e64 v19, 0, -1, vcc_lo
	v_cmp_le_u32_e32 vcc_lo, s41, v5
	v_cndmask_b32_e64 v22, 0, -1, vcc_lo
	;; [unrolled: 2-line block ×4, first 2 shown]
	v_cmp_eq_u32_e32 vcc_lo, s41, v5
	v_cndmask_b32_e32 v5, v22, v19, vcc_lo
	v_cmp_eq_u32_e32 vcc_lo, s41, v26
	v_add_nc_u64_e32 v[22:23], 2, v[20:21]
	v_cndmask_b32_e32 v15, v27, v15, vcc_lo
	s_delay_alu instid0(VALU_DEP_4) | instskip(NEXT) | instid1(VALU_DEP_2)
	v_cmp_ne_u32_e32 vcc_lo, 0, v5
	v_cmp_ne_u32_e64 s0, 0, v15
	s_delay_alu instid0(VALU_DEP_4) | instskip(NEXT) | instid1(VALU_DEP_1)
	v_dual_cndmask_b32 v5, v25, v23, vcc_lo :: v_dual_cndmask_b32 v15, v24, v22, vcc_lo
	v_dual_cndmask_b32 v19, v20, v15, s0 :: v_dual_mov_b32 v15, v14
	s_delay_alu instid0(VALU_DEP_1) | instskip(NEXT) | instid1(VALU_DEP_1)
	v_dual_cndmask_b32 v5, v21, v5, s0 :: v_dual_bitop2_b32 v20, v19, v14 bitop3:0x14
	v_xor_b32_e32 v21, v5, v14
	s_delay_alu instid0(VALU_DEP_1)
	v_sub_nc_u64_e32 v[14:15], v[20:21], v[14:15]
.LBB54_13:                              ;   in Loop: Header=BB54_11 Depth=2
	s_and_not1_saveexec_b32 s0, s43
	s_cbranch_execz .LBB54_15
; %bb.14:                               ;   in Loop: Header=BB54_11 Depth=2
	v_cvt_f32_u32_e32 v5, s36
	s_sub_co_i32 s18, 0, s36
	s_delay_alu instid0(VALU_DEP_1) | instskip(SKIP_1) | instid1(TRANS32_DEP_1)
	v_rcp_iflag_f32_e32 v5, v5
	v_nop
	v_mul_f32_e32 v5, 0x4f7ffffe, v5
	s_delay_alu instid0(VALU_DEP_1) | instskip(NEXT) | instid1(VALU_DEP_1)
	v_cvt_u32_f32_e32 v5, v5
	v_mul_lo_u32 v14, s18, v5
	s_delay_alu instid0(VALU_DEP_1) | instskip(NEXT) | instid1(VALU_DEP_1)
	v_mul_hi_u32 v14, v5, v14
	v_add_nc_u32_e32 v5, v5, v14
	s_delay_alu instid0(VALU_DEP_1) | instskip(NEXT) | instid1(VALU_DEP_1)
	v_mul_hi_u32 v5, v12, v5
	v_mul_lo_u32 v14, v5, s36
	s_delay_alu instid0(VALU_DEP_1) | instskip(NEXT) | instid1(VALU_DEP_1)
	v_dual_add_nc_u32 v15, 1, v5 :: v_dual_sub_nc_u32 v14, v12, v14
	v_subrev_nc_u32_e32 v19, s36, v14
	v_cmp_le_u32_e32 vcc_lo, s36, v14
	s_delay_alu instid0(VALU_DEP_2) | instskip(NEXT) | instid1(VALU_DEP_4)
	v_cndmask_b32_e32 v14, v14, v19, vcc_lo
	v_cndmask_b32_e32 v5, v5, v15, vcc_lo
	s_delay_alu instid0(VALU_DEP_2) | instskip(NEXT) | instid1(VALU_DEP_2)
	v_cmp_le_u32_e32 vcc_lo, s36, v14
	v_add_nc_u32_e32 v15, 1, v5
	s_delay_alu instid0(VALU_DEP_1)
	v_dual_cndmask_b32 v14, v5, v15 :: v_dual_mov_b32 v15, v4
.LBB54_15:                              ;   in Loop: Header=BB54_11 Depth=2
	s_or_b32 exec_lo, exec_lo, s0
	s_delay_alu instid0(VALU_DEP_1)
	v_mul_u64_e32 v[20:21], s[36:37], v[14:15]
	s_load_b64 s[36:37], s[34:35], 0xc8
	s_add_co_i32 s31, s31, -1
	s_wait_xcnt 0x0
	s_add_nc_u64 s[34:35], s[34:35], -8
	s_cmp_gt_u32 s31, 2
	s_delay_alu instid0(VALU_DEP_1) | instskip(SKIP_1) | instid1(VALU_DEP_1)
	v_sub_nc_u64_e32 v[12:13], v[12:13], v[20:21]
	s_wait_kmcnt 0x0
	v_mad_nc_u64_u32 v[10:11], s36, v12, v[10:11]
	s_delay_alu instid0(VALU_DEP_1) | instskip(NEXT) | instid1(VALU_DEP_1)
	v_mad_u32 v5, s37, v12, v11
	v_mad_u32 v11, s36, v13, v5
	s_cbranch_scc0 .LBB54_17
; %bb.16:                               ;   in Loop: Header=BB54_11 Depth=2
	v_mov_b64_e32 v[12:13], v[14:15]
	s_branch .LBB54_11
.LBB54_17:                              ;   in Loop: Header=BB54_10 Depth=1
	s_delay_alu instid0(VALU_DEP_1) | instskip(NEXT) | instid1(VALU_DEP_1)
	v_mul_u64_e32 v[12:13], s[20:21], v[14:15]
	v_lshl_add_u64 v[12:13], v[12:13], 1, s[22:23]
	s_delay_alu instid0(VALU_DEP_1) | instskip(SKIP_4) | instid1(VALU_DEP_1)
	v_lshl_add_u64 v[10:11], v[10:11], 1, v[12:13]
	global_load_u16 v5, v[10:11], off
	s_wait_loadcnt 0x0
	s_wait_xcnt 0x0
	v_bfe_i32 v10, v5, 0, 16
	v_ashrrev_i32_e32 v11, 31, v10
	s_delay_alu instid0(VALU_DEP_1) | instskip(SKIP_2) | instid1(SALU_CYCLE_1)
	v_cmp_le_i64_e32 vcc_lo, s[6:7], v[10:11]
	v_cmp_ge_i64_e64 s0, s[8:9], v[10:11]
	s_and_b32 s0, vcc_lo, s0
	s_and_saveexec_b32 s36, s0
	s_cbranch_execz .LBB54_9
; %bb.18:                               ;   in Loop: Header=BB54_10 Depth=1
	v_sub_nc_u64_e64 v[10:11], v[10:11], s[6:7]
                                        ; implicit-def: $vgpr12_vgpr13
	s_mov_b32 s0, exec_lo
	s_delay_alu instid0(VALU_DEP_1) | instskip(NEXT) | instid1(VALU_DEP_1)
	v_mul_u64_e32 v[10:11], s[4:5], v[10:11]
	v_or_b32_e32 v5, s25, v11
	s_delay_alu instid0(VALU_DEP_1)
	v_cmpx_ne_u64_e32 0, v[4:5]
	s_xor_b32 s37, exec_lo, s0
	s_cbranch_execz .LBB54_20
; %bb.19:                               ;   in Loop: Header=BB54_10 Depth=1
	s_mov_b32 s31, s30
	v_dual_mov_b32 v15, v4 :: v_dual_ashrrev_i32 v12, 31, v11
	s_add_nc_u64 s[34:35], s[24:25], s[30:31]
	s_delay_alu instid0(SALU_CYCLE_1) | instskip(NEXT) | instid1(VALU_DEP_1)
	s_xor_b64 s[34:35], s[34:35], s[30:31]
	v_mov_b32_e32 v13, v12
	s_cvt_f32_u32 s0, s34
	s_cvt_f32_u32 s18, s35
	s_sub_nc_u64 s[40:41], 0, s[34:35]
	s_delay_alu instid0(VALU_DEP_1) | instskip(NEXT) | instid1(SALU_CYCLE_1)
	v_add_nc_u64_e32 v[10:11], v[10:11], v[12:13]
	s_fmamk_f32 s0, s18, 0x4f800000, s0
	v_mov_b32_e32 v23, v4
	s_delay_alu instid0(SALU_CYCLE_2) | instskip(NEXT) | instid1(VALU_DEP_2)
	v_s_rcp_f32 s0, s0
	v_xor_b32_e32 v14, v10, v12
	s_delay_alu instid0(VALU_DEP_3) | instskip(NEXT) | instid1(TRANS32_DEP_1)
	v_dual_mov_b32 v27, v4 :: v_dual_bitop2_b32 v22, v11, v12 bitop3:0x14
	s_mul_f32 s0, s0, 0x5f7ffffc
	s_delay_alu instid0(SALU_CYCLE_3) | instskip(NEXT) | instid1(SALU_CYCLE_3)
	s_mul_f32 s18, s0, 0x2f800000
	s_trunc_f32 s18, s18
	s_delay_alu instid0(SALU_CYCLE_3) | instskip(SKIP_1) | instid1(SALU_CYCLE_2)
	s_fmamk_f32 s0, s18, 0xcf800000, s0
	s_cvt_u32_f32 s39, s18
	s_cvt_u32_f32 s38, s0
	s_delay_alu instid0(SALU_CYCLE_3) | instskip(NEXT) | instid1(SALU_CYCLE_1)
	s_mul_u64 s[44:45], s[40:41], s[38:39]
	s_mul_hi_u32 s47, s38, s45
	s_mul_i32 s46, s38, s45
	s_mul_hi_u32 s18, s38, s44
	s_mul_i32 s31, s39, s44
	s_add_nc_u64 s[46:47], s[18:19], s[46:47]
	s_mul_hi_u32 s0, s39, s44
	s_mul_hi_u32 s43, s39, s45
	s_add_co_u32 s18, s46, s31
	s_add_co_ci_u32 s18, s47, s0
	s_mul_i32 s44, s39, s45
	s_add_co_ci_u32 s45, s43, 0
	s_delay_alu instid0(SALU_CYCLE_1) | instskip(NEXT) | instid1(SALU_CYCLE_1)
	s_add_nc_u64 s[44:45], s[18:19], s[44:45]
	s_add_co_u32 s38, s38, s44
	s_cselect_b32 s0, -1, 0
	s_delay_alu instid0(SALU_CYCLE_1) | instskip(SKIP_1) | instid1(SALU_CYCLE_1)
	s_cmp_lg_u32 s0, 0
	s_add_co_ci_u32 s39, s39, s45
	s_mul_u64 s[40:41], s[40:41], s[38:39]
	s_delay_alu instid0(SALU_CYCLE_1)
	s_mul_hi_u32 s45, s38, s41
	s_mul_i32 s44, s38, s41
	s_mul_hi_u32 s18, s38, s40
	s_mul_i32 s31, s39, s40
	s_add_nc_u64 s[44:45], s[18:19], s[44:45]
	s_mul_hi_u32 s0, s39, s40
	s_mul_hi_u32 s43, s39, s41
	s_add_co_u32 s18, s44, s31
	s_add_co_ci_u32 s18, s45, s0
	s_mul_i32 s40, s39, s41
	s_add_co_ci_u32 s41, s43, 0
	s_delay_alu instid0(SALU_CYCLE_1) | instskip(NEXT) | instid1(SALU_CYCLE_1)
	s_add_nc_u64 s[40:41], s[18:19], s[40:41]
	s_add_co_u32 s0, s38, s40
	s_cselect_b32 s18, -1, 0
	v_mul_hi_u32 v26, v14, s0
	s_cmp_lg_u32 s18, 0
	s_add_co_ci_u32 s18, s39, s41
	s_and_b64 s[38:39], s[0:1], s[26:27]
	v_mul_u64_e32 v[20:21], s[18:19], v[14:15]
	v_mul_u64_e32 v[10:11], s[38:39], v[22:23]
	;; [unrolled: 1-line block ×3, first 2 shown]
	s_delay_alu instid0(VALU_DEP_3) | instskip(NEXT) | instid1(VALU_DEP_1)
	v_add_nc_u64_e32 v[20:21], v[26:27], v[20:21]
	v_add_co_u32 v5, vcc_lo, v20, v10
	s_delay_alu instid0(VALU_DEP_2) | instskip(NEXT) | instid1(VALU_DEP_4)
	v_add_co_ci_u32_e32 v26, vcc_lo, v21, v11, vcc_lo
	v_add_co_ci_u32_e32 v25, vcc_lo, 0, v25, vcc_lo
	s_delay_alu instid0(VALU_DEP_1) | instskip(NEXT) | instid1(VALU_DEP_1)
	v_add_nc_u64_e32 v[10:11], v[26:27], v[24:25]
	v_mul_u64_e32 v[20:21], s[34:35], v[10:11]
	s_delay_alu instid0(VALU_DEP_1) | instskip(NEXT) | instid1(VALU_DEP_2)
	v_sub_nc_u32_e32 v5, v22, v21
	v_sub_co_u32 v13, vcc_lo, v14, v20
	s_delay_alu instid0(VALU_DEP_1) | instskip(NEXT) | instid1(VALU_DEP_3)
	v_sub_co_ci_u32_e64 v19, null, v22, v21, vcc_lo
	v_subrev_co_ci_u32_e64 v5, null, s35, v5, vcc_lo
	s_delay_alu instid0(VALU_DEP_3) | instskip(SKIP_1) | instid1(VALU_DEP_3)
	v_sub_co_u32 v14, s0, v13, s34
	v_add_nc_u64_e32 v[20:21], 1, v[10:11]
	v_subrev_co_ci_u32_e64 v5, null, 0, v5, s0
	s_delay_alu instid0(VALU_DEP_3) | instskip(SKIP_1) | instid1(VALU_DEP_3)
	v_cmp_le_u32_e32 vcc_lo, s34, v14
	v_cndmask_b32_e64 v14, 0, -1, vcc_lo
	v_cmp_le_u32_e32 vcc_lo, s35, v5
	v_cndmask_b32_e64 v15, 0, -1, vcc_lo
	;; [unrolled: 2-line block ×4, first 2 shown]
	v_cmp_eq_u32_e32 vcc_lo, s35, v5
	v_cndmask_b32_e32 v5, v15, v14, vcc_lo
	v_cmp_eq_u32_e32 vcc_lo, s35, v19
	v_add_nc_u64_e32 v[14:15], 2, v[10:11]
	v_cndmask_b32_e32 v13, v22, v13, vcc_lo
	s_delay_alu instid0(VALU_DEP_4) | instskip(NEXT) | instid1(VALU_DEP_2)
	v_cmp_ne_u32_e32 vcc_lo, 0, v5
	v_cmp_ne_u32_e64 s0, 0, v13
	s_delay_alu instid0(VALU_DEP_4) | instskip(NEXT) | instid1(VALU_DEP_1)
	v_dual_cndmask_b32 v5, v21, v15, vcc_lo :: v_dual_cndmask_b32 v13, v20, v14, vcc_lo
	v_dual_cndmask_b32 v5, v11, v5, s0 :: v_dual_bitop2_b32 v12, s30, v12 bitop3:0x14
	s_delay_alu instid0(VALU_DEP_1) | instskip(NEXT) | instid1(VALU_DEP_2)
	v_dual_cndmask_b32 v10, v10, v13, s0 :: v_dual_mov_b32 v13, v12
	v_xor_b32_e32 v11, v5, v12
	s_delay_alu instid0(VALU_DEP_2) | instskip(NEXT) | instid1(VALU_DEP_1)
	v_xor_b32_e32 v10, v10, v12
	v_sub_nc_u64_e32 v[12:13], v[10:11], v[12:13]
                                        ; implicit-def: $vgpr10_vgpr11
.LBB54_20:                              ;   in Loop: Header=BB54_10 Depth=1
	s_and_not1_saveexec_b32 s0, s37
	s_cbranch_execz .LBB54_8
; %bb.21:                               ;   in Loop: Header=BB54_10 Depth=1
	v_cvt_f32_u32_e32 v5, s24
	s_sub_co_i32 s18, 0, s24
	s_delay_alu instid0(VALU_DEP_1) | instskip(SKIP_1) | instid1(TRANS32_DEP_1)
	v_rcp_iflag_f32_e32 v5, v5
	v_nop
	v_mul_f32_e32 v5, 0x4f7ffffe, v5
	s_delay_alu instid0(VALU_DEP_1) | instskip(NEXT) | instid1(VALU_DEP_1)
	v_cvt_u32_f32_e32 v5, v5
	v_mul_lo_u32 v11, s18, v5
	s_delay_alu instid0(VALU_DEP_1) | instskip(NEXT) | instid1(VALU_DEP_1)
	v_mul_hi_u32 v11, v5, v11
	v_add_nc_u32_e32 v5, v5, v11
	s_delay_alu instid0(VALU_DEP_1) | instskip(NEXT) | instid1(VALU_DEP_1)
	v_mul_hi_u32 v5, v10, v5
	v_mul_lo_u32 v11, v5, s24
	s_delay_alu instid0(VALU_DEP_1) | instskip(NEXT) | instid1(VALU_DEP_1)
	v_dual_sub_nc_u32 v10, v10, v11 :: v_dual_add_nc_u32 v11, 1, v5
	v_subrev_nc_u32_e32 v12, s24, v10
	v_cmp_le_u32_e32 vcc_lo, s24, v10
	s_delay_alu instid0(VALU_DEP_2) | instskip(NEXT) | instid1(VALU_DEP_1)
	v_dual_cndmask_b32 v10, v10, v12 :: v_dual_cndmask_b32 v5, v5, v11
	v_cmp_le_u32_e32 vcc_lo, s24, v10
	s_delay_alu instid0(VALU_DEP_2) | instskip(NEXT) | instid1(VALU_DEP_1)
	v_add_nc_u32_e32 v11, 1, v5
	v_cndmask_b32_e32 v12, v5, v11, vcc_lo
	s_branch .LBB54_8
.LBB54_22:
	s_or_b32 exec_lo, exec_lo, s3
; %bb.23:
	s_wait_dscnt 0x0
	s_barrier_signal -1
	s_barrier_wait -1
	s_and_saveexec_b32 s0, s2
	s_cbranch_execz .LBB54_26
; %bb.24:
	s_mov_b32 s0, 0
	v_and_b32_e32 v2, 0xffff, v18
	v_dual_mov_b32 v3, s0 :: v_dual_lshlrev_b32 v8, 3, v17
	v_mul_u64_e32 v[6:7], s[16:17], v[0:1]
	s_delay_alu instid0(VALU_DEP_2) | instskip(NEXT) | instid1(VALU_DEP_2)
	v_mul_u64_e32 v[4:5], s[16:17], v[2:3]
	v_lshl_add_u64 v[6:7], v[6:7], 3, s[12:13]
	s_delay_alu instid0(VALU_DEP_2)
	v_lshlrev_b64_e32 v[4:5], 3, v[4:5]
.LBB54_25:                              ; =>This Inner Loop Header: Depth=1
	ds_load_b64 v[10:11], v16
	v_add_nc_u64_e32 v[0:1], v[0:1], v[2:3]
	v_add_nc_u32_e32 v16, v16, v8
	s_delay_alu instid0(VALU_DEP_2)
	v_cmp_le_i64_e32 vcc_lo, s[14:15], v[0:1]
	s_or_b32 s0, vcc_lo, s0
	s_wait_dscnt 0x0
	global_atomic_add_u64 v[6:7], v[10:11], off scope:SCOPE_SYS
	s_wait_xcnt 0x0
	v_add_nc_u64_e32 v[6:7], v[6:7], v[4:5]
	s_and_not1_b32 exec_lo, exec_lo, s0
	s_cbranch_execnz .LBB54_25
.LBB54_26:
	s_endpgm
	.section	.rodata,"a",@progbits
	.p2align	6, 0x0
	.amdhsa_kernel _ZN2at4cuda17kernelHistogram1DIlslLi1ELi2ELin1ELNS0_23CUDAHistogramMemoryTypeE0EZNS0_21CUDA_tensor_histogramIlsLb0EEEbNS_6TensorES4_S4_lNS_14AccumulateTypeIT0_Lb1EE4typeES8_NS0_13TensorArgTypeES9_S9_EUllE0_EEvNS0_6detail10TensorInfoIT_T1_EESF_NSC_IKS6_SE_EElS8_S8_SE_T6_
		.amdhsa_group_segment_fixed_size 0
		.amdhsa_private_segment_fixed_size 0
		.amdhsa_kernarg_size 1544
		.amdhsa_user_sgpr_count 2
		.amdhsa_user_sgpr_dispatch_ptr 0
		.amdhsa_user_sgpr_queue_ptr 0
		.amdhsa_user_sgpr_kernarg_segment_ptr 1
		.amdhsa_user_sgpr_dispatch_id 0
		.amdhsa_user_sgpr_kernarg_preload_length 0
		.amdhsa_user_sgpr_kernarg_preload_offset 0
		.amdhsa_user_sgpr_private_segment_size 0
		.amdhsa_wavefront_size32 1
		.amdhsa_uses_dynamic_stack 0
		.amdhsa_enable_private_segment 0
		.amdhsa_system_sgpr_workgroup_id_x 1
		.amdhsa_system_sgpr_workgroup_id_y 0
		.amdhsa_system_sgpr_workgroup_id_z 0
		.amdhsa_system_sgpr_workgroup_info 0
		.amdhsa_system_vgpr_workitem_id 0
		.amdhsa_next_free_vgpr 32
		.amdhsa_next_free_sgpr 53
		.amdhsa_named_barrier_count 0
		.amdhsa_reserve_vcc 1
		.amdhsa_float_round_mode_32 0
		.amdhsa_float_round_mode_16_64 0
		.amdhsa_float_denorm_mode_32 3
		.amdhsa_float_denorm_mode_16_64 3
		.amdhsa_fp16_overflow 0
		.amdhsa_memory_ordered 1
		.amdhsa_forward_progress 1
		.amdhsa_inst_pref_size 19
		.amdhsa_round_robin_scheduling 0
		.amdhsa_exception_fp_ieee_invalid_op 0
		.amdhsa_exception_fp_denorm_src 0
		.amdhsa_exception_fp_ieee_div_zero 0
		.amdhsa_exception_fp_ieee_overflow 0
		.amdhsa_exception_fp_ieee_underflow 0
		.amdhsa_exception_fp_ieee_inexact 0
		.amdhsa_exception_int_div_zero 0
	.end_amdhsa_kernel
	.section	.text._ZN2at4cuda17kernelHistogram1DIlslLi1ELi2ELin1ELNS0_23CUDAHistogramMemoryTypeE0EZNS0_21CUDA_tensor_histogramIlsLb0EEEbNS_6TensorES4_S4_lNS_14AccumulateTypeIT0_Lb1EE4typeES8_NS0_13TensorArgTypeES9_S9_EUllE0_EEvNS0_6detail10TensorInfoIT_T1_EESF_NSC_IKS6_SE_EElS8_S8_SE_T6_,"axG",@progbits,_ZN2at4cuda17kernelHistogram1DIlslLi1ELi2ELin1ELNS0_23CUDAHistogramMemoryTypeE0EZNS0_21CUDA_tensor_histogramIlsLb0EEEbNS_6TensorES4_S4_lNS_14AccumulateTypeIT0_Lb1EE4typeES8_NS0_13TensorArgTypeES9_S9_EUllE0_EEvNS0_6detail10TensorInfoIT_T1_EESF_NSC_IKS6_SE_EElS8_S8_SE_T6_,comdat
.Lfunc_end54:
	.size	_ZN2at4cuda17kernelHistogram1DIlslLi1ELi2ELin1ELNS0_23CUDAHistogramMemoryTypeE0EZNS0_21CUDA_tensor_histogramIlsLb0EEEbNS_6TensorES4_S4_lNS_14AccumulateTypeIT0_Lb1EE4typeES8_NS0_13TensorArgTypeES9_S9_EUllE0_EEvNS0_6detail10TensorInfoIT_T1_EESF_NSC_IKS6_SE_EElS8_S8_SE_T6_, .Lfunc_end54-_ZN2at4cuda17kernelHistogram1DIlslLi1ELi2ELin1ELNS0_23CUDAHistogramMemoryTypeE0EZNS0_21CUDA_tensor_histogramIlsLb0EEEbNS_6TensorES4_S4_lNS_14AccumulateTypeIT0_Lb1EE4typeES8_NS0_13TensorArgTypeES9_S9_EUllE0_EEvNS0_6detail10TensorInfoIT_T1_EESF_NSC_IKS6_SE_EElS8_S8_SE_T6_
                                        ; -- End function
	.set _ZN2at4cuda17kernelHistogram1DIlslLi1ELi2ELin1ELNS0_23CUDAHistogramMemoryTypeE0EZNS0_21CUDA_tensor_histogramIlsLb0EEEbNS_6TensorES4_S4_lNS_14AccumulateTypeIT0_Lb1EE4typeES8_NS0_13TensorArgTypeES9_S9_EUllE0_EEvNS0_6detail10TensorInfoIT_T1_EESF_NSC_IKS6_SE_EElS8_S8_SE_T6_.num_vgpr, 32
	.set _ZN2at4cuda17kernelHistogram1DIlslLi1ELi2ELin1ELNS0_23CUDAHistogramMemoryTypeE0EZNS0_21CUDA_tensor_histogramIlsLb0EEEbNS_6TensorES4_S4_lNS_14AccumulateTypeIT0_Lb1EE4typeES8_NS0_13TensorArgTypeES9_S9_EUllE0_EEvNS0_6detail10TensorInfoIT_T1_EESF_NSC_IKS6_SE_EElS8_S8_SE_T6_.num_agpr, 0
	.set _ZN2at4cuda17kernelHistogram1DIlslLi1ELi2ELin1ELNS0_23CUDAHistogramMemoryTypeE0EZNS0_21CUDA_tensor_histogramIlsLb0EEEbNS_6TensorES4_S4_lNS_14AccumulateTypeIT0_Lb1EE4typeES8_NS0_13TensorArgTypeES9_S9_EUllE0_EEvNS0_6detail10TensorInfoIT_T1_EESF_NSC_IKS6_SE_EElS8_S8_SE_T6_.numbered_sgpr, 53
	.set _ZN2at4cuda17kernelHistogram1DIlslLi1ELi2ELin1ELNS0_23CUDAHistogramMemoryTypeE0EZNS0_21CUDA_tensor_histogramIlsLb0EEEbNS_6TensorES4_S4_lNS_14AccumulateTypeIT0_Lb1EE4typeES8_NS0_13TensorArgTypeES9_S9_EUllE0_EEvNS0_6detail10TensorInfoIT_T1_EESF_NSC_IKS6_SE_EElS8_S8_SE_T6_.num_named_barrier, 0
	.set _ZN2at4cuda17kernelHistogram1DIlslLi1ELi2ELin1ELNS0_23CUDAHistogramMemoryTypeE0EZNS0_21CUDA_tensor_histogramIlsLb0EEEbNS_6TensorES4_S4_lNS_14AccumulateTypeIT0_Lb1EE4typeES8_NS0_13TensorArgTypeES9_S9_EUllE0_EEvNS0_6detail10TensorInfoIT_T1_EESF_NSC_IKS6_SE_EElS8_S8_SE_T6_.private_seg_size, 0
	.set _ZN2at4cuda17kernelHistogram1DIlslLi1ELi2ELin1ELNS0_23CUDAHistogramMemoryTypeE0EZNS0_21CUDA_tensor_histogramIlsLb0EEEbNS_6TensorES4_S4_lNS_14AccumulateTypeIT0_Lb1EE4typeES8_NS0_13TensorArgTypeES9_S9_EUllE0_EEvNS0_6detail10TensorInfoIT_T1_EESF_NSC_IKS6_SE_EElS8_S8_SE_T6_.uses_vcc, 1
	.set _ZN2at4cuda17kernelHistogram1DIlslLi1ELi2ELin1ELNS0_23CUDAHistogramMemoryTypeE0EZNS0_21CUDA_tensor_histogramIlsLb0EEEbNS_6TensorES4_S4_lNS_14AccumulateTypeIT0_Lb1EE4typeES8_NS0_13TensorArgTypeES9_S9_EUllE0_EEvNS0_6detail10TensorInfoIT_T1_EESF_NSC_IKS6_SE_EElS8_S8_SE_T6_.uses_flat_scratch, 0
	.set _ZN2at4cuda17kernelHistogram1DIlslLi1ELi2ELin1ELNS0_23CUDAHistogramMemoryTypeE0EZNS0_21CUDA_tensor_histogramIlsLb0EEEbNS_6TensorES4_S4_lNS_14AccumulateTypeIT0_Lb1EE4typeES8_NS0_13TensorArgTypeES9_S9_EUllE0_EEvNS0_6detail10TensorInfoIT_T1_EESF_NSC_IKS6_SE_EElS8_S8_SE_T6_.has_dyn_sized_stack, 0
	.set _ZN2at4cuda17kernelHistogram1DIlslLi1ELi2ELin1ELNS0_23CUDAHistogramMemoryTypeE0EZNS0_21CUDA_tensor_histogramIlsLb0EEEbNS_6TensorES4_S4_lNS_14AccumulateTypeIT0_Lb1EE4typeES8_NS0_13TensorArgTypeES9_S9_EUllE0_EEvNS0_6detail10TensorInfoIT_T1_EESF_NSC_IKS6_SE_EElS8_S8_SE_T6_.has_recursion, 0
	.set _ZN2at4cuda17kernelHistogram1DIlslLi1ELi2ELin1ELNS0_23CUDAHistogramMemoryTypeE0EZNS0_21CUDA_tensor_histogramIlsLb0EEEbNS_6TensorES4_S4_lNS_14AccumulateTypeIT0_Lb1EE4typeES8_NS0_13TensorArgTypeES9_S9_EUllE0_EEvNS0_6detail10TensorInfoIT_T1_EESF_NSC_IKS6_SE_EElS8_S8_SE_T6_.has_indirect_call, 0
	.section	.AMDGPU.csdata,"",@progbits
; Kernel info:
; codeLenInByte = 2356
; TotalNumSgprs: 55
; NumVgprs: 32
; ScratchSize: 0
; MemoryBound: 0
; FloatMode: 240
; IeeeMode: 1
; LDSByteSize: 0 bytes/workgroup (compile time only)
; SGPRBlocks: 0
; VGPRBlocks: 1
; NumSGPRsForWavesPerEU: 55
; NumVGPRsForWavesPerEU: 32
; NamedBarCnt: 0
; Occupancy: 16
; WaveLimiterHint : 1
; COMPUTE_PGM_RSRC2:SCRATCH_EN: 0
; COMPUTE_PGM_RSRC2:USER_SGPR: 2
; COMPUTE_PGM_RSRC2:TRAP_HANDLER: 0
; COMPUTE_PGM_RSRC2:TGID_X_EN: 1
; COMPUTE_PGM_RSRC2:TGID_Y_EN: 0
; COMPUTE_PGM_RSRC2:TGID_Z_EN: 0
; COMPUTE_PGM_RSRC2:TIDIG_COMP_CNT: 0
	.section	.text._ZN2at4cuda17kernelHistogram1DIlslLi1ELi2ELin1ELNS0_23CUDAHistogramMemoryTypeE1EZNS0_21CUDA_tensor_histogramIlsLb0EEEbNS_6TensorES4_S4_lNS_14AccumulateTypeIT0_Lb1EE4typeES8_NS0_13TensorArgTypeES9_S9_EUllE0_EEvNS0_6detail10TensorInfoIT_T1_EESF_NSC_IKS6_SE_EElS8_S8_SE_T6_,"axG",@progbits,_ZN2at4cuda17kernelHistogram1DIlslLi1ELi2ELin1ELNS0_23CUDAHistogramMemoryTypeE1EZNS0_21CUDA_tensor_histogramIlsLb0EEEbNS_6TensorES4_S4_lNS_14AccumulateTypeIT0_Lb1EE4typeES8_NS0_13TensorArgTypeES9_S9_EUllE0_EEvNS0_6detail10TensorInfoIT_T1_EESF_NSC_IKS6_SE_EElS8_S8_SE_T6_,comdat
	.protected	_ZN2at4cuda17kernelHistogram1DIlslLi1ELi2ELin1ELNS0_23CUDAHistogramMemoryTypeE1EZNS0_21CUDA_tensor_histogramIlsLb0EEEbNS_6TensorES4_S4_lNS_14AccumulateTypeIT0_Lb1EE4typeES8_NS0_13TensorArgTypeES9_S9_EUllE0_EEvNS0_6detail10TensorInfoIT_T1_EESF_NSC_IKS6_SE_EElS8_S8_SE_T6_ ; -- Begin function _ZN2at4cuda17kernelHistogram1DIlslLi1ELi2ELin1ELNS0_23CUDAHistogramMemoryTypeE1EZNS0_21CUDA_tensor_histogramIlsLb0EEEbNS_6TensorES4_S4_lNS_14AccumulateTypeIT0_Lb1EE4typeES8_NS0_13TensorArgTypeES9_S9_EUllE0_EEvNS0_6detail10TensorInfoIT_T1_EESF_NSC_IKS6_SE_EElS8_S8_SE_T6_
	.globl	_ZN2at4cuda17kernelHistogram1DIlslLi1ELi2ELin1ELNS0_23CUDAHistogramMemoryTypeE1EZNS0_21CUDA_tensor_histogramIlsLb0EEEbNS_6TensorES4_S4_lNS_14AccumulateTypeIT0_Lb1EE4typeES8_NS0_13TensorArgTypeES9_S9_EUllE0_EEvNS0_6detail10TensorInfoIT_T1_EESF_NSC_IKS6_SE_EElS8_S8_SE_T6_
	.p2align	8
	.type	_ZN2at4cuda17kernelHistogram1DIlslLi1ELi2ELin1ELNS0_23CUDAHistogramMemoryTypeE1EZNS0_21CUDA_tensor_histogramIlsLb0EEEbNS_6TensorES4_S4_lNS_14AccumulateTypeIT0_Lb1EE4typeES8_NS0_13TensorArgTypeES9_S9_EUllE0_EEvNS0_6detail10TensorInfoIT_T1_EESF_NSC_IKS6_SE_EElS8_S8_SE_T6_,@function
_ZN2at4cuda17kernelHistogram1DIlslLi1ELi2ELin1ELNS0_23CUDAHistogramMemoryTypeE1EZNS0_21CUDA_tensor_histogramIlsLb0EEEbNS_6TensorES4_S4_lNS_14AccumulateTypeIT0_Lb1EE4typeES8_NS0_13TensorArgTypeES9_S9_EUllE0_EEvNS0_6detail10TensorInfoIT_T1_EESF_NSC_IKS6_SE_EElS8_S8_SE_T6_: ; @_ZN2at4cuda17kernelHistogram1DIlslLi1ELi2ELin1ELNS0_23CUDAHistogramMemoryTypeE1EZNS0_21CUDA_tensor_histogramIlsLb0EEEbNS_6TensorES4_S4_lNS_14AccumulateTypeIT0_Lb1EE4typeES8_NS0_13TensorArgTypeES9_S9_EUllE0_EEvNS0_6detail10TensorInfoIT_T1_EESF_NSC_IKS6_SE_EElS8_S8_SE_T6_
; %bb.0:
	s_load_b32 s2, s[0:1], 0x514
	s_bfe_u32 s12, ttmp6, 0x4000c
	s_load_b256 s[4:11], s[0:1], 0x4e0
	s_add_co_i32 s12, s12, 1
	s_and_b32 s3, ttmp6, 15
	s_mul_i32 s12, ttmp9, s12
	s_getreg_b32 s13, hwreg(HW_REG_IB_STS2, 6, 4)
	s_add_co_i32 s3, s3, s12
	v_mov_b32_e32 v2, 0
	s_mov_b32 s12, exec_lo
	s_delay_alu instid0(VALU_DEP_1) | instskip(SKIP_4) | instid1(SALU_CYCLE_1)
	v_mov_b32_e32 v1, v2
	s_wait_kmcnt 0x0
	s_and_b32 s2, s2, 0xffff
	s_cmp_eq_u32 s13, 0
	s_cselect_b32 s3, ttmp9, s3
	v_mad_u32 v0, s3, s2, v0
	s_mov_b32 s3, 0
	s_delay_alu instid0(VALU_DEP_1)
	v_cmpx_gt_i64_e64 s[10:11], v[0:1]
	s_cbranch_execz .LBB55_16
; %bb.1:
	s_load_b32 s28, s[0:1], 0x4d8
	s_add_nc_u64 s[20:21], s[0:1], 0x508
	s_load_b32 s22, s[20:21], 0x0
	s_clause 0x3
	s_load_b64 s[12:13], s[0:1], 0x0
	s_load_b64 s[14:15], s[0:1], 0xd0
	;; [unrolled: 1-line block ×4, first 2 shown]
	s_add_nc_u64 s[26:27], s[0:1], 0x340
	v_mov_b64_e32 v[4:5], 1
	s_wait_xcnt 0x0
	s_sub_nc_u64 s[20:21], s[8:9], s[6:7]
	s_mov_b32 s23, s3
	s_mov_b64 s[24:25], 0xffffffff
	s_mov_b32 s40, 0
	s_wait_kmcnt 0x0
	s_mul_i32 s22, s22, s2
	s_cmp_gt_i32 s28, 1
	s_cselect_b32 s1, -1, 0
	s_add_co_i32 s2, s28, -1
	s_add_co_i32 s33, s28, 1
	s_lshl_b64 s[28:29], s[2:3], 3
	s_delay_alu instid0(SALU_CYCLE_1)
	s_add_nc_u64 s[28:29], s[26:27], s[28:29]
	s_ashr_i32 s26, s21, 31
	s_add_nc_u64 s[28:29], s[28:29], 8
	s_branch .LBB55_4
.LBB55_2:                               ;   in Loop: Header=BB55_4 Depth=1
	s_or_b32 exec_lo, exec_lo, s0
	s_delay_alu instid0(VALU_DEP_1) | instskip(NEXT) | instid1(VALU_DEP_1)
	v_dual_ashrrev_i32 v9, 31, v8 :: v_dual_mov_b32 v7, s3
	v_cmp_eq_u64_e32 vcc_lo, s[4:5], v[8:9]
	v_cndmask_b32_e64 v6, 0, 1, vcc_lo
	s_delay_alu instid0(VALU_DEP_1) | instskip(NEXT) | instid1(VALU_DEP_1)
	v_sub_nc_u64_e32 v[6:7], v[8:9], v[6:7]
	v_mul_u64_e32 v[6:7], s[14:15], v[6:7]
	s_delay_alu instid0(VALU_DEP_1)
	v_lshl_add_u64 v[6:7], v[6:7], 3, s[12:13]
	global_atomic_add_u64 v[6:7], v[4:5], off scope:SCOPE_SYS
.LBB55_3:                               ;   in Loop: Header=BB55_4 Depth=1
	s_wait_xcnt 0x0
	s_or_b32 exec_lo, exec_lo, s34
	v_add_nc_u64_e32 v[0:1], s[22:23], v[0:1]
	s_delay_alu instid0(VALU_DEP_1) | instskip(SKIP_1) | instid1(SALU_CYCLE_1)
	v_cmp_le_i64_e32 vcc_lo, s[10:11], v[0:1]
	s_or_b32 s40, vcc_lo, s40
	s_and_not1_b32 exec_lo, exec_lo, s40
	s_cbranch_execz .LBB55_16
.LBB55_4:                               ; =>This Loop Header: Depth=1
                                        ;     Child Loop BB55_5 Depth 2
	v_mov_b64_e32 v[6:7], 0
	v_mov_b64_e32 v[8:9], v[0:1]
	;; [unrolled: 1-line block ×3, first 2 shown]
	s_and_not1_b32 vcc_lo, exec_lo, s1
	s_mov_b64 s[30:31], s[28:29]
	s_mov_b32 s27, s33
	s_cbranch_vccnz .LBB55_11
.LBB55_5:                               ;   Parent Loop BB55_4 Depth=1
                                        ; =>  This Inner Loop Header: Depth=2
	s_load_b64 s[34:35], s[30:31], 0x0
                                        ; implicit-def: $vgpr10_vgpr11
	s_mov_b32 s0, exec_lo
	s_wait_kmcnt 0x0
	s_delay_alu instid0(VALU_DEP_1) | instskip(NEXT) | instid1(VALU_DEP_1)
	v_or_b32_e32 v3, s35, v9
	v_cmpx_ne_u64_e32 0, v[2:3]
	s_xor_b32 s41, exec_lo, s0
	s_cbranch_execz .LBB55_7
; %bb.6:                                ;   in Loop: Header=BB55_5 Depth=2
	s_ashr_i32 s36, s35, 31
	v_dual_mov_b32 v15, v2 :: v_dual_ashrrev_i32 v10, 31, v9
	s_mov_b32 s37, s36
	v_mov_b32_e32 v23, v2
	s_add_nc_u64 s[38:39], s[34:35], s[36:37]
	s_delay_alu instid0(VALU_DEP_2) | instskip(SKIP_1) | instid1(SALU_CYCLE_1)
	v_mov_b32_e32 v11, v10
	s_xor_b64 s[38:39], s[38:39], s[36:37]
	s_cvt_f32_u32 s0, s38
	s_cvt_f32_u32 s2, s39
	s_sub_nc_u64 s[44:45], 0, s[38:39]
	v_add_nc_u64_e32 v[12:13], v[8:9], v[10:11]
	v_mov_b32_e32 v19, v2
	s_fmamk_f32 s0, s2, 0x4f800000, s0
	s_delay_alu instid0(SALU_CYCLE_3) | instskip(NEXT) | instid1(VALU_DEP_2)
	v_s_rcp_f32 s0, s0
	v_xor_b32_e32 v14, v12, v10
	s_delay_alu instid0(VALU_DEP_3) | instskip(NEXT) | instid1(TRANS32_DEP_1)
	v_xor_b32_e32 v18, v13, v10
	s_mul_f32 s0, s0, 0x5f7ffffc
	s_delay_alu instid0(SALU_CYCLE_3) | instskip(NEXT) | instid1(SALU_CYCLE_3)
	s_mul_f32 s2, s0, 0x2f800000
	s_trunc_f32 s2, s2
	s_delay_alu instid0(SALU_CYCLE_3) | instskip(SKIP_1) | instid1(SALU_CYCLE_2)
	s_fmamk_f32 s0, s2, 0xcf800000, s0
	s_cvt_u32_f32 s43, s2
	s_cvt_u32_f32 s42, s0
	s_delay_alu instid0(SALU_CYCLE_3) | instskip(NEXT) | instid1(SALU_CYCLE_1)
	s_mul_u64 s[46:47], s[44:45], s[42:43]
	s_mul_hi_u32 s49, s42, s47
	s_mul_i32 s48, s42, s47
	s_mul_hi_u32 s2, s42, s46
	s_mul_i32 s37, s43, s46
	s_add_nc_u64 s[48:49], s[2:3], s[48:49]
	s_mul_hi_u32 s0, s43, s46
	s_mul_hi_u32 s50, s43, s47
	s_add_co_u32 s2, s48, s37
	s_add_co_ci_u32 s2, s49, s0
	s_mul_i32 s46, s43, s47
	s_add_co_ci_u32 s47, s50, 0
	s_delay_alu instid0(SALU_CYCLE_1) | instskip(NEXT) | instid1(SALU_CYCLE_1)
	s_add_nc_u64 s[46:47], s[2:3], s[46:47]
	s_add_co_u32 s42, s42, s46
	s_cselect_b32 s0, -1, 0
	s_delay_alu instid0(SALU_CYCLE_1) | instskip(SKIP_1) | instid1(SALU_CYCLE_1)
	s_cmp_lg_u32 s0, 0
	s_add_co_ci_u32 s43, s43, s47
	s_mul_u64 s[44:45], s[44:45], s[42:43]
	s_delay_alu instid0(SALU_CYCLE_1)
	s_mul_hi_u32 s47, s42, s45
	s_mul_i32 s46, s42, s45
	s_mul_hi_u32 s2, s42, s44
	s_mul_i32 s37, s43, s44
	s_add_nc_u64 s[46:47], s[2:3], s[46:47]
	s_mul_hi_u32 s0, s43, s44
	s_mul_hi_u32 s48, s43, s45
	s_add_co_u32 s2, s46, s37
	s_add_co_ci_u32 s2, s47, s0
	s_mul_i32 s44, s43, s45
	s_add_co_ci_u32 s45, s48, 0
	s_delay_alu instid0(SALU_CYCLE_1) | instskip(NEXT) | instid1(SALU_CYCLE_1)
	s_add_nc_u64 s[44:45], s[2:3], s[44:45]
	s_add_co_u32 s0, s42, s44
	s_cselect_b32 s2, -1, 0
	v_mul_hi_u32 v22, v14, s0
	s_cmp_lg_u32 s2, 0
	s_add_co_ci_u32 s2, s43, s45
	s_and_b64 s[42:43], s[0:1], s[24:25]
	v_mul_u64_e32 v[16:17], s[2:3], v[14:15]
	v_mul_u64_e32 v[12:13], s[42:43], v[18:19]
	;; [unrolled: 1-line block ×3, first 2 shown]
	s_delay_alu instid0(VALU_DEP_3) | instskip(NEXT) | instid1(VALU_DEP_1)
	v_add_nc_u64_e32 v[16:17], v[22:23], v[16:17]
	v_add_co_u32 v3, vcc_lo, v16, v12
	s_delay_alu instid0(VALU_DEP_2) | instskip(NEXT) | instid1(VALU_DEP_4)
	v_add_co_ci_u32_e32 v22, vcc_lo, v17, v13, vcc_lo
	v_add_co_ci_u32_e32 v21, vcc_lo, 0, v21, vcc_lo
	s_delay_alu instid0(VALU_DEP_1) | instskip(NEXT) | instid1(VALU_DEP_1)
	v_add_nc_u64_e32 v[12:13], v[22:23], v[20:21]
	v_mul_u64_e32 v[16:17], s[38:39], v[12:13]
	s_delay_alu instid0(VALU_DEP_1) | instskip(NEXT) | instid1(VALU_DEP_2)
	v_sub_nc_u32_e32 v3, v18, v17
	v_sub_co_u32 v11, vcc_lo, v14, v16
	s_delay_alu instid0(VALU_DEP_1) | instskip(NEXT) | instid1(VALU_DEP_3)
	v_sub_co_ci_u32_e64 v18, null, v18, v17, vcc_lo
	v_subrev_co_ci_u32_e64 v3, null, s39, v3, vcc_lo
	s_delay_alu instid0(VALU_DEP_3) | instskip(SKIP_1) | instid1(VALU_DEP_3)
	v_sub_co_u32 v14, s0, v11, s38
	v_add_nc_u64_e32 v[16:17], 1, v[12:13]
	v_subrev_co_ci_u32_e64 v3, null, 0, v3, s0
	s_delay_alu instid0(VALU_DEP_3) | instskip(SKIP_1) | instid1(VALU_DEP_3)
	v_cmp_le_u32_e32 vcc_lo, s38, v14
	v_cndmask_b32_e64 v14, 0, -1, vcc_lo
	v_cmp_le_u32_e32 vcc_lo, s39, v3
	v_cndmask_b32_e64 v15, 0, -1, vcc_lo
	;; [unrolled: 2-line block ×4, first 2 shown]
	v_cmp_eq_u32_e32 vcc_lo, s39, v3
	v_cndmask_b32_e32 v3, v15, v14, vcc_lo
	v_cmp_eq_u32_e32 vcc_lo, s39, v18
	v_add_nc_u64_e32 v[14:15], 2, v[12:13]
	v_cndmask_b32_e32 v11, v19, v11, vcc_lo
	s_delay_alu instid0(VALU_DEP_4) | instskip(NEXT) | instid1(VALU_DEP_2)
	v_cmp_ne_u32_e32 vcc_lo, 0, v3
	v_cmp_ne_u32_e64 s0, 0, v11
	s_delay_alu instid0(VALU_DEP_4) | instskip(NEXT) | instid1(VALU_DEP_1)
	v_dual_cndmask_b32 v3, v17, v15, vcc_lo :: v_dual_cndmask_b32 v11, v16, v14, vcc_lo
	v_dual_cndmask_b32 v3, v13, v3, s0 :: v_dual_bitop2_b32 v10, s36, v10 bitop3:0x14
	s_delay_alu instid0(VALU_DEP_1) | instskip(NEXT) | instid1(VALU_DEP_2)
	v_dual_cndmask_b32 v12, v12, v11, s0 :: v_dual_mov_b32 v11, v10
	v_xor_b32_e32 v13, v3, v10
	s_delay_alu instid0(VALU_DEP_2) | instskip(NEXT) | instid1(VALU_DEP_1)
	v_xor_b32_e32 v12, v12, v10
	v_sub_nc_u64_e32 v[10:11], v[12:13], v[10:11]
.LBB55_7:                               ;   in Loop: Header=BB55_5 Depth=2
	s_and_not1_saveexec_b32 s0, s41
	s_cbranch_execz .LBB55_9
; %bb.8:                                ;   in Loop: Header=BB55_5 Depth=2
	v_cvt_f32_u32_e32 v3, s34
	s_sub_co_i32 s2, 0, s34
	s_delay_alu instid0(VALU_DEP_1) | instskip(SKIP_1) | instid1(TRANS32_DEP_1)
	v_rcp_iflag_f32_e32 v3, v3
	v_nop
	v_mul_f32_e32 v3, 0x4f7ffffe, v3
	s_delay_alu instid0(VALU_DEP_1) | instskip(NEXT) | instid1(VALU_DEP_1)
	v_cvt_u32_f32_e32 v3, v3
	v_mul_lo_u32 v10, s2, v3
	s_delay_alu instid0(VALU_DEP_1) | instskip(NEXT) | instid1(VALU_DEP_1)
	v_mul_hi_u32 v10, v3, v10
	v_add_nc_u32_e32 v3, v3, v10
	s_delay_alu instid0(VALU_DEP_1) | instskip(NEXT) | instid1(VALU_DEP_1)
	v_mul_hi_u32 v3, v8, v3
	v_mul_lo_u32 v10, v3, s34
	s_delay_alu instid0(VALU_DEP_1) | instskip(NEXT) | instid1(VALU_DEP_1)
	v_dual_add_nc_u32 v11, 1, v3 :: v_dual_sub_nc_u32 v10, v8, v10
	v_subrev_nc_u32_e32 v12, s34, v10
	v_cmp_le_u32_e32 vcc_lo, s34, v10
	s_delay_alu instid0(VALU_DEP_2) | instskip(NEXT) | instid1(VALU_DEP_1)
	v_dual_cndmask_b32 v10, v10, v12 :: v_dual_cndmask_b32 v3, v3, v11
	v_cmp_le_u32_e32 vcc_lo, s34, v10
	s_delay_alu instid0(VALU_DEP_2) | instskip(NEXT) | instid1(VALU_DEP_1)
	v_add_nc_u32_e32 v11, 1, v3
	v_dual_cndmask_b32 v10, v3, v11 :: v_dual_mov_b32 v11, v2
.LBB55_9:                               ;   in Loop: Header=BB55_5 Depth=2
	s_or_b32 exec_lo, exec_lo, s0
	s_delay_alu instid0(VALU_DEP_1)
	v_mul_u64_e32 v[12:13], s[34:35], v[10:11]
	s_load_b64 s[34:35], s[30:31], 0xc8
	s_add_co_i32 s27, s27, -1
	s_wait_xcnt 0x0
	s_add_nc_u64 s[30:31], s[30:31], -8
	s_cmp_gt_u32 s27, 2
	s_delay_alu instid0(VALU_DEP_1) | instskip(SKIP_1) | instid1(VALU_DEP_1)
	v_sub_nc_u64_e32 v[8:9], v[8:9], v[12:13]
	s_wait_kmcnt 0x0
	v_mad_nc_u64_u32 v[6:7], s34, v8, v[6:7]
	s_delay_alu instid0(VALU_DEP_1) | instskip(NEXT) | instid1(VALU_DEP_1)
	v_mad_u32 v3, s35, v8, v7
	v_mad_u32 v7, s34, v9, v3
	s_cbranch_scc0 .LBB55_11
; %bb.10:                               ;   in Loop: Header=BB55_5 Depth=2
	v_mov_b64_e32 v[8:9], v[10:11]
	s_branch .LBB55_5
.LBB55_11:                              ;   in Loop: Header=BB55_4 Depth=1
	s_delay_alu instid0(VALU_DEP_1) | instskip(NEXT) | instid1(VALU_DEP_1)
	v_mul_u64_e32 v[8:9], s[16:17], v[10:11]
	v_lshl_add_u64 v[8:9], v[8:9], 1, s[18:19]
	s_delay_alu instid0(VALU_DEP_1) | instskip(SKIP_4) | instid1(VALU_DEP_1)
	v_lshl_add_u64 v[6:7], v[6:7], 1, v[8:9]
	global_load_u16 v3, v[6:7], off
	s_wait_loadcnt 0x0
	s_wait_xcnt 0x0
	v_bfe_i32 v6, v3, 0, 16
	v_ashrrev_i32_e32 v7, 31, v6
	s_delay_alu instid0(VALU_DEP_1) | instskip(SKIP_2) | instid1(SALU_CYCLE_1)
	v_cmp_le_i64_e32 vcc_lo, s[6:7], v[6:7]
	v_cmp_ge_i64_e64 s0, s[8:9], v[6:7]
	s_and_b32 s0, vcc_lo, s0
	s_and_saveexec_b32 s34, s0
	s_cbranch_execz .LBB55_3
; %bb.12:                               ;   in Loop: Header=BB55_4 Depth=1
	v_sub_nc_u64_e64 v[6:7], v[6:7], s[6:7]
                                        ; implicit-def: $vgpr8_vgpr9
	s_mov_b32 s0, exec_lo
	s_delay_alu instid0(VALU_DEP_1) | instskip(NEXT) | instid1(VALU_DEP_1)
	v_mul_u64_e32 v[6:7], s[4:5], v[6:7]
	v_or_b32_e32 v3, s21, v7
	s_delay_alu instid0(VALU_DEP_1)
	v_cmpx_ne_u64_e32 0, v[2:3]
	s_xor_b32 s35, exec_lo, s0
	s_cbranch_execz .LBB55_14
; %bb.13:                               ;   in Loop: Header=BB55_4 Depth=1
	s_mov_b32 s27, s26
	v_dual_mov_b32 v11, v2 :: v_dual_ashrrev_i32 v8, 31, v7
	s_add_nc_u64 s[30:31], s[20:21], s[26:27]
	v_mov_b32_e32 v19, v2
	s_xor_b64 s[30:31], s[30:31], s[26:27]
	s_delay_alu instid0(VALU_DEP_2) | instskip(SKIP_3) | instid1(VALU_DEP_1)
	v_mov_b32_e32 v9, v8
	s_cvt_f32_u32 s0, s30
	s_cvt_f32_u32 s2, s31
	s_sub_nc_u64 s[38:39], 0, s[30:31]
	v_add_nc_u64_e32 v[6:7], v[6:7], v[8:9]
	s_delay_alu instid0(SALU_CYCLE_1) | instskip(SKIP_1) | instid1(SALU_CYCLE_2)
	s_fmamk_f32 s0, s2, 0x4f800000, s0
	v_mov_b32_e32 v15, v2
	v_s_rcp_f32 s0, s0
	s_delay_alu instid0(VALU_DEP_2) | instskip(NEXT) | instid1(VALU_DEP_3)
	v_xor_b32_e32 v10, v6, v8
	v_xor_b32_e32 v14, v7, v8
	s_delay_alu instid0(TRANS32_DEP_1) | instskip(NEXT) | instid1(SALU_CYCLE_3)
	s_mul_f32 s0, s0, 0x5f7ffffc
	s_mul_f32 s2, s0, 0x2f800000
	s_delay_alu instid0(SALU_CYCLE_3) | instskip(NEXT) | instid1(SALU_CYCLE_3)
	s_trunc_f32 s2, s2
	s_fmamk_f32 s0, s2, 0xcf800000, s0
	s_cvt_u32_f32 s37, s2
	s_delay_alu instid0(SALU_CYCLE_2) | instskip(NEXT) | instid1(SALU_CYCLE_3)
	s_cvt_u32_f32 s36, s0
	s_mul_u64 s[42:43], s[38:39], s[36:37]
	s_delay_alu instid0(SALU_CYCLE_1)
	s_mul_hi_u32 s45, s36, s43
	s_mul_i32 s44, s36, s43
	s_mul_hi_u32 s2, s36, s42
	s_mul_i32 s27, s37, s42
	s_add_nc_u64 s[44:45], s[2:3], s[44:45]
	s_mul_hi_u32 s0, s37, s42
	s_mul_hi_u32 s41, s37, s43
	s_add_co_u32 s2, s44, s27
	s_add_co_ci_u32 s2, s45, s0
	s_mul_i32 s42, s37, s43
	s_add_co_ci_u32 s43, s41, 0
	s_delay_alu instid0(SALU_CYCLE_1) | instskip(NEXT) | instid1(SALU_CYCLE_1)
	s_add_nc_u64 s[42:43], s[2:3], s[42:43]
	s_add_co_u32 s36, s36, s42
	s_cselect_b32 s0, -1, 0
	s_delay_alu instid0(SALU_CYCLE_1) | instskip(SKIP_1) | instid1(SALU_CYCLE_1)
	s_cmp_lg_u32 s0, 0
	s_add_co_ci_u32 s37, s37, s43
	s_mul_u64 s[38:39], s[38:39], s[36:37]
	s_delay_alu instid0(SALU_CYCLE_1)
	s_mul_hi_u32 s43, s36, s39
	s_mul_i32 s42, s36, s39
	s_mul_hi_u32 s2, s36, s38
	s_mul_i32 s27, s37, s38
	s_add_nc_u64 s[42:43], s[2:3], s[42:43]
	s_mul_hi_u32 s0, s37, s38
	s_mul_hi_u32 s41, s37, s39
	s_add_co_u32 s2, s42, s27
	s_add_co_ci_u32 s2, s43, s0
	s_mul_i32 s38, s37, s39
	s_add_co_ci_u32 s39, s41, 0
	s_delay_alu instid0(SALU_CYCLE_1) | instskip(NEXT) | instid1(SALU_CYCLE_1)
	s_add_nc_u64 s[38:39], s[2:3], s[38:39]
	s_add_co_u32 s0, s36, s38
	s_cselect_b32 s2, -1, 0
	v_mul_hi_u32 v18, v10, s0
	s_cmp_lg_u32 s2, 0
	s_add_co_ci_u32 s2, s37, s39
	s_and_b64 s[36:37], s[0:1], s[24:25]
	v_mul_u64_e32 v[12:13], s[2:3], v[10:11]
	v_mul_u64_e32 v[6:7], s[36:37], v[14:15]
	;; [unrolled: 1-line block ×3, first 2 shown]
	s_delay_alu instid0(VALU_DEP_3) | instskip(NEXT) | instid1(VALU_DEP_1)
	v_add_nc_u64_e32 v[12:13], v[18:19], v[12:13]
	v_add_co_u32 v3, vcc_lo, v12, v6
	s_delay_alu instid0(VALU_DEP_2) | instskip(NEXT) | instid1(VALU_DEP_4)
	v_add_co_ci_u32_e32 v18, vcc_lo, v13, v7, vcc_lo
	v_add_co_ci_u32_e32 v17, vcc_lo, 0, v17, vcc_lo
	s_delay_alu instid0(VALU_DEP_1) | instskip(NEXT) | instid1(VALU_DEP_1)
	v_add_nc_u64_e32 v[6:7], v[18:19], v[16:17]
	v_mul_u64_e32 v[12:13], s[30:31], v[6:7]
	s_delay_alu instid0(VALU_DEP_1) | instskip(NEXT) | instid1(VALU_DEP_2)
	v_sub_nc_u32_e32 v3, v14, v13
	v_sub_co_u32 v9, vcc_lo, v10, v12
	s_delay_alu instid0(VALU_DEP_1) | instskip(NEXT) | instid1(VALU_DEP_3)
	v_sub_co_ci_u32_e64 v14, null, v14, v13, vcc_lo
	v_subrev_co_ci_u32_e64 v3, null, s31, v3, vcc_lo
	s_delay_alu instid0(VALU_DEP_3) | instskip(SKIP_1) | instid1(VALU_DEP_3)
	v_sub_co_u32 v10, s0, v9, s30
	v_add_nc_u64_e32 v[12:13], 1, v[6:7]
	v_subrev_co_ci_u32_e64 v3, null, 0, v3, s0
	s_delay_alu instid0(VALU_DEP_3) | instskip(SKIP_1) | instid1(VALU_DEP_3)
	v_cmp_le_u32_e32 vcc_lo, s30, v10
	v_cndmask_b32_e64 v10, 0, -1, vcc_lo
	v_cmp_le_u32_e32 vcc_lo, s31, v3
	v_cndmask_b32_e64 v11, 0, -1, vcc_lo
	;; [unrolled: 2-line block ×4, first 2 shown]
	v_cmp_eq_u32_e32 vcc_lo, s31, v3
	v_cndmask_b32_e32 v3, v11, v10, vcc_lo
	v_cmp_eq_u32_e32 vcc_lo, s31, v14
	v_add_nc_u64_e32 v[10:11], 2, v[6:7]
	v_cndmask_b32_e32 v9, v15, v9, vcc_lo
	s_delay_alu instid0(VALU_DEP_4) | instskip(NEXT) | instid1(VALU_DEP_3)
	v_cmp_ne_u32_e32 vcc_lo, 0, v3
	v_cndmask_b32_e32 v3, v13, v11, vcc_lo
	s_delay_alu instid0(VALU_DEP_3) | instskip(SKIP_1) | instid1(VALU_DEP_1)
	v_cmp_ne_u32_e64 s0, 0, v9
	v_dual_cndmask_b32 v9, v12, v10, vcc_lo :: v_dual_bitop2_b32 v8, s26, v8 bitop3:0x14
	v_dual_cndmask_b32 v3, v7, v3, s0 :: v_dual_cndmask_b32 v6, v6, v9, s0
	s_delay_alu instid0(VALU_DEP_1) | instskip(NEXT) | instid1(VALU_DEP_2)
	v_dual_mov_b32 v9, v8 :: v_dual_bitop2_b32 v7, v3, v8 bitop3:0x14
	v_xor_b32_e32 v6, v6, v8
	s_delay_alu instid0(VALU_DEP_1)
	v_sub_nc_u64_e32 v[8:9], v[6:7], v[8:9]
                                        ; implicit-def: $vgpr6_vgpr7
.LBB55_14:                              ;   in Loop: Header=BB55_4 Depth=1
	s_and_not1_saveexec_b32 s0, s35
	s_cbranch_execz .LBB55_2
; %bb.15:                               ;   in Loop: Header=BB55_4 Depth=1
	v_cvt_f32_u32_e32 v3, s20
	s_sub_co_i32 s2, 0, s20
	s_delay_alu instid0(VALU_DEP_1) | instskip(SKIP_1) | instid1(TRANS32_DEP_1)
	v_rcp_iflag_f32_e32 v3, v3
	v_nop
	v_mul_f32_e32 v3, 0x4f7ffffe, v3
	s_delay_alu instid0(VALU_DEP_1) | instskip(NEXT) | instid1(VALU_DEP_1)
	v_cvt_u32_f32_e32 v3, v3
	v_mul_lo_u32 v7, s2, v3
	s_delay_alu instid0(VALU_DEP_1) | instskip(NEXT) | instid1(VALU_DEP_1)
	v_mul_hi_u32 v7, v3, v7
	v_add_nc_u32_e32 v3, v3, v7
	s_delay_alu instid0(VALU_DEP_1) | instskip(NEXT) | instid1(VALU_DEP_1)
	v_mul_hi_u32 v3, v6, v3
	v_mul_lo_u32 v7, v3, s20
	s_delay_alu instid0(VALU_DEP_1) | instskip(SKIP_1) | instid1(VALU_DEP_2)
	v_sub_nc_u32_e32 v6, v6, v7
	v_add_nc_u32_e32 v7, 1, v3
	v_subrev_nc_u32_e32 v8, s20, v6
	v_cmp_le_u32_e32 vcc_lo, s20, v6
	s_delay_alu instid0(VALU_DEP_2) | instskip(NEXT) | instid1(VALU_DEP_1)
	v_dual_cndmask_b32 v6, v6, v8 :: v_dual_cndmask_b32 v3, v3, v7
	v_cmp_le_u32_e32 vcc_lo, s20, v6
	s_delay_alu instid0(VALU_DEP_2) | instskip(NEXT) | instid1(VALU_DEP_1)
	v_add_nc_u32_e32 v7, 1, v3
	v_cndmask_b32_e32 v8, v3, v7, vcc_lo
	s_branch .LBB55_2
.LBB55_16:
	s_endpgm
	.section	.rodata,"a",@progbits
	.p2align	6, 0x0
	.amdhsa_kernel _ZN2at4cuda17kernelHistogram1DIlslLi1ELi2ELin1ELNS0_23CUDAHistogramMemoryTypeE1EZNS0_21CUDA_tensor_histogramIlsLb0EEEbNS_6TensorES4_S4_lNS_14AccumulateTypeIT0_Lb1EE4typeES8_NS0_13TensorArgTypeES9_S9_EUllE0_EEvNS0_6detail10TensorInfoIT_T1_EESF_NSC_IKS6_SE_EElS8_S8_SE_T6_
		.amdhsa_group_segment_fixed_size 0
		.amdhsa_private_segment_fixed_size 0
		.amdhsa_kernarg_size 1544
		.amdhsa_user_sgpr_count 2
		.amdhsa_user_sgpr_dispatch_ptr 0
		.amdhsa_user_sgpr_queue_ptr 0
		.amdhsa_user_sgpr_kernarg_segment_ptr 1
		.amdhsa_user_sgpr_dispatch_id 0
		.amdhsa_user_sgpr_kernarg_preload_length 0
		.amdhsa_user_sgpr_kernarg_preload_offset 0
		.amdhsa_user_sgpr_private_segment_size 0
		.amdhsa_wavefront_size32 1
		.amdhsa_uses_dynamic_stack 0
		.amdhsa_enable_private_segment 0
		.amdhsa_system_sgpr_workgroup_id_x 1
		.amdhsa_system_sgpr_workgroup_id_y 0
		.amdhsa_system_sgpr_workgroup_id_z 0
		.amdhsa_system_sgpr_workgroup_info 0
		.amdhsa_system_vgpr_workitem_id 0
		.amdhsa_next_free_vgpr 24
		.amdhsa_next_free_sgpr 51
		.amdhsa_named_barrier_count 0
		.amdhsa_reserve_vcc 1
		.amdhsa_float_round_mode_32 0
		.amdhsa_float_round_mode_16_64 0
		.amdhsa_float_denorm_mode_32 3
		.amdhsa_float_denorm_mode_16_64 3
		.amdhsa_fp16_overflow 0
		.amdhsa_memory_ordered 1
		.amdhsa_forward_progress 1
		.amdhsa_inst_pref_size 16
		.amdhsa_round_robin_scheduling 0
		.amdhsa_exception_fp_ieee_invalid_op 0
		.amdhsa_exception_fp_denorm_src 0
		.amdhsa_exception_fp_ieee_div_zero 0
		.amdhsa_exception_fp_ieee_overflow 0
		.amdhsa_exception_fp_ieee_underflow 0
		.amdhsa_exception_fp_ieee_inexact 0
		.amdhsa_exception_int_div_zero 0
	.end_amdhsa_kernel
	.section	.text._ZN2at4cuda17kernelHistogram1DIlslLi1ELi2ELin1ELNS0_23CUDAHistogramMemoryTypeE1EZNS0_21CUDA_tensor_histogramIlsLb0EEEbNS_6TensorES4_S4_lNS_14AccumulateTypeIT0_Lb1EE4typeES8_NS0_13TensorArgTypeES9_S9_EUllE0_EEvNS0_6detail10TensorInfoIT_T1_EESF_NSC_IKS6_SE_EElS8_S8_SE_T6_,"axG",@progbits,_ZN2at4cuda17kernelHistogram1DIlslLi1ELi2ELin1ELNS0_23CUDAHistogramMemoryTypeE1EZNS0_21CUDA_tensor_histogramIlsLb0EEEbNS_6TensorES4_S4_lNS_14AccumulateTypeIT0_Lb1EE4typeES8_NS0_13TensorArgTypeES9_S9_EUllE0_EEvNS0_6detail10TensorInfoIT_T1_EESF_NSC_IKS6_SE_EElS8_S8_SE_T6_,comdat
.Lfunc_end55:
	.size	_ZN2at4cuda17kernelHistogram1DIlslLi1ELi2ELin1ELNS0_23CUDAHistogramMemoryTypeE1EZNS0_21CUDA_tensor_histogramIlsLb0EEEbNS_6TensorES4_S4_lNS_14AccumulateTypeIT0_Lb1EE4typeES8_NS0_13TensorArgTypeES9_S9_EUllE0_EEvNS0_6detail10TensorInfoIT_T1_EESF_NSC_IKS6_SE_EElS8_S8_SE_T6_, .Lfunc_end55-_ZN2at4cuda17kernelHistogram1DIlslLi1ELi2ELin1ELNS0_23CUDAHistogramMemoryTypeE1EZNS0_21CUDA_tensor_histogramIlsLb0EEEbNS_6TensorES4_S4_lNS_14AccumulateTypeIT0_Lb1EE4typeES8_NS0_13TensorArgTypeES9_S9_EUllE0_EEvNS0_6detail10TensorInfoIT_T1_EESF_NSC_IKS6_SE_EElS8_S8_SE_T6_
                                        ; -- End function
	.set _ZN2at4cuda17kernelHistogram1DIlslLi1ELi2ELin1ELNS0_23CUDAHistogramMemoryTypeE1EZNS0_21CUDA_tensor_histogramIlsLb0EEEbNS_6TensorES4_S4_lNS_14AccumulateTypeIT0_Lb1EE4typeES8_NS0_13TensorArgTypeES9_S9_EUllE0_EEvNS0_6detail10TensorInfoIT_T1_EESF_NSC_IKS6_SE_EElS8_S8_SE_T6_.num_vgpr, 24
	.set _ZN2at4cuda17kernelHistogram1DIlslLi1ELi2ELin1ELNS0_23CUDAHistogramMemoryTypeE1EZNS0_21CUDA_tensor_histogramIlsLb0EEEbNS_6TensorES4_S4_lNS_14AccumulateTypeIT0_Lb1EE4typeES8_NS0_13TensorArgTypeES9_S9_EUllE0_EEvNS0_6detail10TensorInfoIT_T1_EESF_NSC_IKS6_SE_EElS8_S8_SE_T6_.num_agpr, 0
	.set _ZN2at4cuda17kernelHistogram1DIlslLi1ELi2ELin1ELNS0_23CUDAHistogramMemoryTypeE1EZNS0_21CUDA_tensor_histogramIlsLb0EEEbNS_6TensorES4_S4_lNS_14AccumulateTypeIT0_Lb1EE4typeES8_NS0_13TensorArgTypeES9_S9_EUllE0_EEvNS0_6detail10TensorInfoIT_T1_EESF_NSC_IKS6_SE_EElS8_S8_SE_T6_.numbered_sgpr, 51
	.set _ZN2at4cuda17kernelHistogram1DIlslLi1ELi2ELin1ELNS0_23CUDAHistogramMemoryTypeE1EZNS0_21CUDA_tensor_histogramIlsLb0EEEbNS_6TensorES4_S4_lNS_14AccumulateTypeIT0_Lb1EE4typeES8_NS0_13TensorArgTypeES9_S9_EUllE0_EEvNS0_6detail10TensorInfoIT_T1_EESF_NSC_IKS6_SE_EElS8_S8_SE_T6_.num_named_barrier, 0
	.set _ZN2at4cuda17kernelHistogram1DIlslLi1ELi2ELin1ELNS0_23CUDAHistogramMemoryTypeE1EZNS0_21CUDA_tensor_histogramIlsLb0EEEbNS_6TensorES4_S4_lNS_14AccumulateTypeIT0_Lb1EE4typeES8_NS0_13TensorArgTypeES9_S9_EUllE0_EEvNS0_6detail10TensorInfoIT_T1_EESF_NSC_IKS6_SE_EElS8_S8_SE_T6_.private_seg_size, 0
	.set _ZN2at4cuda17kernelHistogram1DIlslLi1ELi2ELin1ELNS0_23CUDAHistogramMemoryTypeE1EZNS0_21CUDA_tensor_histogramIlsLb0EEEbNS_6TensorES4_S4_lNS_14AccumulateTypeIT0_Lb1EE4typeES8_NS0_13TensorArgTypeES9_S9_EUllE0_EEvNS0_6detail10TensorInfoIT_T1_EESF_NSC_IKS6_SE_EElS8_S8_SE_T6_.uses_vcc, 1
	.set _ZN2at4cuda17kernelHistogram1DIlslLi1ELi2ELin1ELNS0_23CUDAHistogramMemoryTypeE1EZNS0_21CUDA_tensor_histogramIlsLb0EEEbNS_6TensorES4_S4_lNS_14AccumulateTypeIT0_Lb1EE4typeES8_NS0_13TensorArgTypeES9_S9_EUllE0_EEvNS0_6detail10TensorInfoIT_T1_EESF_NSC_IKS6_SE_EElS8_S8_SE_T6_.uses_flat_scratch, 0
	.set _ZN2at4cuda17kernelHistogram1DIlslLi1ELi2ELin1ELNS0_23CUDAHistogramMemoryTypeE1EZNS0_21CUDA_tensor_histogramIlsLb0EEEbNS_6TensorES4_S4_lNS_14AccumulateTypeIT0_Lb1EE4typeES8_NS0_13TensorArgTypeES9_S9_EUllE0_EEvNS0_6detail10TensorInfoIT_T1_EESF_NSC_IKS6_SE_EElS8_S8_SE_T6_.has_dyn_sized_stack, 0
	.set _ZN2at4cuda17kernelHistogram1DIlslLi1ELi2ELin1ELNS0_23CUDAHistogramMemoryTypeE1EZNS0_21CUDA_tensor_histogramIlsLb0EEEbNS_6TensorES4_S4_lNS_14AccumulateTypeIT0_Lb1EE4typeES8_NS0_13TensorArgTypeES9_S9_EUllE0_EEvNS0_6detail10TensorInfoIT_T1_EESF_NSC_IKS6_SE_EElS8_S8_SE_T6_.has_recursion, 0
	.set _ZN2at4cuda17kernelHistogram1DIlslLi1ELi2ELin1ELNS0_23CUDAHistogramMemoryTypeE1EZNS0_21CUDA_tensor_histogramIlsLb0EEEbNS_6TensorES4_S4_lNS_14AccumulateTypeIT0_Lb1EE4typeES8_NS0_13TensorArgTypeES9_S9_EUllE0_EEvNS0_6detail10TensorInfoIT_T1_EESF_NSC_IKS6_SE_EElS8_S8_SE_T6_.has_indirect_call, 0
	.section	.AMDGPU.csdata,"",@progbits
; Kernel info:
; codeLenInByte = 2040
; TotalNumSgprs: 53
; NumVgprs: 24
; ScratchSize: 0
; MemoryBound: 0
; FloatMode: 240
; IeeeMode: 1
; LDSByteSize: 0 bytes/workgroup (compile time only)
; SGPRBlocks: 0
; VGPRBlocks: 1
; NumSGPRsForWavesPerEU: 53
; NumVGPRsForWavesPerEU: 24
; NamedBarCnt: 0
; Occupancy: 16
; WaveLimiterHint : 1
; COMPUTE_PGM_RSRC2:SCRATCH_EN: 0
; COMPUTE_PGM_RSRC2:USER_SGPR: 2
; COMPUTE_PGM_RSRC2:TRAP_HANDLER: 0
; COMPUTE_PGM_RSRC2:TGID_X_EN: 1
; COMPUTE_PGM_RSRC2:TGID_Y_EN: 0
; COMPUTE_PGM_RSRC2:TGID_Z_EN: 0
; COMPUTE_PGM_RSRC2:TIDIG_COMP_CNT: 0
	.section	.text._ZN2at4cuda17kernelHistogram1DIdslLi1ELi2ELin1ELNS0_23CUDAHistogramMemoryTypeE0EZNS0_21CUDA_tensor_histogramIdsLb1EEEbNS_6TensorES4_S4_lNS_14AccumulateTypeIT0_Lb1EE4typeES8_NS0_13TensorArgTypeES9_S9_EUllE_EEvNS0_6detail10TensorInfoIT_T1_EESF_NSC_IKS6_SE_EElS8_S8_SE_T6_,"axG",@progbits,_ZN2at4cuda17kernelHistogram1DIdslLi1ELi2ELin1ELNS0_23CUDAHistogramMemoryTypeE0EZNS0_21CUDA_tensor_histogramIdsLb1EEEbNS_6TensorES4_S4_lNS_14AccumulateTypeIT0_Lb1EE4typeES8_NS0_13TensorArgTypeES9_S9_EUllE_EEvNS0_6detail10TensorInfoIT_T1_EESF_NSC_IKS6_SE_EElS8_S8_SE_T6_,comdat
	.protected	_ZN2at4cuda17kernelHistogram1DIdslLi1ELi2ELin1ELNS0_23CUDAHistogramMemoryTypeE0EZNS0_21CUDA_tensor_histogramIdsLb1EEEbNS_6TensorES4_S4_lNS_14AccumulateTypeIT0_Lb1EE4typeES8_NS0_13TensorArgTypeES9_S9_EUllE_EEvNS0_6detail10TensorInfoIT_T1_EESF_NSC_IKS6_SE_EElS8_S8_SE_T6_ ; -- Begin function _ZN2at4cuda17kernelHistogram1DIdslLi1ELi2ELin1ELNS0_23CUDAHistogramMemoryTypeE0EZNS0_21CUDA_tensor_histogramIdsLb1EEEbNS_6TensorES4_S4_lNS_14AccumulateTypeIT0_Lb1EE4typeES8_NS0_13TensorArgTypeES9_S9_EUllE_EEvNS0_6detail10TensorInfoIT_T1_EESF_NSC_IKS6_SE_EElS8_S8_SE_T6_
	.globl	_ZN2at4cuda17kernelHistogram1DIdslLi1ELi2ELin1ELNS0_23CUDAHistogramMemoryTypeE0EZNS0_21CUDA_tensor_histogramIdsLb1EEEbNS_6TensorES4_S4_lNS_14AccumulateTypeIT0_Lb1EE4typeES8_NS0_13TensorArgTypeES9_S9_EUllE_EEvNS0_6detail10TensorInfoIT_T1_EESF_NSC_IKS6_SE_EElS8_S8_SE_T6_
	.p2align	8
	.type	_ZN2at4cuda17kernelHistogram1DIdslLi1ELi2ELin1ELNS0_23CUDAHistogramMemoryTypeE0EZNS0_21CUDA_tensor_histogramIdsLb1EEEbNS_6TensorES4_S4_lNS_14AccumulateTypeIT0_Lb1EE4typeES8_NS0_13TensorArgTypeES9_S9_EUllE_EEvNS0_6detail10TensorInfoIT_T1_EESF_NSC_IKS6_SE_EElS8_S8_SE_T6_,@function
_ZN2at4cuda17kernelHistogram1DIdslLi1ELi2ELin1ELNS0_23CUDAHistogramMemoryTypeE0EZNS0_21CUDA_tensor_histogramIdsLb1EEEbNS_6TensorES4_S4_lNS_14AccumulateTypeIT0_Lb1EE4typeES8_NS0_13TensorArgTypeES9_S9_EUllE_EEvNS0_6detail10TensorInfoIT_T1_EESF_NSC_IKS6_SE_EElS8_S8_SE_T6_: ; @_ZN2at4cuda17kernelHistogram1DIdslLi1ELi2ELin1ELNS0_23CUDAHistogramMemoryTypeE0EZNS0_21CUDA_tensor_histogramIdsLb1EEEbNS_6TensorES4_S4_lNS_14AccumulateTypeIT0_Lb1EE4typeES8_NS0_13TensorArgTypeES9_S9_EUllE_EEvNS0_6detail10TensorInfoIT_T1_EESF_NSC_IKS6_SE_EElS8_S8_SE_T6_
; %bb.0:
	s_clause 0x2
	s_load_b128 s[12:15], s[0:1], 0x0
	s_load_b64 s[16:17], s[0:1], 0x500
	s_load_b256 s[4:11], s[0:1], 0x4e0
	v_mov_b32_e32 v1, 0
	s_add_nc_u64 s[28:29], s[0:1], 0x6a0
	s_mov_b32 s3, exec_lo
                                        ; implicit-def: $sgpr18
                                        ; implicit-def: $sgpr19
	s_wait_kmcnt 0x0
	s_delay_alu instid0(VALU_DEP_1)
	v_cmp_gt_i64_e64 s2, s[14:15], v[0:1]
	v_cmpx_le_i64_e64 s[14:15], v[0:1]
	s_xor_b32 s3, exec_lo, s3
	s_cbranch_execz .LBB56_2
; %bb.1:
	s_load_b32 s18, s[28:29], 0xc
	s_wait_kmcnt 0x0
	s_and_b32 s19, s18, 0xffff
.LBB56_2:
	s_or_saveexec_b32 s3, s3
	v_dual_mov_b32 v16, s18 :: v_dual_mov_b32 v15, s19
	v_lshl_add_u32 v14, v0, 3, 0
	s_xor_b32 exec_lo, exec_lo, s3
	s_cbranch_execz .LBB56_6
; %bb.3:
	s_load_b32 s20, s[28:29], 0xc
	v_mov_b64_e32 v[2:3], 0
	v_mov_b64_e32 v[4:5], v[0:1]
	v_lshl_add_u32 v6, v0, 3, 0
	s_mov_b32 s19, 0
	s_delay_alu instid0(SALU_CYCLE_1) | instskip(SKIP_2) | instid1(SALU_CYCLE_1)
	s_mov_b32 s21, s19
	s_wait_kmcnt 0x0
	s_and_b32 s18, s20, 0xffff
	s_lshl_b32 s22, s18, 3
.LBB56_4:                               ; =>This Inner Loop Header: Depth=1
	v_add_nc_u64_e32 v[4:5], s[18:19], v[4:5]
	ds_store_b64 v6, v[2:3]
	v_add_nc_u32_e32 v6, s22, v6
	v_cmp_le_i64_e32 vcc_lo, s[14:15], v[4:5]
	s_or_b32 s21, vcc_lo, s21
	s_delay_alu instid0(SALU_CYCLE_1)
	s_and_not1_b32 exec_lo, exec_lo, s21
	s_cbranch_execnz .LBB56_4
; %bb.5:
	s_or_b32 exec_lo, exec_lo, s21
	v_dual_mov_b32 v16, s20 :: v_dual_mov_b32 v15, s18
.LBB56_6:
	s_or_b32 exec_lo, exec_lo, s3
	s_bfe_u32 s3, ttmp6, 0x4000c
	s_clause 0x1
	s_load_b64 s[18:19], s[0:1], 0xd0
	s_load_b64 s[20:21], s[0:1], 0x5d0
	s_add_co_i32 s3, s3, 1
	s_and_b32 s22, ttmp6, 15
	s_mul_i32 s3, ttmp9, s3
	s_getreg_b32 s23, hwreg(HW_REG_IB_STS2, 6, 4)
	s_add_co_i32 s22, s22, s3
	s_cmp_eq_u32 s23, 0
	v_mov_b32_e32 v4, 0
	s_cselect_b32 s3, ttmp9, s22
	s_mov_b32 s23, 0
	v_mad_u32 v2, s3, v15, v0
	s_mov_b32 s3, exec_lo
	v_mov_b32_e32 v3, v4
	s_wait_dscnt 0x0
	s_barrier_signal -1
	s_barrier_wait -1
	s_delay_alu instid0(VALU_DEP_1)
	v_cmpx_gt_i64_e64 s[10:11], v[2:3]
	s_cbranch_execz .LBB56_22
; %bb.7:
	s_load_b32 s33, s[0:1], 0x4d8
	s_load_b32 s22, s[28:29], 0x0
	s_clause 0x1
	s_load_b64 s[24:25], s[0:1], 0x410
	s_load_b64 s[26:27], s[0:1], 0x340
	s_add_nc_u64 s[34:35], s[0:1], 0x340
	v_mov_b32_e32 v7, v4
	s_wait_xcnt 0x0
	s_sub_nc_u64 s[28:29], s[8:9], s[6:7]
	s_mov_b64 s[30:31], 0xffffffff
	s_mov_b32 s46, 0
	s_wait_kmcnt 0x0
	s_cmp_gt_i32 s33, 1
	v_mul_lo_u32 v6, s22, v15
	s_cselect_b32 s1, -1, 0
	s_add_co_i32 s22, s33, -1
	s_add_co_i32 s33, s33, 1
	s_lshl_b64 s[36:37], s[22:23], 3
	s_delay_alu instid0(SALU_CYCLE_1)
	s_add_nc_u64 s[34:35], s[34:35], s[36:37]
	s_ashr_i32 s36, s29, 31
	s_add_nc_u64 s[34:35], s[34:35], 8
	s_branch .LBB56_10
.LBB56_8:                               ;   in Loop: Header=BB56_10 Depth=1
	s_or_b32 exec_lo, exec_lo, s0
	v_mul_u64_e32 v[8:9], s[20:21], v[2:3]
	s_delay_alu instid0(VALU_DEP_2) | instskip(NEXT) | instid1(VALU_DEP_1)
	v_ashrrev_i32_e32 v11, 31, v10
	v_cmp_eq_u64_e32 vcc_lo, s[4:5], v[10:11]
	v_subrev_co_ci_u32_e64 v5, null, 0, v10, vcc_lo
	s_delay_alu instid0(VALU_DEP_1)
	v_lshl_add_u32 v5, v5, 3, 0
	v_lshl_add_u64 v[8:9], v[8:9], 3, s[16:17]
	global_load_b64 v[8:9], v[8:9], off
	s_wait_loadcnt 0x0
	ds_add_f64 v5, v[8:9]
.LBB56_9:                               ;   in Loop: Header=BB56_10 Depth=1
	s_wait_xcnt 0x0
	s_or_b32 exec_lo, exec_lo, s40
	v_add_nc_u64_e32 v[2:3], v[2:3], v[6:7]
	s_delay_alu instid0(VALU_DEP_1) | instskip(SKIP_1) | instid1(SALU_CYCLE_1)
	v_cmp_le_i64_e32 vcc_lo, s[10:11], v[2:3]
	s_or_b32 s46, vcc_lo, s46
	s_and_not1_b32 exec_lo, exec_lo, s46
	s_cbranch_execz .LBB56_22
.LBB56_10:                              ; =>This Loop Header: Depth=1
                                        ;     Child Loop BB56_11 Depth 2
	v_mov_b64_e32 v[8:9], 0
	v_mov_b64_e32 v[10:11], v[2:3]
	;; [unrolled: 1-line block ×3, first 2 shown]
	s_and_not1_b32 vcc_lo, exec_lo, s1
	s_mov_b64 s[38:39], s[34:35]
	s_mov_b32 s37, s33
	s_cbranch_vccnz .LBB56_17
.LBB56_11:                              ;   Parent Loop BB56_10 Depth=1
                                        ; =>  This Inner Loop Header: Depth=2
	s_load_b64 s[40:41], s[38:39], 0x0
                                        ; implicit-def: $vgpr12_vgpr13
	s_mov_b32 s0, exec_lo
	s_wait_kmcnt 0x0
	s_delay_alu instid0(VALU_DEP_1) | instskip(NEXT) | instid1(VALU_DEP_1)
	v_or_b32_e32 v5, s41, v11
	v_cmpx_ne_u64_e32 0, v[4:5]
	s_xor_b32 s47, exec_lo, s0
	s_cbranch_execz .LBB56_13
; %bb.12:                               ;   in Loop: Header=BB56_11 Depth=2
	s_ashr_i32 s42, s41, 31
	v_dual_mov_b32 v21, v4 :: v_dual_ashrrev_i32 v12, 31, v11
	s_mov_b32 s43, s42
	v_mov_b32_e32 v29, v4
	s_add_nc_u64 s[44:45], s[40:41], s[42:43]
	s_delay_alu instid0(VALU_DEP_2) | instskip(SKIP_1) | instid1(SALU_CYCLE_1)
	v_mov_b32_e32 v13, v12
	s_xor_b64 s[44:45], s[44:45], s[42:43]
	s_cvt_f32_u32 s0, s44
	s_cvt_f32_u32 s22, s45
	s_sub_nc_u64 s[50:51], 0, s[44:45]
	v_add_nc_u64_e32 v[18:19], v[10:11], v[12:13]
	v_mov_b32_e32 v25, v4
	s_fmamk_f32 s0, s22, 0x4f800000, s0
	s_delay_alu instid0(SALU_CYCLE_3) | instskip(NEXT) | instid1(VALU_DEP_2)
	v_s_rcp_f32 s0, s0
	v_xor_b32_e32 v20, v18, v12
	s_delay_alu instid0(VALU_DEP_3) | instskip(SKIP_1) | instid1(TRANS32_DEP_1)
	v_xor_b32_e32 v24, v19, v12
	v_xor_b32_e32 v12, s42, v12
	s_mul_f32 s0, s0, 0x5f7ffffc
	s_delay_alu instid0(SALU_CYCLE_3) | instskip(NEXT) | instid1(SALU_CYCLE_3)
	s_mul_f32 s22, s0, 0x2f800000
	s_trunc_f32 s22, s22
	s_delay_alu instid0(SALU_CYCLE_3) | instskip(SKIP_1) | instid1(SALU_CYCLE_2)
	s_fmamk_f32 s0, s22, 0xcf800000, s0
	s_cvt_u32_f32 s49, s22
	s_cvt_u32_f32 s48, s0
	s_delay_alu instid0(SALU_CYCLE_3) | instskip(NEXT) | instid1(SALU_CYCLE_1)
	s_mul_u64 s[52:53], s[50:51], s[48:49]
	s_mul_hi_u32 s55, s48, s53
	s_mul_i32 s54, s48, s53
	s_mul_hi_u32 s22, s48, s52
	s_mul_i32 s43, s49, s52
	s_add_nc_u64 s[54:55], s[22:23], s[54:55]
	s_mul_hi_u32 s0, s49, s52
	s_mul_hi_u32 s56, s49, s53
	s_add_co_u32 s22, s54, s43
	s_add_co_ci_u32 s22, s55, s0
	s_mul_i32 s52, s49, s53
	s_add_co_ci_u32 s53, s56, 0
	s_delay_alu instid0(SALU_CYCLE_1) | instskip(NEXT) | instid1(SALU_CYCLE_1)
	s_add_nc_u64 s[52:53], s[22:23], s[52:53]
	s_add_co_u32 s48, s48, s52
	s_cselect_b32 s0, -1, 0
	s_delay_alu instid0(SALU_CYCLE_1) | instskip(SKIP_1) | instid1(SALU_CYCLE_1)
	s_cmp_lg_u32 s0, 0
	s_add_co_ci_u32 s49, s49, s53
	s_mul_u64 s[50:51], s[50:51], s[48:49]
	s_delay_alu instid0(SALU_CYCLE_1)
	s_mul_hi_u32 s53, s48, s51
	s_mul_i32 s52, s48, s51
	s_mul_hi_u32 s22, s48, s50
	s_mul_i32 s43, s49, s50
	s_add_nc_u64 s[52:53], s[22:23], s[52:53]
	s_mul_hi_u32 s0, s49, s50
	s_mul_hi_u32 s54, s49, s51
	s_add_co_u32 s22, s52, s43
	s_add_co_ci_u32 s22, s53, s0
	s_mul_i32 s50, s49, s51
	s_add_co_ci_u32 s51, s54, 0
	s_delay_alu instid0(SALU_CYCLE_1) | instskip(NEXT) | instid1(SALU_CYCLE_1)
	s_add_nc_u64 s[50:51], s[22:23], s[50:51]
	s_add_co_u32 s0, s48, s50
	s_cselect_b32 s22, -1, 0
	v_mul_hi_u32 v28, v20, s0
	s_cmp_lg_u32 s22, 0
	s_add_co_ci_u32 s22, s49, s51
	s_and_b64 s[48:49], s[0:1], s[30:31]
	v_mul_u64_e32 v[22:23], s[22:23], v[20:21]
	v_mul_u64_e32 v[18:19], s[48:49], v[24:25]
	v_mul_u64_e32 v[26:27], s[22:23], v[24:25]
	s_delay_alu instid0(VALU_DEP_3) | instskip(NEXT) | instid1(VALU_DEP_1)
	v_add_nc_u64_e32 v[22:23], v[28:29], v[22:23]
	v_add_co_u32 v5, vcc_lo, v22, v18
	s_delay_alu instid0(VALU_DEP_2) | instskip(NEXT) | instid1(VALU_DEP_4)
	v_add_co_ci_u32_e32 v28, vcc_lo, v23, v19, vcc_lo
	v_add_co_ci_u32_e32 v27, vcc_lo, 0, v27, vcc_lo
	s_delay_alu instid0(VALU_DEP_1) | instskip(NEXT) | instid1(VALU_DEP_1)
	v_add_nc_u64_e32 v[18:19], v[28:29], v[26:27]
	v_mul_u64_e32 v[22:23], s[44:45], v[18:19]
	s_delay_alu instid0(VALU_DEP_1) | instskip(NEXT) | instid1(VALU_DEP_2)
	v_sub_nc_u32_e32 v5, v24, v23
	v_sub_co_u32 v13, vcc_lo, v20, v22
	s_delay_alu instid0(VALU_DEP_1) | instskip(NEXT) | instid1(VALU_DEP_3)
	v_sub_co_ci_u32_e64 v24, null, v24, v23, vcc_lo
	v_subrev_co_ci_u32_e64 v5, null, s45, v5, vcc_lo
	s_delay_alu instid0(VALU_DEP_3) | instskip(SKIP_1) | instid1(VALU_DEP_3)
	v_sub_co_u32 v17, s0, v13, s44
	v_add_nc_u64_e32 v[22:23], 1, v[18:19]
	v_subrev_co_ci_u32_e64 v5, null, 0, v5, s0
	s_delay_alu instid0(VALU_DEP_3) | instskip(SKIP_1) | instid1(VALU_DEP_3)
	v_cmp_le_u32_e32 vcc_lo, s44, v17
	v_cndmask_b32_e64 v17, 0, -1, vcc_lo
	v_cmp_le_u32_e32 vcc_lo, s45, v5
	v_cndmask_b32_e64 v20, 0, -1, vcc_lo
	;; [unrolled: 2-line block ×4, first 2 shown]
	v_cmp_eq_u32_e32 vcc_lo, s45, v5
	v_cndmask_b32_e32 v5, v20, v17, vcc_lo
	v_cmp_eq_u32_e32 vcc_lo, s45, v24
	v_add_nc_u64_e32 v[20:21], 2, v[18:19]
	v_cndmask_b32_e32 v13, v25, v13, vcc_lo
	s_delay_alu instid0(VALU_DEP_4) | instskip(NEXT) | instid1(VALU_DEP_2)
	v_cmp_ne_u32_e32 vcc_lo, 0, v5
	v_cmp_ne_u32_e64 s0, 0, v13
	s_delay_alu instid0(VALU_DEP_4) | instskip(NEXT) | instid1(VALU_DEP_1)
	v_dual_cndmask_b32 v5, v23, v21, vcc_lo :: v_dual_cndmask_b32 v13, v22, v20, vcc_lo
	v_dual_cndmask_b32 v17, v18, v13, s0 :: v_dual_mov_b32 v13, v12
	s_delay_alu instid0(VALU_DEP_1) | instskip(NEXT) | instid1(VALU_DEP_1)
	v_dual_cndmask_b32 v5, v19, v5, s0 :: v_dual_bitop2_b32 v18, v17, v12 bitop3:0x14
	v_xor_b32_e32 v19, v5, v12
	s_delay_alu instid0(VALU_DEP_1)
	v_sub_nc_u64_e32 v[12:13], v[18:19], v[12:13]
.LBB56_13:                              ;   in Loop: Header=BB56_11 Depth=2
	s_and_not1_saveexec_b32 s0, s47
	s_cbranch_execz .LBB56_15
; %bb.14:                               ;   in Loop: Header=BB56_11 Depth=2
	v_cvt_f32_u32_e32 v5, s40
	s_sub_co_i32 s22, 0, s40
	s_delay_alu instid0(VALU_DEP_1) | instskip(SKIP_1) | instid1(TRANS32_DEP_1)
	v_rcp_iflag_f32_e32 v5, v5
	v_nop
	v_mul_f32_e32 v5, 0x4f7ffffe, v5
	s_delay_alu instid0(VALU_DEP_1) | instskip(NEXT) | instid1(VALU_DEP_1)
	v_cvt_u32_f32_e32 v5, v5
	v_mul_lo_u32 v12, s22, v5
	s_delay_alu instid0(VALU_DEP_1) | instskip(NEXT) | instid1(VALU_DEP_1)
	v_mul_hi_u32 v12, v5, v12
	v_add_nc_u32_e32 v5, v5, v12
	s_delay_alu instid0(VALU_DEP_1) | instskip(NEXT) | instid1(VALU_DEP_1)
	v_mul_hi_u32 v5, v10, v5
	v_mul_lo_u32 v12, v5, s40
	s_delay_alu instid0(VALU_DEP_1) | instskip(NEXT) | instid1(VALU_DEP_1)
	v_dual_add_nc_u32 v13, 1, v5 :: v_dual_sub_nc_u32 v12, v10, v12
	v_subrev_nc_u32_e32 v17, s40, v12
	v_cmp_le_u32_e32 vcc_lo, s40, v12
	s_delay_alu instid0(VALU_DEP_2) | instskip(NEXT) | instid1(VALU_DEP_4)
	v_cndmask_b32_e32 v12, v12, v17, vcc_lo
	v_cndmask_b32_e32 v5, v5, v13, vcc_lo
	s_delay_alu instid0(VALU_DEP_2) | instskip(NEXT) | instid1(VALU_DEP_2)
	v_cmp_le_u32_e32 vcc_lo, s40, v12
	v_add_nc_u32_e32 v13, 1, v5
	s_delay_alu instid0(VALU_DEP_1)
	v_dual_cndmask_b32 v12, v5, v13 :: v_dual_mov_b32 v13, v4
.LBB56_15:                              ;   in Loop: Header=BB56_11 Depth=2
	s_or_b32 exec_lo, exec_lo, s0
	s_delay_alu instid0(VALU_DEP_1)
	v_mul_u64_e32 v[18:19], s[40:41], v[12:13]
	s_load_b64 s[40:41], s[38:39], 0xc8
	s_add_co_i32 s37, s37, -1
	s_wait_xcnt 0x0
	s_add_nc_u64 s[38:39], s[38:39], -8
	s_cmp_gt_u32 s37, 2
	s_delay_alu instid0(VALU_DEP_1) | instskip(SKIP_1) | instid1(VALU_DEP_1)
	v_sub_nc_u64_e32 v[10:11], v[10:11], v[18:19]
	s_wait_kmcnt 0x0
	v_mad_nc_u64_u32 v[8:9], s40, v10, v[8:9]
	s_delay_alu instid0(VALU_DEP_1) | instskip(NEXT) | instid1(VALU_DEP_1)
	v_mad_u32 v5, s41, v10, v9
	v_mad_u32 v9, s40, v11, v5
	s_cbranch_scc0 .LBB56_17
; %bb.16:                               ;   in Loop: Header=BB56_11 Depth=2
	v_mov_b64_e32 v[10:11], v[12:13]
	s_branch .LBB56_11
.LBB56_17:                              ;   in Loop: Header=BB56_10 Depth=1
	s_delay_alu instid0(VALU_DEP_1) | instskip(NEXT) | instid1(VALU_DEP_1)
	v_mul_u64_e32 v[10:11], s[24:25], v[12:13]
	v_lshl_add_u64 v[10:11], v[10:11], 1, s[26:27]
	s_delay_alu instid0(VALU_DEP_1) | instskip(SKIP_4) | instid1(VALU_DEP_1)
	v_lshl_add_u64 v[8:9], v[8:9], 1, v[10:11]
	global_load_u16 v5, v[8:9], off
	s_wait_loadcnt 0x0
	s_wait_xcnt 0x0
	v_bfe_i32 v8, v5, 0, 16
	v_ashrrev_i32_e32 v9, 31, v8
	s_delay_alu instid0(VALU_DEP_1) | instskip(SKIP_2) | instid1(SALU_CYCLE_1)
	v_cmp_le_i64_e32 vcc_lo, s[6:7], v[8:9]
	v_cmp_ge_i64_e64 s0, s[8:9], v[8:9]
	s_and_b32 s0, vcc_lo, s0
	s_and_saveexec_b32 s40, s0
	s_cbranch_execz .LBB56_9
; %bb.18:                               ;   in Loop: Header=BB56_10 Depth=1
	v_sub_nc_u64_e64 v[8:9], v[8:9], s[6:7]
                                        ; implicit-def: $vgpr10_vgpr11
	s_mov_b32 s0, exec_lo
	s_delay_alu instid0(VALU_DEP_1) | instskip(NEXT) | instid1(VALU_DEP_1)
	v_mul_u64_e32 v[8:9], s[4:5], v[8:9]
	v_or_b32_e32 v5, s29, v9
	s_delay_alu instid0(VALU_DEP_1)
	v_cmpx_ne_u64_e32 0, v[4:5]
	s_xor_b32 s41, exec_lo, s0
	s_cbranch_execz .LBB56_20
; %bb.19:                               ;   in Loop: Header=BB56_10 Depth=1
	s_mov_b32 s37, s36
	v_dual_mov_b32 v13, v4 :: v_dual_ashrrev_i32 v10, 31, v9
	s_add_nc_u64 s[38:39], s[28:29], s[36:37]
	v_mov_b32_e32 v25, v4
	s_xor_b64 s[38:39], s[38:39], s[36:37]
	s_delay_alu instid0(VALU_DEP_2) | instskip(SKIP_3) | instid1(VALU_DEP_1)
	v_mov_b32_e32 v11, v10
	s_cvt_f32_u32 s0, s38
	s_cvt_f32_u32 s22, s39
	s_sub_nc_u64 s[44:45], 0, s[38:39]
	v_add_nc_u64_e32 v[8:9], v[8:9], v[10:11]
	s_delay_alu instid0(SALU_CYCLE_1) | instskip(SKIP_1) | instid1(SALU_CYCLE_2)
	s_fmamk_f32 s0, s22, 0x4f800000, s0
	v_mov_b32_e32 v21, v4
	v_s_rcp_f32 s0, s0
	s_delay_alu instid0(VALU_DEP_2) | instskip(NEXT) | instid1(VALU_DEP_3)
	v_xor_b32_e32 v12, v8, v10
	v_xor_b32_e32 v20, v9, v10
	s_delay_alu instid0(TRANS32_DEP_1) | instskip(NEXT) | instid1(SALU_CYCLE_3)
	s_mul_f32 s0, s0, 0x5f7ffffc
	s_mul_f32 s22, s0, 0x2f800000
	s_delay_alu instid0(SALU_CYCLE_3) | instskip(NEXT) | instid1(SALU_CYCLE_3)
	s_trunc_f32 s22, s22
	s_fmamk_f32 s0, s22, 0xcf800000, s0
	s_cvt_u32_f32 s43, s22
	s_delay_alu instid0(SALU_CYCLE_2) | instskip(NEXT) | instid1(SALU_CYCLE_3)
	s_cvt_u32_f32 s42, s0
	s_mul_u64 s[48:49], s[44:45], s[42:43]
	s_delay_alu instid0(SALU_CYCLE_1)
	s_mul_hi_u32 s51, s42, s49
	s_mul_i32 s50, s42, s49
	s_mul_hi_u32 s22, s42, s48
	s_mul_i32 s37, s43, s48
	s_add_nc_u64 s[50:51], s[22:23], s[50:51]
	s_mul_hi_u32 s0, s43, s48
	s_mul_hi_u32 s47, s43, s49
	s_add_co_u32 s22, s50, s37
	s_add_co_ci_u32 s22, s51, s0
	s_mul_i32 s48, s43, s49
	s_add_co_ci_u32 s49, s47, 0
	s_delay_alu instid0(SALU_CYCLE_1) | instskip(NEXT) | instid1(SALU_CYCLE_1)
	s_add_nc_u64 s[48:49], s[22:23], s[48:49]
	s_add_co_u32 s42, s42, s48
	s_cselect_b32 s0, -1, 0
	s_delay_alu instid0(SALU_CYCLE_1) | instskip(SKIP_1) | instid1(SALU_CYCLE_1)
	s_cmp_lg_u32 s0, 0
	s_add_co_ci_u32 s43, s43, s49
	s_mul_u64 s[44:45], s[44:45], s[42:43]
	s_delay_alu instid0(SALU_CYCLE_1)
	s_mul_hi_u32 s49, s42, s45
	s_mul_i32 s48, s42, s45
	s_mul_hi_u32 s22, s42, s44
	s_mul_i32 s37, s43, s44
	s_add_nc_u64 s[48:49], s[22:23], s[48:49]
	s_mul_hi_u32 s0, s43, s44
	s_mul_hi_u32 s47, s43, s45
	s_add_co_u32 s22, s48, s37
	s_add_co_ci_u32 s22, s49, s0
	s_mul_i32 s44, s43, s45
	s_add_co_ci_u32 s45, s47, 0
	s_delay_alu instid0(SALU_CYCLE_1) | instskip(NEXT) | instid1(SALU_CYCLE_1)
	s_add_nc_u64 s[44:45], s[22:23], s[44:45]
	s_add_co_u32 s0, s42, s44
	s_cselect_b32 s22, -1, 0
	v_mul_hi_u32 v24, v12, s0
	s_cmp_lg_u32 s22, 0
	s_add_co_ci_u32 s22, s43, s45
	s_and_b64 s[42:43], s[0:1], s[30:31]
	v_mul_u64_e32 v[18:19], s[22:23], v[12:13]
	v_mul_u64_e32 v[8:9], s[42:43], v[20:21]
	;; [unrolled: 1-line block ×3, first 2 shown]
	s_delay_alu instid0(VALU_DEP_3) | instskip(NEXT) | instid1(VALU_DEP_1)
	v_add_nc_u64_e32 v[18:19], v[24:25], v[18:19]
	v_add_co_u32 v5, vcc_lo, v18, v8
	s_delay_alu instid0(VALU_DEP_2) | instskip(NEXT) | instid1(VALU_DEP_4)
	v_add_co_ci_u32_e32 v24, vcc_lo, v19, v9, vcc_lo
	v_add_co_ci_u32_e32 v23, vcc_lo, 0, v23, vcc_lo
	s_delay_alu instid0(VALU_DEP_1) | instskip(NEXT) | instid1(VALU_DEP_1)
	v_add_nc_u64_e32 v[8:9], v[24:25], v[22:23]
	v_mul_u64_e32 v[18:19], s[38:39], v[8:9]
	s_delay_alu instid0(VALU_DEP_1) | instskip(NEXT) | instid1(VALU_DEP_2)
	v_sub_nc_u32_e32 v5, v20, v19
	v_sub_co_u32 v11, vcc_lo, v12, v18
	s_delay_alu instid0(VALU_DEP_1) | instskip(NEXT) | instid1(VALU_DEP_3)
	v_sub_co_ci_u32_e64 v17, null, v20, v19, vcc_lo
	v_subrev_co_ci_u32_e64 v5, null, s39, v5, vcc_lo
	s_delay_alu instid0(VALU_DEP_3) | instskip(SKIP_1) | instid1(VALU_DEP_3)
	v_sub_co_u32 v12, s0, v11, s38
	v_add_nc_u64_e32 v[18:19], 1, v[8:9]
	v_subrev_co_ci_u32_e64 v5, null, 0, v5, s0
	s_delay_alu instid0(VALU_DEP_3) | instskip(SKIP_1) | instid1(VALU_DEP_3)
	v_cmp_le_u32_e32 vcc_lo, s38, v12
	v_cndmask_b32_e64 v12, 0, -1, vcc_lo
	v_cmp_le_u32_e32 vcc_lo, s39, v5
	v_cndmask_b32_e64 v13, 0, -1, vcc_lo
	;; [unrolled: 2-line block ×4, first 2 shown]
	v_cmp_eq_u32_e32 vcc_lo, s39, v5
	v_cndmask_b32_e32 v5, v13, v12, vcc_lo
	v_cmp_eq_u32_e32 vcc_lo, s39, v17
	v_add_nc_u64_e32 v[12:13], 2, v[8:9]
	v_cndmask_b32_e32 v11, v20, v11, vcc_lo
	s_delay_alu instid0(VALU_DEP_4) | instskip(NEXT) | instid1(VALU_DEP_3)
	v_cmp_ne_u32_e32 vcc_lo, 0, v5
	v_cndmask_b32_e32 v5, v19, v13, vcc_lo
	s_delay_alu instid0(VALU_DEP_3) | instskip(SKIP_1) | instid1(VALU_DEP_1)
	v_cmp_ne_u32_e64 s0, 0, v11
	v_dual_cndmask_b32 v11, v18, v12, vcc_lo :: v_dual_bitop2_b32 v10, s36, v10 bitop3:0x14
	v_dual_cndmask_b32 v5, v9, v5, s0 :: v_dual_cndmask_b32 v8, v8, v11, s0
	s_delay_alu instid0(VALU_DEP_1) | instskip(NEXT) | instid1(VALU_DEP_2)
	v_dual_mov_b32 v11, v10 :: v_dual_bitop2_b32 v9, v5, v10 bitop3:0x14
	v_xor_b32_e32 v8, v8, v10
	s_delay_alu instid0(VALU_DEP_1)
	v_sub_nc_u64_e32 v[10:11], v[8:9], v[10:11]
                                        ; implicit-def: $vgpr8_vgpr9
.LBB56_20:                              ;   in Loop: Header=BB56_10 Depth=1
	s_and_not1_saveexec_b32 s0, s41
	s_cbranch_execz .LBB56_8
; %bb.21:                               ;   in Loop: Header=BB56_10 Depth=1
	v_cvt_f32_u32_e32 v5, s28
	s_sub_co_i32 s22, 0, s28
	s_delay_alu instid0(VALU_DEP_1) | instskip(SKIP_1) | instid1(TRANS32_DEP_1)
	v_rcp_iflag_f32_e32 v5, v5
	v_nop
	v_mul_f32_e32 v5, 0x4f7ffffe, v5
	s_delay_alu instid0(VALU_DEP_1) | instskip(NEXT) | instid1(VALU_DEP_1)
	v_cvt_u32_f32_e32 v5, v5
	v_mul_lo_u32 v9, s22, v5
	s_delay_alu instid0(VALU_DEP_1) | instskip(NEXT) | instid1(VALU_DEP_1)
	v_mul_hi_u32 v9, v5, v9
	v_add_nc_u32_e32 v5, v5, v9
	s_delay_alu instid0(VALU_DEP_1) | instskip(NEXT) | instid1(VALU_DEP_1)
	v_mul_hi_u32 v5, v8, v5
	v_mul_lo_u32 v9, v5, s28
	s_delay_alu instid0(VALU_DEP_1) | instskip(SKIP_1) | instid1(VALU_DEP_2)
	v_sub_nc_u32_e32 v8, v8, v9
	v_add_nc_u32_e32 v9, 1, v5
	v_subrev_nc_u32_e32 v10, s28, v8
	v_cmp_le_u32_e32 vcc_lo, s28, v8
	s_delay_alu instid0(VALU_DEP_2) | instskip(NEXT) | instid1(VALU_DEP_1)
	v_dual_cndmask_b32 v8, v8, v10 :: v_dual_cndmask_b32 v5, v5, v9
	v_cmp_le_u32_e32 vcc_lo, s28, v8
	s_delay_alu instid0(VALU_DEP_2) | instskip(NEXT) | instid1(VALU_DEP_1)
	v_add_nc_u32_e32 v9, 1, v5
	v_cndmask_b32_e32 v10, v5, v9, vcc_lo
	s_branch .LBB56_8
.LBB56_22:
	s_or_b32 exec_lo, exec_lo, s3
; %bb.23:
	s_wait_dscnt 0x0
	s_barrier_signal -1
	s_barrier_wait -1
	s_wait_xcnt 0x0
	s_and_saveexec_b32 s0, s2
	s_cbranch_execz .LBB56_26
; %bb.24:
	s_mov_b32 s0, 0
	v_and_b32_e32 v2, 0xffff, v16
	v_dual_mov_b32 v3, s0 :: v_dual_lshlrev_b32 v8, 3, v15
	s_wait_kmcnt 0x0
	v_mul_u64_e32 v[6:7], s[18:19], v[0:1]
	s_delay_alu instid0(VALU_DEP_2) | instskip(NEXT) | instid1(VALU_DEP_2)
	v_mul_u64_e32 v[4:5], s[18:19], v[2:3]
	v_lshl_add_u64 v[6:7], v[6:7], 3, s[12:13]
	s_delay_alu instid0(VALU_DEP_2)
	v_lshlrev_b64_e32 v[4:5], 3, v[4:5]
.LBB56_25:                              ; =>This Inner Loop Header: Depth=1
	ds_load_b64 v[10:11], v14
	v_add_nc_u64_e32 v[0:1], v[0:1], v[2:3]
	v_add_nc_u32_e32 v14, v14, v8
	s_delay_alu instid0(VALU_DEP_2)
	v_cmp_le_i64_e32 vcc_lo, s[14:15], v[0:1]
	s_or_b32 s0, vcc_lo, s0
	s_wait_dscnt 0x0
	global_atomic_add_f64 v[6:7], v[10:11], off scope:SCOPE_DEV
	s_wait_xcnt 0x0
	v_add_nc_u64_e32 v[6:7], v[6:7], v[4:5]
	s_and_not1_b32 exec_lo, exec_lo, s0
	s_cbranch_execnz .LBB56_25
.LBB56_26:
	s_endpgm
	.section	.rodata,"a",@progbits
	.p2align	6, 0x0
	.amdhsa_kernel _ZN2at4cuda17kernelHistogram1DIdslLi1ELi2ELin1ELNS0_23CUDAHistogramMemoryTypeE0EZNS0_21CUDA_tensor_histogramIdsLb1EEEbNS_6TensorES4_S4_lNS_14AccumulateTypeIT0_Lb1EE4typeES8_NS0_13TensorArgTypeES9_S9_EUllE_EEvNS0_6detail10TensorInfoIT_T1_EESF_NSC_IKS6_SE_EElS8_S8_SE_T6_
		.amdhsa_group_segment_fixed_size 0
		.amdhsa_private_segment_fixed_size 0
		.amdhsa_kernarg_size 1952
		.amdhsa_user_sgpr_count 2
		.amdhsa_user_sgpr_dispatch_ptr 0
		.amdhsa_user_sgpr_queue_ptr 0
		.amdhsa_user_sgpr_kernarg_segment_ptr 1
		.amdhsa_user_sgpr_dispatch_id 0
		.amdhsa_user_sgpr_kernarg_preload_length 0
		.amdhsa_user_sgpr_kernarg_preload_offset 0
		.amdhsa_user_sgpr_private_segment_size 0
		.amdhsa_wavefront_size32 1
		.amdhsa_uses_dynamic_stack 0
		.amdhsa_enable_private_segment 0
		.amdhsa_system_sgpr_workgroup_id_x 1
		.amdhsa_system_sgpr_workgroup_id_y 0
		.amdhsa_system_sgpr_workgroup_id_z 0
		.amdhsa_system_sgpr_workgroup_info 0
		.amdhsa_system_vgpr_workitem_id 0
		.amdhsa_next_free_vgpr 30
		.amdhsa_next_free_sgpr 57
		.amdhsa_named_barrier_count 0
		.amdhsa_reserve_vcc 1
		.amdhsa_float_round_mode_32 0
		.amdhsa_float_round_mode_16_64 0
		.amdhsa_float_denorm_mode_32 3
		.amdhsa_float_denorm_mode_16_64 3
		.amdhsa_fp16_overflow 0
		.amdhsa_memory_ordered 1
		.amdhsa_forward_progress 1
		.amdhsa_inst_pref_size 19
		.amdhsa_round_robin_scheduling 0
		.amdhsa_exception_fp_ieee_invalid_op 0
		.amdhsa_exception_fp_denorm_src 0
		.amdhsa_exception_fp_ieee_div_zero 0
		.amdhsa_exception_fp_ieee_overflow 0
		.amdhsa_exception_fp_ieee_underflow 0
		.amdhsa_exception_fp_ieee_inexact 0
		.amdhsa_exception_int_div_zero 0
	.end_amdhsa_kernel
	.section	.text._ZN2at4cuda17kernelHistogram1DIdslLi1ELi2ELin1ELNS0_23CUDAHistogramMemoryTypeE0EZNS0_21CUDA_tensor_histogramIdsLb1EEEbNS_6TensorES4_S4_lNS_14AccumulateTypeIT0_Lb1EE4typeES8_NS0_13TensorArgTypeES9_S9_EUllE_EEvNS0_6detail10TensorInfoIT_T1_EESF_NSC_IKS6_SE_EElS8_S8_SE_T6_,"axG",@progbits,_ZN2at4cuda17kernelHistogram1DIdslLi1ELi2ELin1ELNS0_23CUDAHistogramMemoryTypeE0EZNS0_21CUDA_tensor_histogramIdsLb1EEEbNS_6TensorES4_S4_lNS_14AccumulateTypeIT0_Lb1EE4typeES8_NS0_13TensorArgTypeES9_S9_EUllE_EEvNS0_6detail10TensorInfoIT_T1_EESF_NSC_IKS6_SE_EElS8_S8_SE_T6_,comdat
.Lfunc_end56:
	.size	_ZN2at4cuda17kernelHistogram1DIdslLi1ELi2ELin1ELNS0_23CUDAHistogramMemoryTypeE0EZNS0_21CUDA_tensor_histogramIdsLb1EEEbNS_6TensorES4_S4_lNS_14AccumulateTypeIT0_Lb1EE4typeES8_NS0_13TensorArgTypeES9_S9_EUllE_EEvNS0_6detail10TensorInfoIT_T1_EESF_NSC_IKS6_SE_EElS8_S8_SE_T6_, .Lfunc_end56-_ZN2at4cuda17kernelHistogram1DIdslLi1ELi2ELin1ELNS0_23CUDAHistogramMemoryTypeE0EZNS0_21CUDA_tensor_histogramIdsLb1EEEbNS_6TensorES4_S4_lNS_14AccumulateTypeIT0_Lb1EE4typeES8_NS0_13TensorArgTypeES9_S9_EUllE_EEvNS0_6detail10TensorInfoIT_T1_EESF_NSC_IKS6_SE_EElS8_S8_SE_T6_
                                        ; -- End function
	.set _ZN2at4cuda17kernelHistogram1DIdslLi1ELi2ELin1ELNS0_23CUDAHistogramMemoryTypeE0EZNS0_21CUDA_tensor_histogramIdsLb1EEEbNS_6TensorES4_S4_lNS_14AccumulateTypeIT0_Lb1EE4typeES8_NS0_13TensorArgTypeES9_S9_EUllE_EEvNS0_6detail10TensorInfoIT_T1_EESF_NSC_IKS6_SE_EElS8_S8_SE_T6_.num_vgpr, 30
	.set _ZN2at4cuda17kernelHistogram1DIdslLi1ELi2ELin1ELNS0_23CUDAHistogramMemoryTypeE0EZNS0_21CUDA_tensor_histogramIdsLb1EEEbNS_6TensorES4_S4_lNS_14AccumulateTypeIT0_Lb1EE4typeES8_NS0_13TensorArgTypeES9_S9_EUllE_EEvNS0_6detail10TensorInfoIT_T1_EESF_NSC_IKS6_SE_EElS8_S8_SE_T6_.num_agpr, 0
	.set _ZN2at4cuda17kernelHistogram1DIdslLi1ELi2ELin1ELNS0_23CUDAHistogramMemoryTypeE0EZNS0_21CUDA_tensor_histogramIdsLb1EEEbNS_6TensorES4_S4_lNS_14AccumulateTypeIT0_Lb1EE4typeES8_NS0_13TensorArgTypeES9_S9_EUllE_EEvNS0_6detail10TensorInfoIT_T1_EESF_NSC_IKS6_SE_EElS8_S8_SE_T6_.numbered_sgpr, 57
	.set _ZN2at4cuda17kernelHistogram1DIdslLi1ELi2ELin1ELNS0_23CUDAHistogramMemoryTypeE0EZNS0_21CUDA_tensor_histogramIdsLb1EEEbNS_6TensorES4_S4_lNS_14AccumulateTypeIT0_Lb1EE4typeES8_NS0_13TensorArgTypeES9_S9_EUllE_EEvNS0_6detail10TensorInfoIT_T1_EESF_NSC_IKS6_SE_EElS8_S8_SE_T6_.num_named_barrier, 0
	.set _ZN2at4cuda17kernelHistogram1DIdslLi1ELi2ELin1ELNS0_23CUDAHistogramMemoryTypeE0EZNS0_21CUDA_tensor_histogramIdsLb1EEEbNS_6TensorES4_S4_lNS_14AccumulateTypeIT0_Lb1EE4typeES8_NS0_13TensorArgTypeES9_S9_EUllE_EEvNS0_6detail10TensorInfoIT_T1_EESF_NSC_IKS6_SE_EElS8_S8_SE_T6_.private_seg_size, 0
	.set _ZN2at4cuda17kernelHistogram1DIdslLi1ELi2ELin1ELNS0_23CUDAHistogramMemoryTypeE0EZNS0_21CUDA_tensor_histogramIdsLb1EEEbNS_6TensorES4_S4_lNS_14AccumulateTypeIT0_Lb1EE4typeES8_NS0_13TensorArgTypeES9_S9_EUllE_EEvNS0_6detail10TensorInfoIT_T1_EESF_NSC_IKS6_SE_EElS8_S8_SE_T6_.uses_vcc, 1
	.set _ZN2at4cuda17kernelHistogram1DIdslLi1ELi2ELin1ELNS0_23CUDAHistogramMemoryTypeE0EZNS0_21CUDA_tensor_histogramIdsLb1EEEbNS_6TensorES4_S4_lNS_14AccumulateTypeIT0_Lb1EE4typeES8_NS0_13TensorArgTypeES9_S9_EUllE_EEvNS0_6detail10TensorInfoIT_T1_EESF_NSC_IKS6_SE_EElS8_S8_SE_T6_.uses_flat_scratch, 0
	.set _ZN2at4cuda17kernelHistogram1DIdslLi1ELi2ELin1ELNS0_23CUDAHistogramMemoryTypeE0EZNS0_21CUDA_tensor_histogramIdsLb1EEEbNS_6TensorES4_S4_lNS_14AccumulateTypeIT0_Lb1EE4typeES8_NS0_13TensorArgTypeES9_S9_EUllE_EEvNS0_6detail10TensorInfoIT_T1_EESF_NSC_IKS6_SE_EElS8_S8_SE_T6_.has_dyn_sized_stack, 0
	.set _ZN2at4cuda17kernelHistogram1DIdslLi1ELi2ELin1ELNS0_23CUDAHistogramMemoryTypeE0EZNS0_21CUDA_tensor_histogramIdsLb1EEEbNS_6TensorES4_S4_lNS_14AccumulateTypeIT0_Lb1EE4typeES8_NS0_13TensorArgTypeES9_S9_EUllE_EEvNS0_6detail10TensorInfoIT_T1_EESF_NSC_IKS6_SE_EElS8_S8_SE_T6_.has_recursion, 0
	.set _ZN2at4cuda17kernelHistogram1DIdslLi1ELi2ELin1ELNS0_23CUDAHistogramMemoryTypeE0EZNS0_21CUDA_tensor_histogramIdsLb1EEEbNS_6TensorES4_S4_lNS_14AccumulateTypeIT0_Lb1EE4typeES8_NS0_13TensorArgTypeES9_S9_EUllE_EEvNS0_6detail10TensorInfoIT_T1_EESF_NSC_IKS6_SE_EElS8_S8_SE_T6_.has_indirect_call, 0
	.section	.AMDGPU.csdata,"",@progbits
; Kernel info:
; codeLenInByte = 2392
; TotalNumSgprs: 59
; NumVgprs: 30
; ScratchSize: 0
; MemoryBound: 0
; FloatMode: 240
; IeeeMode: 1
; LDSByteSize: 0 bytes/workgroup (compile time only)
; SGPRBlocks: 0
; VGPRBlocks: 1
; NumSGPRsForWavesPerEU: 59
; NumVGPRsForWavesPerEU: 30
; NamedBarCnt: 0
; Occupancy: 16
; WaveLimiterHint : 1
; COMPUTE_PGM_RSRC2:SCRATCH_EN: 0
; COMPUTE_PGM_RSRC2:USER_SGPR: 2
; COMPUTE_PGM_RSRC2:TRAP_HANDLER: 0
; COMPUTE_PGM_RSRC2:TGID_X_EN: 1
; COMPUTE_PGM_RSRC2:TGID_Y_EN: 0
; COMPUTE_PGM_RSRC2:TGID_Z_EN: 0
; COMPUTE_PGM_RSRC2:TIDIG_COMP_CNT: 0
	.section	.text._ZN2at4cuda17kernelHistogram1DIdslLi1ELi2ELin1ELNS0_23CUDAHistogramMemoryTypeE1EZNS0_21CUDA_tensor_histogramIdsLb1EEEbNS_6TensorES4_S4_lNS_14AccumulateTypeIT0_Lb1EE4typeES8_NS0_13TensorArgTypeES9_S9_EUllE_EEvNS0_6detail10TensorInfoIT_T1_EESF_NSC_IKS6_SE_EElS8_S8_SE_T6_,"axG",@progbits,_ZN2at4cuda17kernelHistogram1DIdslLi1ELi2ELin1ELNS0_23CUDAHistogramMemoryTypeE1EZNS0_21CUDA_tensor_histogramIdsLb1EEEbNS_6TensorES4_S4_lNS_14AccumulateTypeIT0_Lb1EE4typeES8_NS0_13TensorArgTypeES9_S9_EUllE_EEvNS0_6detail10TensorInfoIT_T1_EESF_NSC_IKS6_SE_EElS8_S8_SE_T6_,comdat
	.protected	_ZN2at4cuda17kernelHistogram1DIdslLi1ELi2ELin1ELNS0_23CUDAHistogramMemoryTypeE1EZNS0_21CUDA_tensor_histogramIdsLb1EEEbNS_6TensorES4_S4_lNS_14AccumulateTypeIT0_Lb1EE4typeES8_NS0_13TensorArgTypeES9_S9_EUllE_EEvNS0_6detail10TensorInfoIT_T1_EESF_NSC_IKS6_SE_EElS8_S8_SE_T6_ ; -- Begin function _ZN2at4cuda17kernelHistogram1DIdslLi1ELi2ELin1ELNS0_23CUDAHistogramMemoryTypeE1EZNS0_21CUDA_tensor_histogramIdsLb1EEEbNS_6TensorES4_S4_lNS_14AccumulateTypeIT0_Lb1EE4typeES8_NS0_13TensorArgTypeES9_S9_EUllE_EEvNS0_6detail10TensorInfoIT_T1_EESF_NSC_IKS6_SE_EElS8_S8_SE_T6_
	.globl	_ZN2at4cuda17kernelHistogram1DIdslLi1ELi2ELin1ELNS0_23CUDAHistogramMemoryTypeE1EZNS0_21CUDA_tensor_histogramIdsLb1EEEbNS_6TensorES4_S4_lNS_14AccumulateTypeIT0_Lb1EE4typeES8_NS0_13TensorArgTypeES9_S9_EUllE_EEvNS0_6detail10TensorInfoIT_T1_EESF_NSC_IKS6_SE_EElS8_S8_SE_T6_
	.p2align	8
	.type	_ZN2at4cuda17kernelHistogram1DIdslLi1ELi2ELin1ELNS0_23CUDAHistogramMemoryTypeE1EZNS0_21CUDA_tensor_histogramIdsLb1EEEbNS_6TensorES4_S4_lNS_14AccumulateTypeIT0_Lb1EE4typeES8_NS0_13TensorArgTypeES9_S9_EUllE_EEvNS0_6detail10TensorInfoIT_T1_EESF_NSC_IKS6_SE_EElS8_S8_SE_T6_,@function
_ZN2at4cuda17kernelHistogram1DIdslLi1ELi2ELin1ELNS0_23CUDAHistogramMemoryTypeE1EZNS0_21CUDA_tensor_histogramIdsLb1EEEbNS_6TensorES4_S4_lNS_14AccumulateTypeIT0_Lb1EE4typeES8_NS0_13TensorArgTypeES9_S9_EUllE_EEvNS0_6detail10TensorInfoIT_T1_EESF_NSC_IKS6_SE_EElS8_S8_SE_T6_: ; @_ZN2at4cuda17kernelHistogram1DIdslLi1ELi2ELin1ELNS0_23CUDAHistogramMemoryTypeE1EZNS0_21CUDA_tensor_histogramIdsLb1EEEbNS_6TensorES4_S4_lNS_14AccumulateTypeIT0_Lb1EE4typeES8_NS0_13TensorArgTypeES9_S9_EUllE_EEvNS0_6detail10TensorInfoIT_T1_EESF_NSC_IKS6_SE_EElS8_S8_SE_T6_
; %bb.0:
	s_load_b32 s2, s[0:1], 0x6ac
	s_bfe_u32 s12, ttmp6, 0x4000c
	s_load_b256 s[4:11], s[0:1], 0x4e0
	s_add_co_i32 s12, s12, 1
	s_and_b32 s3, ttmp6, 15
	s_mul_i32 s12, ttmp9, s12
	s_getreg_b32 s13, hwreg(HW_REG_IB_STS2, 6, 4)
	s_add_co_i32 s3, s3, s12
	v_mov_b32_e32 v2, 0
	s_mov_b32 s12, exec_lo
	s_delay_alu instid0(VALU_DEP_1) | instskip(SKIP_4) | instid1(SALU_CYCLE_1)
	v_mov_b32_e32 v1, v2
	s_wait_kmcnt 0x0
	s_and_b32 s2, s2, 0xffff
	s_cmp_eq_u32 s13, 0
	s_cselect_b32 s3, ttmp9, s3
	v_mad_u32 v0, s3, s2, v0
	s_mov_b32 s3, 0
	s_delay_alu instid0(VALU_DEP_1)
	v_cmpx_gt_i64_e64 s[10:11], v[0:1]
	s_cbranch_execz .LBB57_16
; %bb.1:
	s_clause 0x1
	s_load_b64 s[12:13], s[0:1], 0x5d0
	s_load_b32 s33, s[0:1], 0x4d8
	s_add_nc_u64 s[24:25], s[0:1], 0x6a0
	s_load_b32 s26, s[24:25], 0x0
	s_clause 0x4
	s_load_b64 s[14:15], s[0:1], 0x500
	s_load_b64 s[16:17], s[0:1], 0x0
	;; [unrolled: 1-line block ×5, first 2 shown]
	s_add_nc_u64 s[30:31], s[0:1], 0x340
	s_wait_xcnt 0x0
	s_sub_nc_u64 s[24:25], s[8:9], s[6:7]
	s_mov_b32 s27, s3
	s_mov_b64 s[28:29], 0xffffffff
	s_mov_b32 s44, 0
	s_wait_kmcnt 0x0
	s_mul_i32 s26, s26, s2
	s_cmp_gt_i32 s33, 1
	s_cselect_b32 s1, -1, 0
	s_add_co_i32 s2, s33, -1
	s_add_co_i32 s33, s33, 1
	s_lshl_b64 s[34:35], s[2:3], 3
	s_delay_alu instid0(SALU_CYCLE_1)
	s_add_nc_u64 s[34:35], s[30:31], s[34:35]
	s_ashr_i32 s30, s25, 31
	s_add_nc_u64 s[34:35], s[34:35], 8
	s_branch .LBB57_4
.LBB57_2:                               ;   in Loop: Header=BB57_4 Depth=1
	s_or_b32 exec_lo, exec_lo, s0
	v_mul_u64_e32 v[4:5], s[12:13], v[0:1]
	s_delay_alu instid0(VALU_DEP_2) | instskip(NEXT) | instid1(VALU_DEP_1)
	v_dual_ashrrev_i32 v7, 31, v6 :: v_dual_mov_b32 v9, s3
	v_cmp_eq_u64_e32 vcc_lo, s[4:5], v[6:7]
	v_cndmask_b32_e64 v8, 0, 1, vcc_lo
	s_delay_alu instid0(VALU_DEP_1) | instskip(NEXT) | instid1(VALU_DEP_1)
	v_sub_nc_u64_e32 v[6:7], v[6:7], v[8:9]
	v_mul_u64_e32 v[6:7], s[18:19], v[6:7]
	v_lshl_add_u64 v[4:5], v[4:5], 3, s[14:15]
	global_load_b64 v[4:5], v[4:5], off
	v_lshl_add_u64 v[6:7], v[6:7], 3, s[16:17]
	s_wait_xcnt 0x0
	s_wait_loadcnt 0x0
	global_atomic_add_f64 v[6:7], v[4:5], off scope:SCOPE_DEV
.LBB57_3:                               ;   in Loop: Header=BB57_4 Depth=1
	s_wait_xcnt 0x0
	s_or_b32 exec_lo, exec_lo, s38
	v_add_nc_u64_e32 v[0:1], s[26:27], v[0:1]
	s_delay_alu instid0(VALU_DEP_1) | instskip(SKIP_1) | instid1(SALU_CYCLE_1)
	v_cmp_le_i64_e32 vcc_lo, s[10:11], v[0:1]
	s_or_b32 s44, vcc_lo, s44
	s_and_not1_b32 exec_lo, exec_lo, s44
	s_cbranch_execz .LBB57_16
.LBB57_4:                               ; =>This Loop Header: Depth=1
                                        ;     Child Loop BB57_5 Depth 2
	v_mov_b64_e32 v[4:5], 0
	v_mov_b64_e32 v[6:7], v[0:1]
	v_mov_b64_e32 v[8:9], v[0:1]
	s_and_not1_b32 vcc_lo, exec_lo, s1
	s_mov_b64 s[36:37], s[34:35]
	s_mov_b32 s31, s33
	s_cbranch_vccnz .LBB57_11
.LBB57_5:                               ;   Parent Loop BB57_4 Depth=1
                                        ; =>  This Inner Loop Header: Depth=2
	s_load_b64 s[38:39], s[36:37], 0x0
                                        ; implicit-def: $vgpr8_vgpr9
	s_mov_b32 s0, exec_lo
	s_wait_kmcnt 0x0
	s_delay_alu instid0(VALU_DEP_1) | instskip(NEXT) | instid1(VALU_DEP_1)
	v_or_b32_e32 v3, s39, v7
	v_cmpx_ne_u64_e32 0, v[2:3]
	s_xor_b32 s45, exec_lo, s0
	s_cbranch_execz .LBB57_7
; %bb.6:                                ;   in Loop: Header=BB57_5 Depth=2
	s_ashr_i32 s40, s39, 31
	v_dual_mov_b32 v13, v2 :: v_dual_ashrrev_i32 v8, 31, v7
	s_mov_b32 s41, s40
	s_delay_alu instid0(SALU_CYCLE_1) | instskip(NEXT) | instid1(VALU_DEP_1)
	s_add_nc_u64 s[42:43], s[38:39], s[40:41]
	v_mov_b32_e32 v9, v8
	s_xor_b64 s[42:43], s[42:43], s[40:41]
	s_delay_alu instid0(SALU_CYCLE_1)
	s_cvt_f32_u32 s0, s42
	s_cvt_f32_u32 s2, s43
	s_sub_nc_u64 s[48:49], 0, s[42:43]
	v_add_nc_u64_e32 v[10:11], v[6:7], v[8:9]
	v_mov_b32_e32 v17, v2
	s_fmamk_f32 s0, s2, 0x4f800000, s0
	s_delay_alu instid0(SALU_CYCLE_3) | instskip(NEXT) | instid1(VALU_DEP_2)
	v_s_rcp_f32 s0, s0
	v_xor_b32_e32 v12, v10, v8
	s_delay_alu instid0(VALU_DEP_3) | instskip(SKIP_1) | instid1(TRANS32_DEP_1)
	v_dual_mov_b32 v21, v2 :: v_dual_bitop2_b32 v16, v11, v8 bitop3:0x14
	v_xor_b32_e32 v8, s40, v8
	s_mul_f32 s0, s0, 0x5f7ffffc
	s_delay_alu instid0(SALU_CYCLE_3) | instskip(NEXT) | instid1(SALU_CYCLE_3)
	s_mul_f32 s2, s0, 0x2f800000
	s_trunc_f32 s2, s2
	s_delay_alu instid0(SALU_CYCLE_3) | instskip(SKIP_1) | instid1(SALU_CYCLE_2)
	s_fmamk_f32 s0, s2, 0xcf800000, s0
	s_cvt_u32_f32 s47, s2
	s_cvt_u32_f32 s46, s0
	s_delay_alu instid0(SALU_CYCLE_3) | instskip(NEXT) | instid1(SALU_CYCLE_1)
	s_mul_u64 s[50:51], s[48:49], s[46:47]
	s_mul_hi_u32 s53, s46, s51
	s_mul_i32 s52, s46, s51
	s_mul_hi_u32 s2, s46, s50
	s_mul_i32 s41, s47, s50
	s_add_nc_u64 s[52:53], s[2:3], s[52:53]
	s_mul_hi_u32 s0, s47, s50
	s_mul_hi_u32 s54, s47, s51
	s_add_co_u32 s2, s52, s41
	s_add_co_ci_u32 s2, s53, s0
	s_mul_i32 s50, s47, s51
	s_add_co_ci_u32 s51, s54, 0
	s_delay_alu instid0(SALU_CYCLE_1) | instskip(NEXT) | instid1(SALU_CYCLE_1)
	s_add_nc_u64 s[50:51], s[2:3], s[50:51]
	s_add_co_u32 s46, s46, s50
	s_cselect_b32 s0, -1, 0
	s_delay_alu instid0(SALU_CYCLE_1) | instskip(SKIP_1) | instid1(SALU_CYCLE_1)
	s_cmp_lg_u32 s0, 0
	s_add_co_ci_u32 s47, s47, s51
	s_mul_u64 s[48:49], s[48:49], s[46:47]
	s_delay_alu instid0(SALU_CYCLE_1)
	s_mul_hi_u32 s51, s46, s49
	s_mul_i32 s50, s46, s49
	s_mul_hi_u32 s2, s46, s48
	s_mul_i32 s41, s47, s48
	s_add_nc_u64 s[50:51], s[2:3], s[50:51]
	s_mul_hi_u32 s0, s47, s48
	s_mul_hi_u32 s52, s47, s49
	s_add_co_u32 s2, s50, s41
	s_add_co_ci_u32 s2, s51, s0
	s_mul_i32 s48, s47, s49
	s_add_co_ci_u32 s49, s52, 0
	s_delay_alu instid0(SALU_CYCLE_1) | instskip(NEXT) | instid1(SALU_CYCLE_1)
	s_add_nc_u64 s[48:49], s[2:3], s[48:49]
	s_add_co_u32 s0, s46, s48
	s_cselect_b32 s2, -1, 0
	v_mul_hi_u32 v20, v12, s0
	s_cmp_lg_u32 s2, 0
	s_add_co_ci_u32 s2, s47, s49
	s_and_b64 s[46:47], s[0:1], s[28:29]
	v_mul_u64_e32 v[14:15], s[2:3], v[12:13]
	v_mul_u64_e32 v[10:11], s[46:47], v[16:17]
	;; [unrolled: 1-line block ×3, first 2 shown]
	s_delay_alu instid0(VALU_DEP_3) | instskip(NEXT) | instid1(VALU_DEP_1)
	v_add_nc_u64_e32 v[14:15], v[20:21], v[14:15]
	v_add_co_u32 v3, vcc_lo, v14, v10
	s_delay_alu instid0(VALU_DEP_2) | instskip(NEXT) | instid1(VALU_DEP_4)
	v_add_co_ci_u32_e32 v20, vcc_lo, v15, v11, vcc_lo
	v_add_co_ci_u32_e32 v19, vcc_lo, 0, v19, vcc_lo
	s_delay_alu instid0(VALU_DEP_1) | instskip(NEXT) | instid1(VALU_DEP_1)
	v_add_nc_u64_e32 v[10:11], v[20:21], v[18:19]
	v_mul_u64_e32 v[14:15], s[42:43], v[10:11]
	s_delay_alu instid0(VALU_DEP_1) | instskip(NEXT) | instid1(VALU_DEP_2)
	v_sub_nc_u32_e32 v3, v16, v15
	v_sub_co_u32 v9, vcc_lo, v12, v14
	s_delay_alu instid0(VALU_DEP_1) | instskip(NEXT) | instid1(VALU_DEP_3)
	v_sub_co_ci_u32_e64 v16, null, v16, v15, vcc_lo
	v_subrev_co_ci_u32_e64 v3, null, s43, v3, vcc_lo
	s_delay_alu instid0(VALU_DEP_3) | instskip(SKIP_1) | instid1(VALU_DEP_3)
	v_sub_co_u32 v12, s0, v9, s42
	v_add_nc_u64_e32 v[14:15], 1, v[10:11]
	v_subrev_co_ci_u32_e64 v3, null, 0, v3, s0
	s_delay_alu instid0(VALU_DEP_3) | instskip(SKIP_1) | instid1(VALU_DEP_3)
	v_cmp_le_u32_e32 vcc_lo, s42, v12
	v_cndmask_b32_e64 v12, 0, -1, vcc_lo
	v_cmp_le_u32_e32 vcc_lo, s43, v3
	v_cndmask_b32_e64 v13, 0, -1, vcc_lo
	;; [unrolled: 2-line block ×4, first 2 shown]
	v_cmp_eq_u32_e32 vcc_lo, s43, v3
	v_cndmask_b32_e32 v3, v13, v12, vcc_lo
	v_cmp_eq_u32_e32 vcc_lo, s43, v16
	v_add_nc_u64_e32 v[12:13], 2, v[10:11]
	v_cndmask_b32_e32 v9, v17, v9, vcc_lo
	s_delay_alu instid0(VALU_DEP_4) | instskip(NEXT) | instid1(VALU_DEP_2)
	v_cmp_ne_u32_e32 vcc_lo, 0, v3
	v_cmp_ne_u32_e64 s0, 0, v9
	s_delay_alu instid0(VALU_DEP_4) | instskip(NEXT) | instid1(VALU_DEP_1)
	v_dual_cndmask_b32 v3, v15, v13, vcc_lo :: v_dual_cndmask_b32 v9, v14, v12, vcc_lo
	v_dual_cndmask_b32 v10, v10, v9, s0 :: v_dual_mov_b32 v9, v8
	s_delay_alu instid0(VALU_DEP_1) | instskip(NEXT) | instid1(VALU_DEP_1)
	v_dual_cndmask_b32 v3, v11, v3, s0 :: v_dual_bitop2_b32 v10, v10, v8 bitop3:0x14
	v_xor_b32_e32 v11, v3, v8
	s_delay_alu instid0(VALU_DEP_1)
	v_sub_nc_u64_e32 v[8:9], v[10:11], v[8:9]
.LBB57_7:                               ;   in Loop: Header=BB57_5 Depth=2
	s_and_not1_saveexec_b32 s0, s45
	s_cbranch_execz .LBB57_9
; %bb.8:                                ;   in Loop: Header=BB57_5 Depth=2
	v_cvt_f32_u32_e32 v3, s38
	s_sub_co_i32 s2, 0, s38
	s_delay_alu instid0(VALU_DEP_1) | instskip(SKIP_1) | instid1(TRANS32_DEP_1)
	v_rcp_iflag_f32_e32 v3, v3
	v_nop
	v_mul_f32_e32 v3, 0x4f7ffffe, v3
	s_delay_alu instid0(VALU_DEP_1) | instskip(NEXT) | instid1(VALU_DEP_1)
	v_cvt_u32_f32_e32 v3, v3
	v_mul_lo_u32 v8, s2, v3
	s_delay_alu instid0(VALU_DEP_1) | instskip(NEXT) | instid1(VALU_DEP_1)
	v_mul_hi_u32 v8, v3, v8
	v_add_nc_u32_e32 v3, v3, v8
	s_delay_alu instid0(VALU_DEP_1) | instskip(NEXT) | instid1(VALU_DEP_1)
	v_mul_hi_u32 v3, v6, v3
	v_mul_lo_u32 v8, v3, s38
	s_delay_alu instid0(VALU_DEP_1) | instskip(NEXT) | instid1(VALU_DEP_1)
	v_dual_add_nc_u32 v9, 1, v3 :: v_dual_sub_nc_u32 v8, v6, v8
	v_subrev_nc_u32_e32 v10, s38, v8
	v_cmp_le_u32_e32 vcc_lo, s38, v8
	s_delay_alu instid0(VALU_DEP_2) | instskip(NEXT) | instid1(VALU_DEP_1)
	v_dual_cndmask_b32 v8, v8, v10 :: v_dual_cndmask_b32 v3, v3, v9
	v_cmp_le_u32_e32 vcc_lo, s38, v8
	s_delay_alu instid0(VALU_DEP_2) | instskip(NEXT) | instid1(VALU_DEP_1)
	v_add_nc_u32_e32 v9, 1, v3
	v_dual_cndmask_b32 v8, v3, v9 :: v_dual_mov_b32 v9, v2
.LBB57_9:                               ;   in Loop: Header=BB57_5 Depth=2
	s_or_b32 exec_lo, exec_lo, s0
	s_delay_alu instid0(VALU_DEP_1)
	v_mul_u64_e32 v[10:11], s[38:39], v[8:9]
	s_load_b64 s[38:39], s[36:37], 0xc8
	s_add_co_i32 s31, s31, -1
	s_wait_xcnt 0x0
	s_add_nc_u64 s[36:37], s[36:37], -8
	s_cmp_gt_u32 s31, 2
	s_delay_alu instid0(VALU_DEP_1) | instskip(SKIP_1) | instid1(VALU_DEP_1)
	v_sub_nc_u64_e32 v[6:7], v[6:7], v[10:11]
	s_wait_kmcnt 0x0
	v_mad_nc_u64_u32 v[4:5], s38, v6, v[4:5]
	s_delay_alu instid0(VALU_DEP_1) | instskip(NEXT) | instid1(VALU_DEP_1)
	v_mad_u32 v3, s39, v6, v5
	v_mad_u32 v5, s38, v7, v3
	s_cbranch_scc0 .LBB57_11
; %bb.10:                               ;   in Loop: Header=BB57_5 Depth=2
	v_mov_b64_e32 v[6:7], v[8:9]
	s_branch .LBB57_5
.LBB57_11:                              ;   in Loop: Header=BB57_4 Depth=1
	s_delay_alu instid0(VALU_DEP_1) | instskip(NEXT) | instid1(VALU_DEP_1)
	v_mul_u64_e32 v[6:7], s[20:21], v[8:9]
	v_lshl_add_u64 v[6:7], v[6:7], 1, s[22:23]
	s_delay_alu instid0(VALU_DEP_1) | instskip(SKIP_4) | instid1(VALU_DEP_1)
	v_lshl_add_u64 v[4:5], v[4:5], 1, v[6:7]
	global_load_u16 v3, v[4:5], off
	s_wait_loadcnt 0x0
	s_wait_xcnt 0x0
	v_bfe_i32 v4, v3, 0, 16
	v_ashrrev_i32_e32 v5, 31, v4
	s_delay_alu instid0(VALU_DEP_1) | instskip(SKIP_2) | instid1(SALU_CYCLE_1)
	v_cmp_le_i64_e32 vcc_lo, s[6:7], v[4:5]
	v_cmp_ge_i64_e64 s0, s[8:9], v[4:5]
	s_and_b32 s0, vcc_lo, s0
	s_and_saveexec_b32 s38, s0
	s_cbranch_execz .LBB57_3
; %bb.12:                               ;   in Loop: Header=BB57_4 Depth=1
	v_sub_nc_u64_e64 v[4:5], v[4:5], s[6:7]
                                        ; implicit-def: $vgpr6_vgpr7
	s_mov_b32 s0, exec_lo
	s_delay_alu instid0(VALU_DEP_1) | instskip(NEXT) | instid1(VALU_DEP_1)
	v_mul_u64_e32 v[4:5], s[4:5], v[4:5]
	v_or_b32_e32 v3, s25, v5
	s_delay_alu instid0(VALU_DEP_1)
	v_cmpx_ne_u64_e32 0, v[2:3]
	s_xor_b32 s39, exec_lo, s0
	s_cbranch_execz .LBB57_14
; %bb.13:                               ;   in Loop: Header=BB57_4 Depth=1
	s_mov_b32 s31, s30
	v_dual_mov_b32 v9, v2 :: v_dual_ashrrev_i32 v6, 31, v5
	s_add_nc_u64 s[36:37], s[24:25], s[30:31]
	s_delay_alu instid0(SALU_CYCLE_1) | instskip(NEXT) | instid1(VALU_DEP_1)
	s_xor_b64 s[36:37], s[36:37], s[30:31]
	v_mov_b32_e32 v7, v6
	s_cvt_f32_u32 s0, s36
	s_cvt_f32_u32 s2, s37
	s_sub_nc_u64 s[42:43], 0, s[36:37]
	s_delay_alu instid0(VALU_DEP_1) | instskip(NEXT) | instid1(SALU_CYCLE_1)
	v_add_nc_u64_e32 v[4:5], v[4:5], v[6:7]
	s_fmamk_f32 s0, s2, 0x4f800000, s0
	v_mov_b32_e32 v13, v2
	s_delay_alu instid0(SALU_CYCLE_2) | instskip(NEXT) | instid1(VALU_DEP_2)
	v_s_rcp_f32 s0, s0
	v_xor_b32_e32 v8, v4, v6
	s_delay_alu instid0(VALU_DEP_3) | instskip(NEXT) | instid1(TRANS32_DEP_1)
	v_dual_mov_b32 v17, v2 :: v_dual_bitop2_b32 v12, v5, v6 bitop3:0x14
	s_mul_f32 s0, s0, 0x5f7ffffc
	s_delay_alu instid0(SALU_CYCLE_3) | instskip(NEXT) | instid1(SALU_CYCLE_3)
	s_mul_f32 s2, s0, 0x2f800000
	s_trunc_f32 s2, s2
	s_delay_alu instid0(SALU_CYCLE_3) | instskip(SKIP_1) | instid1(SALU_CYCLE_2)
	s_fmamk_f32 s0, s2, 0xcf800000, s0
	s_cvt_u32_f32 s41, s2
	s_cvt_u32_f32 s40, s0
	s_delay_alu instid0(SALU_CYCLE_3) | instskip(NEXT) | instid1(SALU_CYCLE_1)
	s_mul_u64 s[46:47], s[42:43], s[40:41]
	s_mul_hi_u32 s49, s40, s47
	s_mul_i32 s48, s40, s47
	s_mul_hi_u32 s2, s40, s46
	s_mul_i32 s31, s41, s46
	s_add_nc_u64 s[48:49], s[2:3], s[48:49]
	s_mul_hi_u32 s0, s41, s46
	s_mul_hi_u32 s45, s41, s47
	s_add_co_u32 s2, s48, s31
	s_add_co_ci_u32 s2, s49, s0
	s_mul_i32 s46, s41, s47
	s_add_co_ci_u32 s47, s45, 0
	s_delay_alu instid0(SALU_CYCLE_1) | instskip(NEXT) | instid1(SALU_CYCLE_1)
	s_add_nc_u64 s[46:47], s[2:3], s[46:47]
	s_add_co_u32 s40, s40, s46
	s_cselect_b32 s0, -1, 0
	s_delay_alu instid0(SALU_CYCLE_1) | instskip(SKIP_1) | instid1(SALU_CYCLE_1)
	s_cmp_lg_u32 s0, 0
	s_add_co_ci_u32 s41, s41, s47
	s_mul_u64 s[42:43], s[42:43], s[40:41]
	s_delay_alu instid0(SALU_CYCLE_1)
	s_mul_hi_u32 s47, s40, s43
	s_mul_i32 s46, s40, s43
	s_mul_hi_u32 s2, s40, s42
	s_mul_i32 s31, s41, s42
	s_add_nc_u64 s[46:47], s[2:3], s[46:47]
	s_mul_hi_u32 s0, s41, s42
	s_mul_hi_u32 s45, s41, s43
	s_add_co_u32 s2, s46, s31
	s_add_co_ci_u32 s2, s47, s0
	s_mul_i32 s42, s41, s43
	s_add_co_ci_u32 s43, s45, 0
	s_delay_alu instid0(SALU_CYCLE_1) | instskip(NEXT) | instid1(SALU_CYCLE_1)
	s_add_nc_u64 s[42:43], s[2:3], s[42:43]
	s_add_co_u32 s0, s40, s42
	s_cselect_b32 s2, -1, 0
	v_mul_hi_u32 v16, v8, s0
	s_cmp_lg_u32 s2, 0
	s_add_co_ci_u32 s2, s41, s43
	s_and_b64 s[40:41], s[0:1], s[28:29]
	v_mul_u64_e32 v[10:11], s[2:3], v[8:9]
	v_mul_u64_e32 v[4:5], s[40:41], v[12:13]
	;; [unrolled: 1-line block ×3, first 2 shown]
	s_delay_alu instid0(VALU_DEP_3) | instskip(NEXT) | instid1(VALU_DEP_1)
	v_add_nc_u64_e32 v[10:11], v[16:17], v[10:11]
	v_add_co_u32 v3, vcc_lo, v10, v4
	s_delay_alu instid0(VALU_DEP_2) | instskip(NEXT) | instid1(VALU_DEP_4)
	v_add_co_ci_u32_e32 v16, vcc_lo, v11, v5, vcc_lo
	v_add_co_ci_u32_e32 v15, vcc_lo, 0, v15, vcc_lo
	s_delay_alu instid0(VALU_DEP_1) | instskip(NEXT) | instid1(VALU_DEP_1)
	v_add_nc_u64_e32 v[4:5], v[16:17], v[14:15]
	v_mul_u64_e32 v[10:11], s[36:37], v[4:5]
	s_delay_alu instid0(VALU_DEP_1) | instskip(NEXT) | instid1(VALU_DEP_2)
	v_sub_nc_u32_e32 v3, v12, v11
	v_sub_co_u32 v7, vcc_lo, v8, v10
	s_delay_alu instid0(VALU_DEP_1) | instskip(NEXT) | instid1(VALU_DEP_3)
	v_sub_co_ci_u32_e64 v12, null, v12, v11, vcc_lo
	v_subrev_co_ci_u32_e64 v3, null, s37, v3, vcc_lo
	s_delay_alu instid0(VALU_DEP_3) | instskip(SKIP_1) | instid1(VALU_DEP_3)
	v_sub_co_u32 v8, s0, v7, s36
	v_add_nc_u64_e32 v[10:11], 1, v[4:5]
	v_subrev_co_ci_u32_e64 v3, null, 0, v3, s0
	s_delay_alu instid0(VALU_DEP_3) | instskip(SKIP_1) | instid1(VALU_DEP_3)
	v_cmp_le_u32_e32 vcc_lo, s36, v8
	v_cndmask_b32_e64 v8, 0, -1, vcc_lo
	v_cmp_le_u32_e32 vcc_lo, s37, v3
	v_cndmask_b32_e64 v9, 0, -1, vcc_lo
	;; [unrolled: 2-line block ×4, first 2 shown]
	v_cmp_eq_u32_e32 vcc_lo, s37, v3
	v_cndmask_b32_e32 v3, v9, v8, vcc_lo
	v_cmp_eq_u32_e32 vcc_lo, s37, v12
	v_add_nc_u64_e32 v[8:9], 2, v[4:5]
	v_cndmask_b32_e32 v7, v13, v7, vcc_lo
	s_delay_alu instid0(VALU_DEP_4) | instskip(NEXT) | instid1(VALU_DEP_3)
	v_cmp_ne_u32_e32 vcc_lo, 0, v3
	v_cndmask_b32_e32 v3, v11, v9, vcc_lo
	s_delay_alu instid0(VALU_DEP_3) | instskip(SKIP_1) | instid1(VALU_DEP_2)
	v_cmp_ne_u32_e64 s0, 0, v7
	v_dual_cndmask_b32 v7, v10, v8, vcc_lo :: v_dual_bitop2_b32 v6, s30, v6 bitop3:0x14
	v_cndmask_b32_e64 v3, v5, v3, s0
	s_delay_alu instid0(VALU_DEP_2) | instskip(NEXT) | instid1(VALU_DEP_2)
	v_dual_cndmask_b32 v4, v4, v7, s0 :: v_dual_mov_b32 v7, v6
	v_xor_b32_e32 v5, v3, v6
	s_delay_alu instid0(VALU_DEP_2) | instskip(NEXT) | instid1(VALU_DEP_1)
	v_xor_b32_e32 v4, v4, v6
	v_sub_nc_u64_e32 v[6:7], v[4:5], v[6:7]
                                        ; implicit-def: $vgpr4_vgpr5
.LBB57_14:                              ;   in Loop: Header=BB57_4 Depth=1
	s_and_not1_saveexec_b32 s0, s39
	s_cbranch_execz .LBB57_2
; %bb.15:                               ;   in Loop: Header=BB57_4 Depth=1
	v_cvt_f32_u32_e32 v3, s24
	s_sub_co_i32 s2, 0, s24
	s_delay_alu instid0(VALU_DEP_1) | instskip(SKIP_1) | instid1(TRANS32_DEP_1)
	v_rcp_iflag_f32_e32 v3, v3
	v_nop
	v_mul_f32_e32 v3, 0x4f7ffffe, v3
	s_delay_alu instid0(VALU_DEP_1) | instskip(NEXT) | instid1(VALU_DEP_1)
	v_cvt_u32_f32_e32 v3, v3
	v_mul_lo_u32 v5, s2, v3
	s_delay_alu instid0(VALU_DEP_1) | instskip(NEXT) | instid1(VALU_DEP_1)
	v_mul_hi_u32 v5, v3, v5
	v_add_nc_u32_e32 v3, v3, v5
	s_delay_alu instid0(VALU_DEP_1) | instskip(NEXT) | instid1(VALU_DEP_1)
	v_mul_hi_u32 v3, v4, v3
	v_mul_lo_u32 v5, v3, s24
	s_delay_alu instid0(VALU_DEP_1) | instskip(NEXT) | instid1(VALU_DEP_1)
	v_dual_sub_nc_u32 v4, v4, v5 :: v_dual_add_nc_u32 v5, 1, v3
	v_subrev_nc_u32_e32 v6, s24, v4
	v_cmp_le_u32_e32 vcc_lo, s24, v4
	s_delay_alu instid0(VALU_DEP_2) | instskip(NEXT) | instid1(VALU_DEP_1)
	v_dual_cndmask_b32 v4, v4, v6 :: v_dual_cndmask_b32 v3, v3, v5
	v_cmp_le_u32_e32 vcc_lo, s24, v4
	s_delay_alu instid0(VALU_DEP_2) | instskip(NEXT) | instid1(VALU_DEP_1)
	v_add_nc_u32_e32 v5, 1, v3
	v_cndmask_b32_e32 v6, v3, v5, vcc_lo
	s_branch .LBB57_2
.LBB57_16:
	s_endpgm
	.section	.rodata,"a",@progbits
	.p2align	6, 0x0
	.amdhsa_kernel _ZN2at4cuda17kernelHistogram1DIdslLi1ELi2ELin1ELNS0_23CUDAHistogramMemoryTypeE1EZNS0_21CUDA_tensor_histogramIdsLb1EEEbNS_6TensorES4_S4_lNS_14AccumulateTypeIT0_Lb1EE4typeES8_NS0_13TensorArgTypeES9_S9_EUllE_EEvNS0_6detail10TensorInfoIT_T1_EESF_NSC_IKS6_SE_EElS8_S8_SE_T6_
		.amdhsa_group_segment_fixed_size 0
		.amdhsa_private_segment_fixed_size 0
		.amdhsa_kernarg_size 1952
		.amdhsa_user_sgpr_count 2
		.amdhsa_user_sgpr_dispatch_ptr 0
		.amdhsa_user_sgpr_queue_ptr 0
		.amdhsa_user_sgpr_kernarg_segment_ptr 1
		.amdhsa_user_sgpr_dispatch_id 0
		.amdhsa_user_sgpr_kernarg_preload_length 0
		.amdhsa_user_sgpr_kernarg_preload_offset 0
		.amdhsa_user_sgpr_private_segment_size 0
		.amdhsa_wavefront_size32 1
		.amdhsa_uses_dynamic_stack 0
		.amdhsa_enable_private_segment 0
		.amdhsa_system_sgpr_workgroup_id_x 1
		.amdhsa_system_sgpr_workgroup_id_y 0
		.amdhsa_system_sgpr_workgroup_id_z 0
		.amdhsa_system_sgpr_workgroup_info 0
		.amdhsa_system_vgpr_workitem_id 0
		.amdhsa_next_free_vgpr 22
		.amdhsa_next_free_sgpr 55
		.amdhsa_named_barrier_count 0
		.amdhsa_reserve_vcc 1
		.amdhsa_float_round_mode_32 0
		.amdhsa_float_round_mode_16_64 0
		.amdhsa_float_denorm_mode_32 3
		.amdhsa_float_denorm_mode_16_64 3
		.amdhsa_fp16_overflow 0
		.amdhsa_memory_ordered 1
		.amdhsa_forward_progress 1
		.amdhsa_inst_pref_size 17
		.amdhsa_round_robin_scheduling 0
		.amdhsa_exception_fp_ieee_invalid_op 0
		.amdhsa_exception_fp_denorm_src 0
		.amdhsa_exception_fp_ieee_div_zero 0
		.amdhsa_exception_fp_ieee_overflow 0
		.amdhsa_exception_fp_ieee_underflow 0
		.amdhsa_exception_fp_ieee_inexact 0
		.amdhsa_exception_int_div_zero 0
	.end_amdhsa_kernel
	.section	.text._ZN2at4cuda17kernelHistogram1DIdslLi1ELi2ELin1ELNS0_23CUDAHistogramMemoryTypeE1EZNS0_21CUDA_tensor_histogramIdsLb1EEEbNS_6TensorES4_S4_lNS_14AccumulateTypeIT0_Lb1EE4typeES8_NS0_13TensorArgTypeES9_S9_EUllE_EEvNS0_6detail10TensorInfoIT_T1_EESF_NSC_IKS6_SE_EElS8_S8_SE_T6_,"axG",@progbits,_ZN2at4cuda17kernelHistogram1DIdslLi1ELi2ELin1ELNS0_23CUDAHistogramMemoryTypeE1EZNS0_21CUDA_tensor_histogramIdsLb1EEEbNS_6TensorES4_S4_lNS_14AccumulateTypeIT0_Lb1EE4typeES8_NS0_13TensorArgTypeES9_S9_EUllE_EEvNS0_6detail10TensorInfoIT_T1_EESF_NSC_IKS6_SE_EElS8_S8_SE_T6_,comdat
.Lfunc_end57:
	.size	_ZN2at4cuda17kernelHistogram1DIdslLi1ELi2ELin1ELNS0_23CUDAHistogramMemoryTypeE1EZNS0_21CUDA_tensor_histogramIdsLb1EEEbNS_6TensorES4_S4_lNS_14AccumulateTypeIT0_Lb1EE4typeES8_NS0_13TensorArgTypeES9_S9_EUllE_EEvNS0_6detail10TensorInfoIT_T1_EESF_NSC_IKS6_SE_EElS8_S8_SE_T6_, .Lfunc_end57-_ZN2at4cuda17kernelHistogram1DIdslLi1ELi2ELin1ELNS0_23CUDAHistogramMemoryTypeE1EZNS0_21CUDA_tensor_histogramIdsLb1EEEbNS_6TensorES4_S4_lNS_14AccumulateTypeIT0_Lb1EE4typeES8_NS0_13TensorArgTypeES9_S9_EUllE_EEvNS0_6detail10TensorInfoIT_T1_EESF_NSC_IKS6_SE_EElS8_S8_SE_T6_
                                        ; -- End function
	.set _ZN2at4cuda17kernelHistogram1DIdslLi1ELi2ELin1ELNS0_23CUDAHistogramMemoryTypeE1EZNS0_21CUDA_tensor_histogramIdsLb1EEEbNS_6TensorES4_S4_lNS_14AccumulateTypeIT0_Lb1EE4typeES8_NS0_13TensorArgTypeES9_S9_EUllE_EEvNS0_6detail10TensorInfoIT_T1_EESF_NSC_IKS6_SE_EElS8_S8_SE_T6_.num_vgpr, 22
	.set _ZN2at4cuda17kernelHistogram1DIdslLi1ELi2ELin1ELNS0_23CUDAHistogramMemoryTypeE1EZNS0_21CUDA_tensor_histogramIdsLb1EEEbNS_6TensorES4_S4_lNS_14AccumulateTypeIT0_Lb1EE4typeES8_NS0_13TensorArgTypeES9_S9_EUllE_EEvNS0_6detail10TensorInfoIT_T1_EESF_NSC_IKS6_SE_EElS8_S8_SE_T6_.num_agpr, 0
	.set _ZN2at4cuda17kernelHistogram1DIdslLi1ELi2ELin1ELNS0_23CUDAHistogramMemoryTypeE1EZNS0_21CUDA_tensor_histogramIdsLb1EEEbNS_6TensorES4_S4_lNS_14AccumulateTypeIT0_Lb1EE4typeES8_NS0_13TensorArgTypeES9_S9_EUllE_EEvNS0_6detail10TensorInfoIT_T1_EESF_NSC_IKS6_SE_EElS8_S8_SE_T6_.numbered_sgpr, 55
	.set _ZN2at4cuda17kernelHistogram1DIdslLi1ELi2ELin1ELNS0_23CUDAHistogramMemoryTypeE1EZNS0_21CUDA_tensor_histogramIdsLb1EEEbNS_6TensorES4_S4_lNS_14AccumulateTypeIT0_Lb1EE4typeES8_NS0_13TensorArgTypeES9_S9_EUllE_EEvNS0_6detail10TensorInfoIT_T1_EESF_NSC_IKS6_SE_EElS8_S8_SE_T6_.num_named_barrier, 0
	.set _ZN2at4cuda17kernelHistogram1DIdslLi1ELi2ELin1ELNS0_23CUDAHistogramMemoryTypeE1EZNS0_21CUDA_tensor_histogramIdsLb1EEEbNS_6TensorES4_S4_lNS_14AccumulateTypeIT0_Lb1EE4typeES8_NS0_13TensorArgTypeES9_S9_EUllE_EEvNS0_6detail10TensorInfoIT_T1_EESF_NSC_IKS6_SE_EElS8_S8_SE_T6_.private_seg_size, 0
	.set _ZN2at4cuda17kernelHistogram1DIdslLi1ELi2ELin1ELNS0_23CUDAHistogramMemoryTypeE1EZNS0_21CUDA_tensor_histogramIdsLb1EEEbNS_6TensorES4_S4_lNS_14AccumulateTypeIT0_Lb1EE4typeES8_NS0_13TensorArgTypeES9_S9_EUllE_EEvNS0_6detail10TensorInfoIT_T1_EESF_NSC_IKS6_SE_EElS8_S8_SE_T6_.uses_vcc, 1
	.set _ZN2at4cuda17kernelHistogram1DIdslLi1ELi2ELin1ELNS0_23CUDAHistogramMemoryTypeE1EZNS0_21CUDA_tensor_histogramIdsLb1EEEbNS_6TensorES4_S4_lNS_14AccumulateTypeIT0_Lb1EE4typeES8_NS0_13TensorArgTypeES9_S9_EUllE_EEvNS0_6detail10TensorInfoIT_T1_EESF_NSC_IKS6_SE_EElS8_S8_SE_T6_.uses_flat_scratch, 0
	.set _ZN2at4cuda17kernelHistogram1DIdslLi1ELi2ELin1ELNS0_23CUDAHistogramMemoryTypeE1EZNS0_21CUDA_tensor_histogramIdsLb1EEEbNS_6TensorES4_S4_lNS_14AccumulateTypeIT0_Lb1EE4typeES8_NS0_13TensorArgTypeES9_S9_EUllE_EEvNS0_6detail10TensorInfoIT_T1_EESF_NSC_IKS6_SE_EElS8_S8_SE_T6_.has_dyn_sized_stack, 0
	.set _ZN2at4cuda17kernelHistogram1DIdslLi1ELi2ELin1ELNS0_23CUDAHistogramMemoryTypeE1EZNS0_21CUDA_tensor_histogramIdsLb1EEEbNS_6TensorES4_S4_lNS_14AccumulateTypeIT0_Lb1EE4typeES8_NS0_13TensorArgTypeES9_S9_EUllE_EEvNS0_6detail10TensorInfoIT_T1_EESF_NSC_IKS6_SE_EElS8_S8_SE_T6_.has_recursion, 0
	.set _ZN2at4cuda17kernelHistogram1DIdslLi1ELi2ELin1ELNS0_23CUDAHistogramMemoryTypeE1EZNS0_21CUDA_tensor_histogramIdsLb1EEEbNS_6TensorES4_S4_lNS_14AccumulateTypeIT0_Lb1EE4typeES8_NS0_13TensorArgTypeES9_S9_EUllE_EEvNS0_6detail10TensorInfoIT_T1_EESF_NSC_IKS6_SE_EElS8_S8_SE_T6_.has_indirect_call, 0
	.section	.AMDGPU.csdata,"",@progbits
; Kernel info:
; codeLenInByte = 2100
; TotalNumSgprs: 57
; NumVgprs: 22
; ScratchSize: 0
; MemoryBound: 0
; FloatMode: 240
; IeeeMode: 1
; LDSByteSize: 0 bytes/workgroup (compile time only)
; SGPRBlocks: 0
; VGPRBlocks: 1
; NumSGPRsForWavesPerEU: 57
; NumVGPRsForWavesPerEU: 22
; NamedBarCnt: 0
; Occupancy: 16
; WaveLimiterHint : 1
; COMPUTE_PGM_RSRC2:SCRATCH_EN: 0
; COMPUTE_PGM_RSRC2:USER_SGPR: 2
; COMPUTE_PGM_RSRC2:TRAP_HANDLER: 0
; COMPUTE_PGM_RSRC2:TGID_X_EN: 1
; COMPUTE_PGM_RSRC2:TGID_Y_EN: 0
; COMPUTE_PGM_RSRC2:TGID_Z_EN: 0
; COMPUTE_PGM_RSRC2:TIDIG_COMP_CNT: 0
	.section	.text._ZN2at4cuda17kernelHistogram1DIdslLi1ELi2ELin1ELNS0_23CUDAHistogramMemoryTypeE0EZNS0_21CUDA_tensor_histogramIdsLb1EEEbNS_6TensorES4_S4_lNS_14AccumulateTypeIT0_Lb1EE4typeES8_NS0_13TensorArgTypeES9_S9_EUllE0_EEvNS0_6detail10TensorInfoIT_T1_EESF_NSC_IKS6_SE_EElS8_S8_SE_T6_,"axG",@progbits,_ZN2at4cuda17kernelHistogram1DIdslLi1ELi2ELin1ELNS0_23CUDAHistogramMemoryTypeE0EZNS0_21CUDA_tensor_histogramIdsLb1EEEbNS_6TensorES4_S4_lNS_14AccumulateTypeIT0_Lb1EE4typeES8_NS0_13TensorArgTypeES9_S9_EUllE0_EEvNS0_6detail10TensorInfoIT_T1_EESF_NSC_IKS6_SE_EElS8_S8_SE_T6_,comdat
	.protected	_ZN2at4cuda17kernelHistogram1DIdslLi1ELi2ELin1ELNS0_23CUDAHistogramMemoryTypeE0EZNS0_21CUDA_tensor_histogramIdsLb1EEEbNS_6TensorES4_S4_lNS_14AccumulateTypeIT0_Lb1EE4typeES8_NS0_13TensorArgTypeES9_S9_EUllE0_EEvNS0_6detail10TensorInfoIT_T1_EESF_NSC_IKS6_SE_EElS8_S8_SE_T6_ ; -- Begin function _ZN2at4cuda17kernelHistogram1DIdslLi1ELi2ELin1ELNS0_23CUDAHistogramMemoryTypeE0EZNS0_21CUDA_tensor_histogramIdsLb1EEEbNS_6TensorES4_S4_lNS_14AccumulateTypeIT0_Lb1EE4typeES8_NS0_13TensorArgTypeES9_S9_EUllE0_EEvNS0_6detail10TensorInfoIT_T1_EESF_NSC_IKS6_SE_EElS8_S8_SE_T6_
	.globl	_ZN2at4cuda17kernelHistogram1DIdslLi1ELi2ELin1ELNS0_23CUDAHistogramMemoryTypeE0EZNS0_21CUDA_tensor_histogramIdsLb1EEEbNS_6TensorES4_S4_lNS_14AccumulateTypeIT0_Lb1EE4typeES8_NS0_13TensorArgTypeES9_S9_EUllE0_EEvNS0_6detail10TensorInfoIT_T1_EESF_NSC_IKS6_SE_EElS8_S8_SE_T6_
	.p2align	8
	.type	_ZN2at4cuda17kernelHistogram1DIdslLi1ELi2ELin1ELNS0_23CUDAHistogramMemoryTypeE0EZNS0_21CUDA_tensor_histogramIdsLb1EEEbNS_6TensorES4_S4_lNS_14AccumulateTypeIT0_Lb1EE4typeES8_NS0_13TensorArgTypeES9_S9_EUllE0_EEvNS0_6detail10TensorInfoIT_T1_EESF_NSC_IKS6_SE_EElS8_S8_SE_T6_,@function
_ZN2at4cuda17kernelHistogram1DIdslLi1ELi2ELin1ELNS0_23CUDAHistogramMemoryTypeE0EZNS0_21CUDA_tensor_histogramIdsLb1EEEbNS_6TensorES4_S4_lNS_14AccumulateTypeIT0_Lb1EE4typeES8_NS0_13TensorArgTypeES9_S9_EUllE0_EEvNS0_6detail10TensorInfoIT_T1_EESF_NSC_IKS6_SE_EElS8_S8_SE_T6_: ; @_ZN2at4cuda17kernelHistogram1DIdslLi1ELi2ELin1ELNS0_23CUDAHistogramMemoryTypeE0EZNS0_21CUDA_tensor_histogramIdsLb1EEEbNS_6TensorES4_S4_lNS_14AccumulateTypeIT0_Lb1EE4typeES8_NS0_13TensorArgTypeES9_S9_EUllE0_EEvNS0_6detail10TensorInfoIT_T1_EESF_NSC_IKS6_SE_EElS8_S8_SE_T6_
; %bb.0:
	s_load_b128 s[12:15], s[0:1], 0x0
	v_mov_b32_e32 v1, 0
	s_add_nc_u64 s[24:25], s[0:1], 0x508
	s_mov_b32 s3, exec_lo
                                        ; implicit-def: $sgpr4
                                        ; implicit-def: $sgpr5
	s_wait_kmcnt 0x0
	s_delay_alu instid0(VALU_DEP_1)
	v_cmp_gt_i64_e64 s2, s[14:15], v[0:1]
	v_cmpx_le_i64_e64 s[14:15], v[0:1]
	s_xor_b32 s3, exec_lo, s3
	s_cbranch_execz .LBB58_2
; %bb.1:
	s_load_b32 s4, s[24:25], 0xc
	s_wait_kmcnt 0x0
	s_and_b32 s5, s4, 0xffff
.LBB58_2:
	s_or_saveexec_b32 s3, s3
	v_dual_mov_b32 v18, s4 :: v_dual_mov_b32 v17, s5
	v_lshl_add_u32 v16, v0, 3, 0
	s_xor_b32 exec_lo, exec_lo, s3
	s_cbranch_execz .LBB58_6
; %bb.3:
	s_load_b32 s6, s[24:25], 0xc
	v_mov_b64_e32 v[2:3], 0
	v_mov_b64_e32 v[4:5], v[0:1]
	v_lshl_add_u32 v6, v0, 3, 0
	s_mov_b32 s5, 0
	s_delay_alu instid0(SALU_CYCLE_1) | instskip(SKIP_2) | instid1(SALU_CYCLE_1)
	s_mov_b32 s7, s5
	s_wait_kmcnt 0x0
	s_and_b32 s4, s6, 0xffff
	s_lshl_b32 s8, s4, 3
.LBB58_4:                               ; =>This Inner Loop Header: Depth=1
	v_add_nc_u64_e32 v[4:5], s[4:5], v[4:5]
	ds_store_b64 v6, v[2:3]
	v_add_nc_u32_e32 v6, s8, v6
	v_cmp_le_i64_e32 vcc_lo, s[14:15], v[4:5]
	s_or_b32 s7, vcc_lo, s7
	s_delay_alu instid0(SALU_CYCLE_1)
	s_and_not1_b32 exec_lo, exec_lo, s7
	s_cbranch_execnz .LBB58_4
; %bb.5:
	s_or_b32 exec_lo, exec_lo, s7
	v_dual_mov_b32 v18, s6 :: v_dual_mov_b32 v17, s4
.LBB58_6:
	s_or_b32 exec_lo, exec_lo, s3
	s_bfe_u32 s3, ttmp6, 0x4000c
	s_clause 0x1
	s_load_b64 s[16:17], s[0:1], 0xd0
	s_load_b256 s[4:11], s[0:1], 0x4e0
	s_add_co_i32 s3, s3, 1
	s_and_b32 s18, ttmp6, 15
	s_mul_i32 s3, ttmp9, s3
	s_getreg_b32 s19, hwreg(HW_REG_IB_STS2, 6, 4)
	s_add_co_i32 s18, s18, s3
	s_cmp_eq_u32 s19, 0
	v_mov_b32_e32 v4, 0
	s_cselect_b32 s3, ttmp9, s18
	s_mov_b32 s19, 0
	v_mad_u32 v2, s3, v17, v0
	s_mov_b32 s3, exec_lo
	v_mov_b32_e32 v3, v4
	s_wait_dscnt 0x0
	s_barrier_signal -1
	s_barrier_wait -1
	s_wait_kmcnt 0x0
	s_delay_alu instid0(VALU_DEP_2)
	v_cmpx_gt_i64_e64 s[10:11], v[2:3]
	s_cbranch_execz .LBB58_22
; %bb.7:
	s_load_b32 s33, s[0:1], 0x4d8
	s_load_b32 s18, s[24:25], 0x0
	s_clause 0x1
	s_load_b64 s[20:21], s[0:1], 0x410
	s_load_b64 s[22:23], s[0:1], 0x340
	s_add_nc_u64 s[28:29], s[0:1], 0x340
	v_mov_b64_e32 v[8:9], 1.0
	v_mov_b32_e32 v7, v4
	s_wait_xcnt 0x0
	s_sub_nc_u64 s[24:25], s[8:9], s[6:7]
	s_mov_b64 s[26:27], 0xffffffff
	s_mov_b32 s42, 0
	s_wait_kmcnt 0x0
	s_cmp_gt_i32 s33, 1
	v_mul_lo_u32 v6, s18, v17
	s_cselect_b32 s1, -1, 0
	s_add_co_i32 s18, s33, -1
	s_add_co_i32 s33, s33, 1
	s_lshl_b64 s[30:31], s[18:19], 3
	s_delay_alu instid0(SALU_CYCLE_1)
	s_add_nc_u64 s[28:29], s[28:29], s[30:31]
	s_ashr_i32 s30, s25, 31
	s_add_nc_u64 s[28:29], s[28:29], 8
	s_branch .LBB58_10
.LBB58_8:                               ;   in Loop: Header=BB58_10 Depth=1
	s_or_b32 exec_lo, exec_lo, s0
	s_delay_alu instid0(VALU_DEP_1) | instskip(NEXT) | instid1(VALU_DEP_1)
	v_ashrrev_i32_e32 v13, 31, v12
	v_cmp_eq_u64_e32 vcc_lo, s[4:5], v[12:13]
	v_subrev_co_ci_u32_e64 v5, null, 0, v12, vcc_lo
	s_delay_alu instid0(VALU_DEP_1)
	v_lshl_add_u32 v5, v5, 3, 0
	ds_add_f64 v5, v[8:9]
.LBB58_9:                               ;   in Loop: Header=BB58_10 Depth=1
	s_or_b32 exec_lo, exec_lo, s36
	v_add_nc_u64_e32 v[2:3], v[2:3], v[6:7]
	s_delay_alu instid0(VALU_DEP_1) | instskip(SKIP_1) | instid1(SALU_CYCLE_1)
	v_cmp_le_i64_e32 vcc_lo, s[10:11], v[2:3]
	s_or_b32 s42, vcc_lo, s42
	s_and_not1_b32 exec_lo, exec_lo, s42
	s_cbranch_execz .LBB58_22
.LBB58_10:                              ; =>This Loop Header: Depth=1
                                        ;     Child Loop BB58_11 Depth 2
	v_mov_b64_e32 v[10:11], 0
	v_mov_b64_e32 v[12:13], v[2:3]
	;; [unrolled: 1-line block ×3, first 2 shown]
	s_and_not1_b32 vcc_lo, exec_lo, s1
	s_mov_b64 s[34:35], s[28:29]
	s_mov_b32 s31, s33
	s_cbranch_vccnz .LBB58_17
.LBB58_11:                              ;   Parent Loop BB58_10 Depth=1
                                        ; =>  This Inner Loop Header: Depth=2
	s_load_b64 s[36:37], s[34:35], 0x0
                                        ; implicit-def: $vgpr14_vgpr15
	s_mov_b32 s0, exec_lo
	s_wait_kmcnt 0x0
	s_delay_alu instid0(VALU_DEP_1) | instskip(NEXT) | instid1(VALU_DEP_1)
	v_or_b32_e32 v5, s37, v13
	v_cmpx_ne_u64_e32 0, v[4:5]
	s_xor_b32 s43, exec_lo, s0
	s_cbranch_execz .LBB58_13
; %bb.12:                               ;   in Loop: Header=BB58_11 Depth=2
	s_ashr_i32 s38, s37, 31
	v_dual_mov_b32 v23, v4 :: v_dual_ashrrev_i32 v14, 31, v13
	s_mov_b32 s39, s38
	s_delay_alu instid0(SALU_CYCLE_1) | instskip(NEXT) | instid1(VALU_DEP_1)
	s_add_nc_u64 s[40:41], s[36:37], s[38:39]
	v_mov_b32_e32 v15, v14
	s_xor_b64 s[40:41], s[40:41], s[38:39]
	s_delay_alu instid0(SALU_CYCLE_1)
	s_cvt_f32_u32 s0, s40
	s_cvt_f32_u32 s18, s41
	s_sub_nc_u64 s[46:47], 0, s[40:41]
	v_add_nc_u64_e32 v[20:21], v[12:13], v[14:15]
	v_mov_b32_e32 v27, v4
	s_fmamk_f32 s0, s18, 0x4f800000, s0
	s_delay_alu instid0(SALU_CYCLE_3) | instskip(NEXT) | instid1(VALU_DEP_2)
	v_s_rcp_f32 s0, s0
	v_xor_b32_e32 v22, v20, v14
	s_delay_alu instid0(VALU_DEP_3) | instskip(SKIP_1) | instid1(TRANS32_DEP_1)
	v_dual_mov_b32 v31, v4 :: v_dual_bitop2_b32 v26, v21, v14 bitop3:0x14
	v_xor_b32_e32 v14, s38, v14
	s_mul_f32 s0, s0, 0x5f7ffffc
	s_delay_alu instid0(SALU_CYCLE_3) | instskip(NEXT) | instid1(SALU_CYCLE_3)
	s_mul_f32 s18, s0, 0x2f800000
	s_trunc_f32 s18, s18
	s_delay_alu instid0(SALU_CYCLE_3) | instskip(SKIP_1) | instid1(SALU_CYCLE_2)
	s_fmamk_f32 s0, s18, 0xcf800000, s0
	s_cvt_u32_f32 s45, s18
	s_cvt_u32_f32 s44, s0
	s_delay_alu instid0(SALU_CYCLE_3) | instskip(NEXT) | instid1(SALU_CYCLE_1)
	s_mul_u64 s[48:49], s[46:47], s[44:45]
	s_mul_hi_u32 s51, s44, s49
	s_mul_i32 s50, s44, s49
	s_mul_hi_u32 s18, s44, s48
	s_mul_i32 s39, s45, s48
	s_add_nc_u64 s[50:51], s[18:19], s[50:51]
	s_mul_hi_u32 s0, s45, s48
	s_mul_hi_u32 s52, s45, s49
	s_add_co_u32 s18, s50, s39
	s_add_co_ci_u32 s18, s51, s0
	s_mul_i32 s48, s45, s49
	s_add_co_ci_u32 s49, s52, 0
	s_delay_alu instid0(SALU_CYCLE_1) | instskip(NEXT) | instid1(SALU_CYCLE_1)
	s_add_nc_u64 s[48:49], s[18:19], s[48:49]
	s_add_co_u32 s44, s44, s48
	s_cselect_b32 s0, -1, 0
	s_delay_alu instid0(SALU_CYCLE_1) | instskip(SKIP_1) | instid1(SALU_CYCLE_1)
	s_cmp_lg_u32 s0, 0
	s_add_co_ci_u32 s45, s45, s49
	s_mul_u64 s[46:47], s[46:47], s[44:45]
	s_delay_alu instid0(SALU_CYCLE_1)
	s_mul_hi_u32 s49, s44, s47
	s_mul_i32 s48, s44, s47
	s_mul_hi_u32 s18, s44, s46
	s_mul_i32 s39, s45, s46
	s_add_nc_u64 s[48:49], s[18:19], s[48:49]
	s_mul_hi_u32 s0, s45, s46
	s_mul_hi_u32 s50, s45, s47
	s_add_co_u32 s18, s48, s39
	s_add_co_ci_u32 s18, s49, s0
	s_mul_i32 s46, s45, s47
	s_add_co_ci_u32 s47, s50, 0
	s_delay_alu instid0(SALU_CYCLE_1) | instskip(NEXT) | instid1(SALU_CYCLE_1)
	s_add_nc_u64 s[46:47], s[18:19], s[46:47]
	s_add_co_u32 s0, s44, s46
	s_cselect_b32 s18, -1, 0
	v_mul_hi_u32 v30, v22, s0
	s_cmp_lg_u32 s18, 0
	s_add_co_ci_u32 s18, s45, s47
	s_and_b64 s[44:45], s[0:1], s[26:27]
	v_mul_u64_e32 v[24:25], s[18:19], v[22:23]
	v_mul_u64_e32 v[20:21], s[44:45], v[26:27]
	;; [unrolled: 1-line block ×3, first 2 shown]
	s_delay_alu instid0(VALU_DEP_3) | instskip(NEXT) | instid1(VALU_DEP_1)
	v_add_nc_u64_e32 v[24:25], v[30:31], v[24:25]
	v_add_co_u32 v5, vcc_lo, v24, v20
	s_delay_alu instid0(VALU_DEP_2) | instskip(NEXT) | instid1(VALU_DEP_4)
	v_add_co_ci_u32_e32 v30, vcc_lo, v25, v21, vcc_lo
	v_add_co_ci_u32_e32 v29, vcc_lo, 0, v29, vcc_lo
	s_delay_alu instid0(VALU_DEP_1) | instskip(NEXT) | instid1(VALU_DEP_1)
	v_add_nc_u64_e32 v[20:21], v[30:31], v[28:29]
	v_mul_u64_e32 v[24:25], s[40:41], v[20:21]
	s_delay_alu instid0(VALU_DEP_1) | instskip(NEXT) | instid1(VALU_DEP_2)
	v_sub_nc_u32_e32 v5, v26, v25
	v_sub_co_u32 v15, vcc_lo, v22, v24
	s_delay_alu instid0(VALU_DEP_1) | instskip(NEXT) | instid1(VALU_DEP_3)
	v_sub_co_ci_u32_e64 v26, null, v26, v25, vcc_lo
	v_subrev_co_ci_u32_e64 v5, null, s41, v5, vcc_lo
	s_delay_alu instid0(VALU_DEP_3) | instskip(SKIP_1) | instid1(VALU_DEP_3)
	v_sub_co_u32 v19, s0, v15, s40
	v_add_nc_u64_e32 v[24:25], 1, v[20:21]
	v_subrev_co_ci_u32_e64 v5, null, 0, v5, s0
	s_delay_alu instid0(VALU_DEP_3) | instskip(SKIP_1) | instid1(VALU_DEP_3)
	v_cmp_le_u32_e32 vcc_lo, s40, v19
	v_cndmask_b32_e64 v19, 0, -1, vcc_lo
	v_cmp_le_u32_e32 vcc_lo, s41, v5
	v_cndmask_b32_e64 v22, 0, -1, vcc_lo
	;; [unrolled: 2-line block ×4, first 2 shown]
	v_cmp_eq_u32_e32 vcc_lo, s41, v5
	v_cndmask_b32_e32 v5, v22, v19, vcc_lo
	v_cmp_eq_u32_e32 vcc_lo, s41, v26
	v_add_nc_u64_e32 v[22:23], 2, v[20:21]
	v_cndmask_b32_e32 v15, v27, v15, vcc_lo
	s_delay_alu instid0(VALU_DEP_4) | instskip(NEXT) | instid1(VALU_DEP_2)
	v_cmp_ne_u32_e32 vcc_lo, 0, v5
	v_cmp_ne_u32_e64 s0, 0, v15
	s_delay_alu instid0(VALU_DEP_4) | instskip(NEXT) | instid1(VALU_DEP_1)
	v_dual_cndmask_b32 v5, v25, v23, vcc_lo :: v_dual_cndmask_b32 v15, v24, v22, vcc_lo
	v_dual_cndmask_b32 v19, v20, v15, s0 :: v_dual_mov_b32 v15, v14
	s_delay_alu instid0(VALU_DEP_1) | instskip(NEXT) | instid1(VALU_DEP_1)
	v_dual_cndmask_b32 v5, v21, v5, s0 :: v_dual_bitop2_b32 v20, v19, v14 bitop3:0x14
	v_xor_b32_e32 v21, v5, v14
	s_delay_alu instid0(VALU_DEP_1)
	v_sub_nc_u64_e32 v[14:15], v[20:21], v[14:15]
.LBB58_13:                              ;   in Loop: Header=BB58_11 Depth=2
	s_and_not1_saveexec_b32 s0, s43
	s_cbranch_execz .LBB58_15
; %bb.14:                               ;   in Loop: Header=BB58_11 Depth=2
	v_cvt_f32_u32_e32 v5, s36
	s_sub_co_i32 s18, 0, s36
	s_delay_alu instid0(VALU_DEP_1) | instskip(SKIP_1) | instid1(TRANS32_DEP_1)
	v_rcp_iflag_f32_e32 v5, v5
	v_nop
	v_mul_f32_e32 v5, 0x4f7ffffe, v5
	s_delay_alu instid0(VALU_DEP_1) | instskip(NEXT) | instid1(VALU_DEP_1)
	v_cvt_u32_f32_e32 v5, v5
	v_mul_lo_u32 v14, s18, v5
	s_delay_alu instid0(VALU_DEP_1) | instskip(NEXT) | instid1(VALU_DEP_1)
	v_mul_hi_u32 v14, v5, v14
	v_add_nc_u32_e32 v5, v5, v14
	s_delay_alu instid0(VALU_DEP_1) | instskip(NEXT) | instid1(VALU_DEP_1)
	v_mul_hi_u32 v5, v12, v5
	v_mul_lo_u32 v14, v5, s36
	s_delay_alu instid0(VALU_DEP_1) | instskip(NEXT) | instid1(VALU_DEP_1)
	v_dual_add_nc_u32 v15, 1, v5 :: v_dual_sub_nc_u32 v14, v12, v14
	v_subrev_nc_u32_e32 v19, s36, v14
	v_cmp_le_u32_e32 vcc_lo, s36, v14
	s_delay_alu instid0(VALU_DEP_2) | instskip(NEXT) | instid1(VALU_DEP_4)
	v_cndmask_b32_e32 v14, v14, v19, vcc_lo
	v_cndmask_b32_e32 v5, v5, v15, vcc_lo
	s_delay_alu instid0(VALU_DEP_2) | instskip(NEXT) | instid1(VALU_DEP_2)
	v_cmp_le_u32_e32 vcc_lo, s36, v14
	v_add_nc_u32_e32 v15, 1, v5
	s_delay_alu instid0(VALU_DEP_1)
	v_dual_cndmask_b32 v14, v5, v15 :: v_dual_mov_b32 v15, v4
.LBB58_15:                              ;   in Loop: Header=BB58_11 Depth=2
	s_or_b32 exec_lo, exec_lo, s0
	s_delay_alu instid0(VALU_DEP_1)
	v_mul_u64_e32 v[20:21], s[36:37], v[14:15]
	s_load_b64 s[36:37], s[34:35], 0xc8
	s_add_co_i32 s31, s31, -1
	s_wait_xcnt 0x0
	s_add_nc_u64 s[34:35], s[34:35], -8
	s_cmp_gt_u32 s31, 2
	s_delay_alu instid0(VALU_DEP_1) | instskip(SKIP_1) | instid1(VALU_DEP_1)
	v_sub_nc_u64_e32 v[12:13], v[12:13], v[20:21]
	s_wait_kmcnt 0x0
	v_mad_nc_u64_u32 v[10:11], s36, v12, v[10:11]
	s_delay_alu instid0(VALU_DEP_1) | instskip(NEXT) | instid1(VALU_DEP_1)
	v_mad_u32 v5, s37, v12, v11
	v_mad_u32 v11, s36, v13, v5
	s_cbranch_scc0 .LBB58_17
; %bb.16:                               ;   in Loop: Header=BB58_11 Depth=2
	v_mov_b64_e32 v[12:13], v[14:15]
	s_branch .LBB58_11
.LBB58_17:                              ;   in Loop: Header=BB58_10 Depth=1
	s_delay_alu instid0(VALU_DEP_1) | instskip(NEXT) | instid1(VALU_DEP_1)
	v_mul_u64_e32 v[12:13], s[20:21], v[14:15]
	v_lshl_add_u64 v[12:13], v[12:13], 1, s[22:23]
	s_delay_alu instid0(VALU_DEP_1) | instskip(SKIP_4) | instid1(VALU_DEP_1)
	v_lshl_add_u64 v[10:11], v[10:11], 1, v[12:13]
	global_load_u16 v5, v[10:11], off
	s_wait_loadcnt 0x0
	s_wait_xcnt 0x0
	v_bfe_i32 v10, v5, 0, 16
	v_ashrrev_i32_e32 v11, 31, v10
	s_delay_alu instid0(VALU_DEP_1) | instskip(SKIP_2) | instid1(SALU_CYCLE_1)
	v_cmp_le_i64_e32 vcc_lo, s[6:7], v[10:11]
	v_cmp_ge_i64_e64 s0, s[8:9], v[10:11]
	s_and_b32 s0, vcc_lo, s0
	s_and_saveexec_b32 s36, s0
	s_cbranch_execz .LBB58_9
; %bb.18:                               ;   in Loop: Header=BB58_10 Depth=1
	v_sub_nc_u64_e64 v[10:11], v[10:11], s[6:7]
                                        ; implicit-def: $vgpr12_vgpr13
	s_mov_b32 s0, exec_lo
	s_delay_alu instid0(VALU_DEP_1) | instskip(NEXT) | instid1(VALU_DEP_1)
	v_mul_u64_e32 v[10:11], s[4:5], v[10:11]
	v_or_b32_e32 v5, s25, v11
	s_delay_alu instid0(VALU_DEP_1)
	v_cmpx_ne_u64_e32 0, v[4:5]
	s_xor_b32 s37, exec_lo, s0
	s_cbranch_execz .LBB58_20
; %bb.19:                               ;   in Loop: Header=BB58_10 Depth=1
	s_mov_b32 s31, s30
	v_dual_mov_b32 v15, v4 :: v_dual_ashrrev_i32 v12, 31, v11
	s_add_nc_u64 s[34:35], s[24:25], s[30:31]
	s_delay_alu instid0(SALU_CYCLE_1) | instskip(NEXT) | instid1(VALU_DEP_1)
	s_xor_b64 s[34:35], s[34:35], s[30:31]
	v_mov_b32_e32 v13, v12
	s_cvt_f32_u32 s0, s34
	s_cvt_f32_u32 s18, s35
	s_sub_nc_u64 s[40:41], 0, s[34:35]
	s_delay_alu instid0(VALU_DEP_1) | instskip(NEXT) | instid1(SALU_CYCLE_1)
	v_add_nc_u64_e32 v[10:11], v[10:11], v[12:13]
	s_fmamk_f32 s0, s18, 0x4f800000, s0
	v_mov_b32_e32 v23, v4
	s_delay_alu instid0(SALU_CYCLE_2) | instskip(NEXT) | instid1(VALU_DEP_2)
	v_s_rcp_f32 s0, s0
	v_xor_b32_e32 v14, v10, v12
	s_delay_alu instid0(VALU_DEP_3) | instskip(NEXT) | instid1(TRANS32_DEP_1)
	v_dual_mov_b32 v27, v4 :: v_dual_bitop2_b32 v22, v11, v12 bitop3:0x14
	s_mul_f32 s0, s0, 0x5f7ffffc
	s_delay_alu instid0(SALU_CYCLE_3) | instskip(NEXT) | instid1(SALU_CYCLE_3)
	s_mul_f32 s18, s0, 0x2f800000
	s_trunc_f32 s18, s18
	s_delay_alu instid0(SALU_CYCLE_3) | instskip(SKIP_1) | instid1(SALU_CYCLE_2)
	s_fmamk_f32 s0, s18, 0xcf800000, s0
	s_cvt_u32_f32 s39, s18
	s_cvt_u32_f32 s38, s0
	s_delay_alu instid0(SALU_CYCLE_3) | instskip(NEXT) | instid1(SALU_CYCLE_1)
	s_mul_u64 s[44:45], s[40:41], s[38:39]
	s_mul_hi_u32 s47, s38, s45
	s_mul_i32 s46, s38, s45
	s_mul_hi_u32 s18, s38, s44
	s_mul_i32 s31, s39, s44
	s_add_nc_u64 s[46:47], s[18:19], s[46:47]
	s_mul_hi_u32 s0, s39, s44
	s_mul_hi_u32 s43, s39, s45
	s_add_co_u32 s18, s46, s31
	s_add_co_ci_u32 s18, s47, s0
	s_mul_i32 s44, s39, s45
	s_add_co_ci_u32 s45, s43, 0
	s_delay_alu instid0(SALU_CYCLE_1) | instskip(NEXT) | instid1(SALU_CYCLE_1)
	s_add_nc_u64 s[44:45], s[18:19], s[44:45]
	s_add_co_u32 s38, s38, s44
	s_cselect_b32 s0, -1, 0
	s_delay_alu instid0(SALU_CYCLE_1) | instskip(SKIP_1) | instid1(SALU_CYCLE_1)
	s_cmp_lg_u32 s0, 0
	s_add_co_ci_u32 s39, s39, s45
	s_mul_u64 s[40:41], s[40:41], s[38:39]
	s_delay_alu instid0(SALU_CYCLE_1)
	s_mul_hi_u32 s45, s38, s41
	s_mul_i32 s44, s38, s41
	s_mul_hi_u32 s18, s38, s40
	s_mul_i32 s31, s39, s40
	s_add_nc_u64 s[44:45], s[18:19], s[44:45]
	s_mul_hi_u32 s0, s39, s40
	s_mul_hi_u32 s43, s39, s41
	s_add_co_u32 s18, s44, s31
	s_add_co_ci_u32 s18, s45, s0
	s_mul_i32 s40, s39, s41
	s_add_co_ci_u32 s41, s43, 0
	s_delay_alu instid0(SALU_CYCLE_1) | instskip(NEXT) | instid1(SALU_CYCLE_1)
	s_add_nc_u64 s[40:41], s[18:19], s[40:41]
	s_add_co_u32 s0, s38, s40
	s_cselect_b32 s18, -1, 0
	v_mul_hi_u32 v26, v14, s0
	s_cmp_lg_u32 s18, 0
	s_add_co_ci_u32 s18, s39, s41
	s_and_b64 s[38:39], s[0:1], s[26:27]
	v_mul_u64_e32 v[20:21], s[18:19], v[14:15]
	v_mul_u64_e32 v[10:11], s[38:39], v[22:23]
	;; [unrolled: 1-line block ×3, first 2 shown]
	s_delay_alu instid0(VALU_DEP_3) | instskip(NEXT) | instid1(VALU_DEP_1)
	v_add_nc_u64_e32 v[20:21], v[26:27], v[20:21]
	v_add_co_u32 v5, vcc_lo, v20, v10
	s_delay_alu instid0(VALU_DEP_2) | instskip(NEXT) | instid1(VALU_DEP_4)
	v_add_co_ci_u32_e32 v26, vcc_lo, v21, v11, vcc_lo
	v_add_co_ci_u32_e32 v25, vcc_lo, 0, v25, vcc_lo
	s_delay_alu instid0(VALU_DEP_1) | instskip(NEXT) | instid1(VALU_DEP_1)
	v_add_nc_u64_e32 v[10:11], v[26:27], v[24:25]
	v_mul_u64_e32 v[20:21], s[34:35], v[10:11]
	s_delay_alu instid0(VALU_DEP_1) | instskip(NEXT) | instid1(VALU_DEP_2)
	v_sub_nc_u32_e32 v5, v22, v21
	v_sub_co_u32 v13, vcc_lo, v14, v20
	s_delay_alu instid0(VALU_DEP_1) | instskip(NEXT) | instid1(VALU_DEP_3)
	v_sub_co_ci_u32_e64 v19, null, v22, v21, vcc_lo
	v_subrev_co_ci_u32_e64 v5, null, s35, v5, vcc_lo
	s_delay_alu instid0(VALU_DEP_3) | instskip(SKIP_1) | instid1(VALU_DEP_3)
	v_sub_co_u32 v14, s0, v13, s34
	v_add_nc_u64_e32 v[20:21], 1, v[10:11]
	v_subrev_co_ci_u32_e64 v5, null, 0, v5, s0
	s_delay_alu instid0(VALU_DEP_3) | instskip(SKIP_1) | instid1(VALU_DEP_3)
	v_cmp_le_u32_e32 vcc_lo, s34, v14
	v_cndmask_b32_e64 v14, 0, -1, vcc_lo
	v_cmp_le_u32_e32 vcc_lo, s35, v5
	v_cndmask_b32_e64 v15, 0, -1, vcc_lo
	;; [unrolled: 2-line block ×4, first 2 shown]
	v_cmp_eq_u32_e32 vcc_lo, s35, v5
	v_cndmask_b32_e32 v5, v15, v14, vcc_lo
	v_cmp_eq_u32_e32 vcc_lo, s35, v19
	v_add_nc_u64_e32 v[14:15], 2, v[10:11]
	v_cndmask_b32_e32 v13, v22, v13, vcc_lo
	s_delay_alu instid0(VALU_DEP_4) | instskip(NEXT) | instid1(VALU_DEP_2)
	v_cmp_ne_u32_e32 vcc_lo, 0, v5
	v_cmp_ne_u32_e64 s0, 0, v13
	s_delay_alu instid0(VALU_DEP_4) | instskip(NEXT) | instid1(VALU_DEP_1)
	v_dual_cndmask_b32 v5, v21, v15, vcc_lo :: v_dual_cndmask_b32 v13, v20, v14, vcc_lo
	v_dual_cndmask_b32 v5, v11, v5, s0 :: v_dual_bitop2_b32 v12, s30, v12 bitop3:0x14
	s_delay_alu instid0(VALU_DEP_1) | instskip(NEXT) | instid1(VALU_DEP_2)
	v_dual_cndmask_b32 v10, v10, v13, s0 :: v_dual_mov_b32 v13, v12
	v_xor_b32_e32 v11, v5, v12
	s_delay_alu instid0(VALU_DEP_2) | instskip(NEXT) | instid1(VALU_DEP_1)
	v_xor_b32_e32 v10, v10, v12
	v_sub_nc_u64_e32 v[12:13], v[10:11], v[12:13]
                                        ; implicit-def: $vgpr10_vgpr11
.LBB58_20:                              ;   in Loop: Header=BB58_10 Depth=1
	s_and_not1_saveexec_b32 s0, s37
	s_cbranch_execz .LBB58_8
; %bb.21:                               ;   in Loop: Header=BB58_10 Depth=1
	v_cvt_f32_u32_e32 v5, s24
	s_sub_co_i32 s18, 0, s24
	s_delay_alu instid0(VALU_DEP_1) | instskip(SKIP_1) | instid1(TRANS32_DEP_1)
	v_rcp_iflag_f32_e32 v5, v5
	v_nop
	v_mul_f32_e32 v5, 0x4f7ffffe, v5
	s_delay_alu instid0(VALU_DEP_1) | instskip(NEXT) | instid1(VALU_DEP_1)
	v_cvt_u32_f32_e32 v5, v5
	v_mul_lo_u32 v11, s18, v5
	s_delay_alu instid0(VALU_DEP_1) | instskip(NEXT) | instid1(VALU_DEP_1)
	v_mul_hi_u32 v11, v5, v11
	v_add_nc_u32_e32 v5, v5, v11
	s_delay_alu instid0(VALU_DEP_1) | instskip(NEXT) | instid1(VALU_DEP_1)
	v_mul_hi_u32 v5, v10, v5
	v_mul_lo_u32 v11, v5, s24
	s_delay_alu instid0(VALU_DEP_1) | instskip(NEXT) | instid1(VALU_DEP_1)
	v_dual_sub_nc_u32 v10, v10, v11 :: v_dual_add_nc_u32 v11, 1, v5
	v_subrev_nc_u32_e32 v12, s24, v10
	v_cmp_le_u32_e32 vcc_lo, s24, v10
	s_delay_alu instid0(VALU_DEP_2) | instskip(NEXT) | instid1(VALU_DEP_1)
	v_dual_cndmask_b32 v10, v10, v12 :: v_dual_cndmask_b32 v5, v5, v11
	v_cmp_le_u32_e32 vcc_lo, s24, v10
	s_delay_alu instid0(VALU_DEP_2) | instskip(NEXT) | instid1(VALU_DEP_1)
	v_add_nc_u32_e32 v11, 1, v5
	v_cndmask_b32_e32 v12, v5, v11, vcc_lo
	s_branch .LBB58_8
.LBB58_22:
	s_or_b32 exec_lo, exec_lo, s3
; %bb.23:
	s_wait_dscnt 0x0
	s_barrier_signal -1
	s_barrier_wait -1
	s_and_saveexec_b32 s0, s2
	s_cbranch_execz .LBB58_26
; %bb.24:
	s_mov_b32 s0, 0
	v_and_b32_e32 v2, 0xffff, v18
	v_dual_mov_b32 v3, s0 :: v_dual_lshlrev_b32 v8, 3, v17
	v_mul_u64_e32 v[6:7], s[16:17], v[0:1]
	s_delay_alu instid0(VALU_DEP_2) | instskip(NEXT) | instid1(VALU_DEP_2)
	v_mul_u64_e32 v[4:5], s[16:17], v[2:3]
	v_lshl_add_u64 v[6:7], v[6:7], 3, s[12:13]
	s_delay_alu instid0(VALU_DEP_2)
	v_lshlrev_b64_e32 v[4:5], 3, v[4:5]
.LBB58_25:                              ; =>This Inner Loop Header: Depth=1
	ds_load_b64 v[10:11], v16
	v_add_nc_u64_e32 v[0:1], v[0:1], v[2:3]
	v_add_nc_u32_e32 v16, v16, v8
	s_delay_alu instid0(VALU_DEP_2)
	v_cmp_le_i64_e32 vcc_lo, s[14:15], v[0:1]
	s_or_b32 s0, vcc_lo, s0
	s_wait_dscnt 0x0
	global_atomic_add_f64 v[6:7], v[10:11], off scope:SCOPE_DEV
	s_wait_xcnt 0x0
	v_add_nc_u64_e32 v[6:7], v[6:7], v[4:5]
	s_and_not1_b32 exec_lo, exec_lo, s0
	s_cbranch_execnz .LBB58_25
.LBB58_26:
	s_endpgm
	.section	.rodata,"a",@progbits
	.p2align	6, 0x0
	.amdhsa_kernel _ZN2at4cuda17kernelHistogram1DIdslLi1ELi2ELin1ELNS0_23CUDAHistogramMemoryTypeE0EZNS0_21CUDA_tensor_histogramIdsLb1EEEbNS_6TensorES4_S4_lNS_14AccumulateTypeIT0_Lb1EE4typeES8_NS0_13TensorArgTypeES9_S9_EUllE0_EEvNS0_6detail10TensorInfoIT_T1_EESF_NSC_IKS6_SE_EElS8_S8_SE_T6_
		.amdhsa_group_segment_fixed_size 0
		.amdhsa_private_segment_fixed_size 0
		.amdhsa_kernarg_size 1544
		.amdhsa_user_sgpr_count 2
		.amdhsa_user_sgpr_dispatch_ptr 0
		.amdhsa_user_sgpr_queue_ptr 0
		.amdhsa_user_sgpr_kernarg_segment_ptr 1
		.amdhsa_user_sgpr_dispatch_id 0
		.amdhsa_user_sgpr_kernarg_preload_length 0
		.amdhsa_user_sgpr_kernarg_preload_offset 0
		.amdhsa_user_sgpr_private_segment_size 0
		.amdhsa_wavefront_size32 1
		.amdhsa_uses_dynamic_stack 0
		.amdhsa_enable_private_segment 0
		.amdhsa_system_sgpr_workgroup_id_x 1
		.amdhsa_system_sgpr_workgroup_id_y 0
		.amdhsa_system_sgpr_workgroup_id_z 0
		.amdhsa_system_sgpr_workgroup_info 0
		.amdhsa_system_vgpr_workitem_id 0
		.amdhsa_next_free_vgpr 32
		.amdhsa_next_free_sgpr 53
		.amdhsa_named_barrier_count 0
		.amdhsa_reserve_vcc 1
		.amdhsa_float_round_mode_32 0
		.amdhsa_float_round_mode_16_64 0
		.amdhsa_float_denorm_mode_32 3
		.amdhsa_float_denorm_mode_16_64 3
		.amdhsa_fp16_overflow 0
		.amdhsa_memory_ordered 1
		.amdhsa_forward_progress 1
		.amdhsa_inst_pref_size 19
		.amdhsa_round_robin_scheduling 0
		.amdhsa_exception_fp_ieee_invalid_op 0
		.amdhsa_exception_fp_denorm_src 0
		.amdhsa_exception_fp_ieee_div_zero 0
		.amdhsa_exception_fp_ieee_overflow 0
		.amdhsa_exception_fp_ieee_underflow 0
		.amdhsa_exception_fp_ieee_inexact 0
		.amdhsa_exception_int_div_zero 0
	.end_amdhsa_kernel
	.section	.text._ZN2at4cuda17kernelHistogram1DIdslLi1ELi2ELin1ELNS0_23CUDAHistogramMemoryTypeE0EZNS0_21CUDA_tensor_histogramIdsLb1EEEbNS_6TensorES4_S4_lNS_14AccumulateTypeIT0_Lb1EE4typeES8_NS0_13TensorArgTypeES9_S9_EUllE0_EEvNS0_6detail10TensorInfoIT_T1_EESF_NSC_IKS6_SE_EElS8_S8_SE_T6_,"axG",@progbits,_ZN2at4cuda17kernelHistogram1DIdslLi1ELi2ELin1ELNS0_23CUDAHistogramMemoryTypeE0EZNS0_21CUDA_tensor_histogramIdsLb1EEEbNS_6TensorES4_S4_lNS_14AccumulateTypeIT0_Lb1EE4typeES8_NS0_13TensorArgTypeES9_S9_EUllE0_EEvNS0_6detail10TensorInfoIT_T1_EESF_NSC_IKS6_SE_EElS8_S8_SE_T6_,comdat
.Lfunc_end58:
	.size	_ZN2at4cuda17kernelHistogram1DIdslLi1ELi2ELin1ELNS0_23CUDAHistogramMemoryTypeE0EZNS0_21CUDA_tensor_histogramIdsLb1EEEbNS_6TensorES4_S4_lNS_14AccumulateTypeIT0_Lb1EE4typeES8_NS0_13TensorArgTypeES9_S9_EUllE0_EEvNS0_6detail10TensorInfoIT_T1_EESF_NSC_IKS6_SE_EElS8_S8_SE_T6_, .Lfunc_end58-_ZN2at4cuda17kernelHistogram1DIdslLi1ELi2ELin1ELNS0_23CUDAHistogramMemoryTypeE0EZNS0_21CUDA_tensor_histogramIdsLb1EEEbNS_6TensorES4_S4_lNS_14AccumulateTypeIT0_Lb1EE4typeES8_NS0_13TensorArgTypeES9_S9_EUllE0_EEvNS0_6detail10TensorInfoIT_T1_EESF_NSC_IKS6_SE_EElS8_S8_SE_T6_
                                        ; -- End function
	.set _ZN2at4cuda17kernelHistogram1DIdslLi1ELi2ELin1ELNS0_23CUDAHistogramMemoryTypeE0EZNS0_21CUDA_tensor_histogramIdsLb1EEEbNS_6TensorES4_S4_lNS_14AccumulateTypeIT0_Lb1EE4typeES8_NS0_13TensorArgTypeES9_S9_EUllE0_EEvNS0_6detail10TensorInfoIT_T1_EESF_NSC_IKS6_SE_EElS8_S8_SE_T6_.num_vgpr, 32
	.set _ZN2at4cuda17kernelHistogram1DIdslLi1ELi2ELin1ELNS0_23CUDAHistogramMemoryTypeE0EZNS0_21CUDA_tensor_histogramIdsLb1EEEbNS_6TensorES4_S4_lNS_14AccumulateTypeIT0_Lb1EE4typeES8_NS0_13TensorArgTypeES9_S9_EUllE0_EEvNS0_6detail10TensorInfoIT_T1_EESF_NSC_IKS6_SE_EElS8_S8_SE_T6_.num_agpr, 0
	.set _ZN2at4cuda17kernelHistogram1DIdslLi1ELi2ELin1ELNS0_23CUDAHistogramMemoryTypeE0EZNS0_21CUDA_tensor_histogramIdsLb1EEEbNS_6TensorES4_S4_lNS_14AccumulateTypeIT0_Lb1EE4typeES8_NS0_13TensorArgTypeES9_S9_EUllE0_EEvNS0_6detail10TensorInfoIT_T1_EESF_NSC_IKS6_SE_EElS8_S8_SE_T6_.numbered_sgpr, 53
	.set _ZN2at4cuda17kernelHistogram1DIdslLi1ELi2ELin1ELNS0_23CUDAHistogramMemoryTypeE0EZNS0_21CUDA_tensor_histogramIdsLb1EEEbNS_6TensorES4_S4_lNS_14AccumulateTypeIT0_Lb1EE4typeES8_NS0_13TensorArgTypeES9_S9_EUllE0_EEvNS0_6detail10TensorInfoIT_T1_EESF_NSC_IKS6_SE_EElS8_S8_SE_T6_.num_named_barrier, 0
	.set _ZN2at4cuda17kernelHistogram1DIdslLi1ELi2ELin1ELNS0_23CUDAHistogramMemoryTypeE0EZNS0_21CUDA_tensor_histogramIdsLb1EEEbNS_6TensorES4_S4_lNS_14AccumulateTypeIT0_Lb1EE4typeES8_NS0_13TensorArgTypeES9_S9_EUllE0_EEvNS0_6detail10TensorInfoIT_T1_EESF_NSC_IKS6_SE_EElS8_S8_SE_T6_.private_seg_size, 0
	.set _ZN2at4cuda17kernelHistogram1DIdslLi1ELi2ELin1ELNS0_23CUDAHistogramMemoryTypeE0EZNS0_21CUDA_tensor_histogramIdsLb1EEEbNS_6TensorES4_S4_lNS_14AccumulateTypeIT0_Lb1EE4typeES8_NS0_13TensorArgTypeES9_S9_EUllE0_EEvNS0_6detail10TensorInfoIT_T1_EESF_NSC_IKS6_SE_EElS8_S8_SE_T6_.uses_vcc, 1
	.set _ZN2at4cuda17kernelHistogram1DIdslLi1ELi2ELin1ELNS0_23CUDAHistogramMemoryTypeE0EZNS0_21CUDA_tensor_histogramIdsLb1EEEbNS_6TensorES4_S4_lNS_14AccumulateTypeIT0_Lb1EE4typeES8_NS0_13TensorArgTypeES9_S9_EUllE0_EEvNS0_6detail10TensorInfoIT_T1_EESF_NSC_IKS6_SE_EElS8_S8_SE_T6_.uses_flat_scratch, 0
	.set _ZN2at4cuda17kernelHistogram1DIdslLi1ELi2ELin1ELNS0_23CUDAHistogramMemoryTypeE0EZNS0_21CUDA_tensor_histogramIdsLb1EEEbNS_6TensorES4_S4_lNS_14AccumulateTypeIT0_Lb1EE4typeES8_NS0_13TensorArgTypeES9_S9_EUllE0_EEvNS0_6detail10TensorInfoIT_T1_EESF_NSC_IKS6_SE_EElS8_S8_SE_T6_.has_dyn_sized_stack, 0
	.set _ZN2at4cuda17kernelHistogram1DIdslLi1ELi2ELin1ELNS0_23CUDAHistogramMemoryTypeE0EZNS0_21CUDA_tensor_histogramIdsLb1EEEbNS_6TensorES4_S4_lNS_14AccumulateTypeIT0_Lb1EE4typeES8_NS0_13TensorArgTypeES9_S9_EUllE0_EEvNS0_6detail10TensorInfoIT_T1_EESF_NSC_IKS6_SE_EElS8_S8_SE_T6_.has_recursion, 0
	.set _ZN2at4cuda17kernelHistogram1DIdslLi1ELi2ELin1ELNS0_23CUDAHistogramMemoryTypeE0EZNS0_21CUDA_tensor_histogramIdsLb1EEEbNS_6TensorES4_S4_lNS_14AccumulateTypeIT0_Lb1EE4typeES8_NS0_13TensorArgTypeES9_S9_EUllE0_EEvNS0_6detail10TensorInfoIT_T1_EESF_NSC_IKS6_SE_EElS8_S8_SE_T6_.has_indirect_call, 0
	.section	.AMDGPU.csdata,"",@progbits
; Kernel info:
; codeLenInByte = 2356
; TotalNumSgprs: 55
; NumVgprs: 32
; ScratchSize: 0
; MemoryBound: 0
; FloatMode: 240
; IeeeMode: 1
; LDSByteSize: 0 bytes/workgroup (compile time only)
; SGPRBlocks: 0
; VGPRBlocks: 1
; NumSGPRsForWavesPerEU: 55
; NumVGPRsForWavesPerEU: 32
; NamedBarCnt: 0
; Occupancy: 16
; WaveLimiterHint : 1
; COMPUTE_PGM_RSRC2:SCRATCH_EN: 0
; COMPUTE_PGM_RSRC2:USER_SGPR: 2
; COMPUTE_PGM_RSRC2:TRAP_HANDLER: 0
; COMPUTE_PGM_RSRC2:TGID_X_EN: 1
; COMPUTE_PGM_RSRC2:TGID_Y_EN: 0
; COMPUTE_PGM_RSRC2:TGID_Z_EN: 0
; COMPUTE_PGM_RSRC2:TIDIG_COMP_CNT: 0
	.section	.text._ZN2at4cuda17kernelHistogram1DIdslLi1ELi2ELin1ELNS0_23CUDAHistogramMemoryTypeE1EZNS0_21CUDA_tensor_histogramIdsLb1EEEbNS_6TensorES4_S4_lNS_14AccumulateTypeIT0_Lb1EE4typeES8_NS0_13TensorArgTypeES9_S9_EUllE0_EEvNS0_6detail10TensorInfoIT_T1_EESF_NSC_IKS6_SE_EElS8_S8_SE_T6_,"axG",@progbits,_ZN2at4cuda17kernelHistogram1DIdslLi1ELi2ELin1ELNS0_23CUDAHistogramMemoryTypeE1EZNS0_21CUDA_tensor_histogramIdsLb1EEEbNS_6TensorES4_S4_lNS_14AccumulateTypeIT0_Lb1EE4typeES8_NS0_13TensorArgTypeES9_S9_EUllE0_EEvNS0_6detail10TensorInfoIT_T1_EESF_NSC_IKS6_SE_EElS8_S8_SE_T6_,comdat
	.protected	_ZN2at4cuda17kernelHistogram1DIdslLi1ELi2ELin1ELNS0_23CUDAHistogramMemoryTypeE1EZNS0_21CUDA_tensor_histogramIdsLb1EEEbNS_6TensorES4_S4_lNS_14AccumulateTypeIT0_Lb1EE4typeES8_NS0_13TensorArgTypeES9_S9_EUllE0_EEvNS0_6detail10TensorInfoIT_T1_EESF_NSC_IKS6_SE_EElS8_S8_SE_T6_ ; -- Begin function _ZN2at4cuda17kernelHistogram1DIdslLi1ELi2ELin1ELNS0_23CUDAHistogramMemoryTypeE1EZNS0_21CUDA_tensor_histogramIdsLb1EEEbNS_6TensorES4_S4_lNS_14AccumulateTypeIT0_Lb1EE4typeES8_NS0_13TensorArgTypeES9_S9_EUllE0_EEvNS0_6detail10TensorInfoIT_T1_EESF_NSC_IKS6_SE_EElS8_S8_SE_T6_
	.globl	_ZN2at4cuda17kernelHistogram1DIdslLi1ELi2ELin1ELNS0_23CUDAHistogramMemoryTypeE1EZNS0_21CUDA_tensor_histogramIdsLb1EEEbNS_6TensorES4_S4_lNS_14AccumulateTypeIT0_Lb1EE4typeES8_NS0_13TensorArgTypeES9_S9_EUllE0_EEvNS0_6detail10TensorInfoIT_T1_EESF_NSC_IKS6_SE_EElS8_S8_SE_T6_
	.p2align	8
	.type	_ZN2at4cuda17kernelHistogram1DIdslLi1ELi2ELin1ELNS0_23CUDAHistogramMemoryTypeE1EZNS0_21CUDA_tensor_histogramIdsLb1EEEbNS_6TensorES4_S4_lNS_14AccumulateTypeIT0_Lb1EE4typeES8_NS0_13TensorArgTypeES9_S9_EUllE0_EEvNS0_6detail10TensorInfoIT_T1_EESF_NSC_IKS6_SE_EElS8_S8_SE_T6_,@function
_ZN2at4cuda17kernelHistogram1DIdslLi1ELi2ELin1ELNS0_23CUDAHistogramMemoryTypeE1EZNS0_21CUDA_tensor_histogramIdsLb1EEEbNS_6TensorES4_S4_lNS_14AccumulateTypeIT0_Lb1EE4typeES8_NS0_13TensorArgTypeES9_S9_EUllE0_EEvNS0_6detail10TensorInfoIT_T1_EESF_NSC_IKS6_SE_EElS8_S8_SE_T6_: ; @_ZN2at4cuda17kernelHistogram1DIdslLi1ELi2ELin1ELNS0_23CUDAHistogramMemoryTypeE1EZNS0_21CUDA_tensor_histogramIdsLb1EEEbNS_6TensorES4_S4_lNS_14AccumulateTypeIT0_Lb1EE4typeES8_NS0_13TensorArgTypeES9_S9_EUllE0_EEvNS0_6detail10TensorInfoIT_T1_EESF_NSC_IKS6_SE_EElS8_S8_SE_T6_
; %bb.0:
	s_load_b32 s2, s[0:1], 0x514
	s_bfe_u32 s12, ttmp6, 0x4000c
	s_load_b256 s[4:11], s[0:1], 0x4e0
	s_add_co_i32 s12, s12, 1
	s_and_b32 s3, ttmp6, 15
	s_mul_i32 s12, ttmp9, s12
	s_getreg_b32 s13, hwreg(HW_REG_IB_STS2, 6, 4)
	s_add_co_i32 s3, s3, s12
	v_mov_b32_e32 v2, 0
	s_mov_b32 s12, exec_lo
	s_delay_alu instid0(VALU_DEP_1) | instskip(SKIP_4) | instid1(SALU_CYCLE_1)
	v_mov_b32_e32 v1, v2
	s_wait_kmcnt 0x0
	s_and_b32 s2, s2, 0xffff
	s_cmp_eq_u32 s13, 0
	s_cselect_b32 s3, ttmp9, s3
	v_mad_u32 v0, s3, s2, v0
	s_mov_b32 s3, 0
	s_delay_alu instid0(VALU_DEP_1)
	v_cmpx_gt_i64_e64 s[10:11], v[0:1]
	s_cbranch_execz .LBB59_16
; %bb.1:
	s_load_b32 s28, s[0:1], 0x4d8
	s_add_nc_u64 s[20:21], s[0:1], 0x508
	s_load_b32 s22, s[20:21], 0x0
	s_clause 0x3
	s_load_b64 s[12:13], s[0:1], 0x0
	s_load_b64 s[14:15], s[0:1], 0xd0
	;; [unrolled: 1-line block ×4, first 2 shown]
	s_add_nc_u64 s[26:27], s[0:1], 0x340
	v_mov_b64_e32 v[4:5], 1.0
	s_wait_xcnt 0x0
	s_sub_nc_u64 s[20:21], s[8:9], s[6:7]
	s_mov_b32 s23, s3
	s_mov_b64 s[24:25], 0xffffffff
	s_mov_b32 s40, 0
	s_wait_kmcnt 0x0
	s_mul_i32 s22, s22, s2
	s_cmp_gt_i32 s28, 1
	s_cselect_b32 s1, -1, 0
	s_add_co_i32 s2, s28, -1
	s_add_co_i32 s33, s28, 1
	s_lshl_b64 s[28:29], s[2:3], 3
	s_delay_alu instid0(SALU_CYCLE_1)
	s_add_nc_u64 s[28:29], s[26:27], s[28:29]
	s_ashr_i32 s26, s21, 31
	s_add_nc_u64 s[28:29], s[28:29], 8
	s_branch .LBB59_4
.LBB59_2:                               ;   in Loop: Header=BB59_4 Depth=1
	s_or_b32 exec_lo, exec_lo, s0
	s_delay_alu instid0(VALU_DEP_1) | instskip(NEXT) | instid1(VALU_DEP_1)
	v_dual_ashrrev_i32 v9, 31, v8 :: v_dual_mov_b32 v7, s3
	v_cmp_eq_u64_e32 vcc_lo, s[4:5], v[8:9]
	v_cndmask_b32_e64 v6, 0, 1, vcc_lo
	s_delay_alu instid0(VALU_DEP_1) | instskip(NEXT) | instid1(VALU_DEP_1)
	v_sub_nc_u64_e32 v[6:7], v[8:9], v[6:7]
	v_mul_u64_e32 v[6:7], s[14:15], v[6:7]
	s_delay_alu instid0(VALU_DEP_1)
	v_lshl_add_u64 v[6:7], v[6:7], 3, s[12:13]
	global_atomic_add_f64 v[6:7], v[4:5], off scope:SCOPE_DEV
.LBB59_3:                               ;   in Loop: Header=BB59_4 Depth=1
	s_wait_xcnt 0x0
	s_or_b32 exec_lo, exec_lo, s34
	v_add_nc_u64_e32 v[0:1], s[22:23], v[0:1]
	s_delay_alu instid0(VALU_DEP_1) | instskip(SKIP_1) | instid1(SALU_CYCLE_1)
	v_cmp_le_i64_e32 vcc_lo, s[10:11], v[0:1]
	s_or_b32 s40, vcc_lo, s40
	s_and_not1_b32 exec_lo, exec_lo, s40
	s_cbranch_execz .LBB59_16
.LBB59_4:                               ; =>This Loop Header: Depth=1
                                        ;     Child Loop BB59_5 Depth 2
	v_mov_b64_e32 v[6:7], 0
	v_mov_b64_e32 v[8:9], v[0:1]
	;; [unrolled: 1-line block ×3, first 2 shown]
	s_and_not1_b32 vcc_lo, exec_lo, s1
	s_mov_b64 s[30:31], s[28:29]
	s_mov_b32 s27, s33
	s_cbranch_vccnz .LBB59_11
.LBB59_5:                               ;   Parent Loop BB59_4 Depth=1
                                        ; =>  This Inner Loop Header: Depth=2
	s_load_b64 s[34:35], s[30:31], 0x0
                                        ; implicit-def: $vgpr10_vgpr11
	s_mov_b32 s0, exec_lo
	s_wait_kmcnt 0x0
	s_delay_alu instid0(VALU_DEP_1) | instskip(NEXT) | instid1(VALU_DEP_1)
	v_or_b32_e32 v3, s35, v9
	v_cmpx_ne_u64_e32 0, v[2:3]
	s_xor_b32 s41, exec_lo, s0
	s_cbranch_execz .LBB59_7
; %bb.6:                                ;   in Loop: Header=BB59_5 Depth=2
	s_ashr_i32 s36, s35, 31
	v_dual_mov_b32 v15, v2 :: v_dual_ashrrev_i32 v10, 31, v9
	s_mov_b32 s37, s36
	v_mov_b32_e32 v23, v2
	s_add_nc_u64 s[38:39], s[34:35], s[36:37]
	s_delay_alu instid0(VALU_DEP_2) | instskip(SKIP_1) | instid1(SALU_CYCLE_1)
	v_mov_b32_e32 v11, v10
	s_xor_b64 s[38:39], s[38:39], s[36:37]
	s_cvt_f32_u32 s0, s38
	s_cvt_f32_u32 s2, s39
	s_sub_nc_u64 s[44:45], 0, s[38:39]
	v_add_nc_u64_e32 v[12:13], v[8:9], v[10:11]
	v_mov_b32_e32 v19, v2
	s_fmamk_f32 s0, s2, 0x4f800000, s0
	s_delay_alu instid0(SALU_CYCLE_3) | instskip(NEXT) | instid1(VALU_DEP_2)
	v_s_rcp_f32 s0, s0
	v_xor_b32_e32 v14, v12, v10
	s_delay_alu instid0(VALU_DEP_3) | instskip(NEXT) | instid1(TRANS32_DEP_1)
	v_xor_b32_e32 v18, v13, v10
	s_mul_f32 s0, s0, 0x5f7ffffc
	s_delay_alu instid0(SALU_CYCLE_3) | instskip(NEXT) | instid1(SALU_CYCLE_3)
	s_mul_f32 s2, s0, 0x2f800000
	s_trunc_f32 s2, s2
	s_delay_alu instid0(SALU_CYCLE_3) | instskip(SKIP_1) | instid1(SALU_CYCLE_2)
	s_fmamk_f32 s0, s2, 0xcf800000, s0
	s_cvt_u32_f32 s43, s2
	s_cvt_u32_f32 s42, s0
	s_delay_alu instid0(SALU_CYCLE_3) | instskip(NEXT) | instid1(SALU_CYCLE_1)
	s_mul_u64 s[46:47], s[44:45], s[42:43]
	s_mul_hi_u32 s49, s42, s47
	s_mul_i32 s48, s42, s47
	s_mul_hi_u32 s2, s42, s46
	s_mul_i32 s37, s43, s46
	s_add_nc_u64 s[48:49], s[2:3], s[48:49]
	s_mul_hi_u32 s0, s43, s46
	s_mul_hi_u32 s50, s43, s47
	s_add_co_u32 s2, s48, s37
	s_add_co_ci_u32 s2, s49, s0
	s_mul_i32 s46, s43, s47
	s_add_co_ci_u32 s47, s50, 0
	s_delay_alu instid0(SALU_CYCLE_1) | instskip(NEXT) | instid1(SALU_CYCLE_1)
	s_add_nc_u64 s[46:47], s[2:3], s[46:47]
	s_add_co_u32 s42, s42, s46
	s_cselect_b32 s0, -1, 0
	s_delay_alu instid0(SALU_CYCLE_1) | instskip(SKIP_1) | instid1(SALU_CYCLE_1)
	s_cmp_lg_u32 s0, 0
	s_add_co_ci_u32 s43, s43, s47
	s_mul_u64 s[44:45], s[44:45], s[42:43]
	s_delay_alu instid0(SALU_CYCLE_1)
	s_mul_hi_u32 s47, s42, s45
	s_mul_i32 s46, s42, s45
	s_mul_hi_u32 s2, s42, s44
	s_mul_i32 s37, s43, s44
	s_add_nc_u64 s[46:47], s[2:3], s[46:47]
	s_mul_hi_u32 s0, s43, s44
	s_mul_hi_u32 s48, s43, s45
	s_add_co_u32 s2, s46, s37
	s_add_co_ci_u32 s2, s47, s0
	s_mul_i32 s44, s43, s45
	s_add_co_ci_u32 s45, s48, 0
	s_delay_alu instid0(SALU_CYCLE_1) | instskip(NEXT) | instid1(SALU_CYCLE_1)
	s_add_nc_u64 s[44:45], s[2:3], s[44:45]
	s_add_co_u32 s0, s42, s44
	s_cselect_b32 s2, -1, 0
	v_mul_hi_u32 v22, v14, s0
	s_cmp_lg_u32 s2, 0
	s_add_co_ci_u32 s2, s43, s45
	s_and_b64 s[42:43], s[0:1], s[24:25]
	v_mul_u64_e32 v[16:17], s[2:3], v[14:15]
	v_mul_u64_e32 v[12:13], s[42:43], v[18:19]
	;; [unrolled: 1-line block ×3, first 2 shown]
	s_delay_alu instid0(VALU_DEP_3) | instskip(NEXT) | instid1(VALU_DEP_1)
	v_add_nc_u64_e32 v[16:17], v[22:23], v[16:17]
	v_add_co_u32 v3, vcc_lo, v16, v12
	s_delay_alu instid0(VALU_DEP_2) | instskip(NEXT) | instid1(VALU_DEP_4)
	v_add_co_ci_u32_e32 v22, vcc_lo, v17, v13, vcc_lo
	v_add_co_ci_u32_e32 v21, vcc_lo, 0, v21, vcc_lo
	s_delay_alu instid0(VALU_DEP_1) | instskip(NEXT) | instid1(VALU_DEP_1)
	v_add_nc_u64_e32 v[12:13], v[22:23], v[20:21]
	v_mul_u64_e32 v[16:17], s[38:39], v[12:13]
	s_delay_alu instid0(VALU_DEP_1) | instskip(NEXT) | instid1(VALU_DEP_2)
	v_sub_nc_u32_e32 v3, v18, v17
	v_sub_co_u32 v11, vcc_lo, v14, v16
	s_delay_alu instid0(VALU_DEP_1) | instskip(NEXT) | instid1(VALU_DEP_3)
	v_sub_co_ci_u32_e64 v18, null, v18, v17, vcc_lo
	v_subrev_co_ci_u32_e64 v3, null, s39, v3, vcc_lo
	s_delay_alu instid0(VALU_DEP_3) | instskip(SKIP_1) | instid1(VALU_DEP_3)
	v_sub_co_u32 v14, s0, v11, s38
	v_add_nc_u64_e32 v[16:17], 1, v[12:13]
	v_subrev_co_ci_u32_e64 v3, null, 0, v3, s0
	s_delay_alu instid0(VALU_DEP_3) | instskip(SKIP_1) | instid1(VALU_DEP_3)
	v_cmp_le_u32_e32 vcc_lo, s38, v14
	v_cndmask_b32_e64 v14, 0, -1, vcc_lo
	v_cmp_le_u32_e32 vcc_lo, s39, v3
	v_cndmask_b32_e64 v15, 0, -1, vcc_lo
	v_cmp_le_u32_e32 vcc_lo, s38, v11
	v_cndmask_b32_e64 v11, 0, -1, vcc_lo
	v_cmp_le_u32_e32 vcc_lo, s39, v18
	v_cndmask_b32_e64 v19, 0, -1, vcc_lo
	v_cmp_eq_u32_e32 vcc_lo, s39, v3
	v_cndmask_b32_e32 v3, v15, v14, vcc_lo
	v_cmp_eq_u32_e32 vcc_lo, s39, v18
	v_add_nc_u64_e32 v[14:15], 2, v[12:13]
	v_cndmask_b32_e32 v11, v19, v11, vcc_lo
	s_delay_alu instid0(VALU_DEP_4) | instskip(NEXT) | instid1(VALU_DEP_2)
	v_cmp_ne_u32_e32 vcc_lo, 0, v3
	v_cmp_ne_u32_e64 s0, 0, v11
	s_delay_alu instid0(VALU_DEP_4) | instskip(NEXT) | instid1(VALU_DEP_1)
	v_dual_cndmask_b32 v3, v17, v15, vcc_lo :: v_dual_cndmask_b32 v11, v16, v14, vcc_lo
	v_dual_cndmask_b32 v3, v13, v3, s0 :: v_dual_bitop2_b32 v10, s36, v10 bitop3:0x14
	s_delay_alu instid0(VALU_DEP_1) | instskip(NEXT) | instid1(VALU_DEP_2)
	v_dual_cndmask_b32 v12, v12, v11, s0 :: v_dual_mov_b32 v11, v10
	v_xor_b32_e32 v13, v3, v10
	s_delay_alu instid0(VALU_DEP_2) | instskip(NEXT) | instid1(VALU_DEP_1)
	v_xor_b32_e32 v12, v12, v10
	v_sub_nc_u64_e32 v[10:11], v[12:13], v[10:11]
.LBB59_7:                               ;   in Loop: Header=BB59_5 Depth=2
	s_and_not1_saveexec_b32 s0, s41
	s_cbranch_execz .LBB59_9
; %bb.8:                                ;   in Loop: Header=BB59_5 Depth=2
	v_cvt_f32_u32_e32 v3, s34
	s_sub_co_i32 s2, 0, s34
	s_delay_alu instid0(VALU_DEP_1) | instskip(SKIP_1) | instid1(TRANS32_DEP_1)
	v_rcp_iflag_f32_e32 v3, v3
	v_nop
	v_mul_f32_e32 v3, 0x4f7ffffe, v3
	s_delay_alu instid0(VALU_DEP_1) | instskip(NEXT) | instid1(VALU_DEP_1)
	v_cvt_u32_f32_e32 v3, v3
	v_mul_lo_u32 v10, s2, v3
	s_delay_alu instid0(VALU_DEP_1) | instskip(NEXT) | instid1(VALU_DEP_1)
	v_mul_hi_u32 v10, v3, v10
	v_add_nc_u32_e32 v3, v3, v10
	s_delay_alu instid0(VALU_DEP_1) | instskip(NEXT) | instid1(VALU_DEP_1)
	v_mul_hi_u32 v3, v8, v3
	v_mul_lo_u32 v10, v3, s34
	s_delay_alu instid0(VALU_DEP_1) | instskip(NEXT) | instid1(VALU_DEP_1)
	v_dual_add_nc_u32 v11, 1, v3 :: v_dual_sub_nc_u32 v10, v8, v10
	v_subrev_nc_u32_e32 v12, s34, v10
	v_cmp_le_u32_e32 vcc_lo, s34, v10
	s_delay_alu instid0(VALU_DEP_2) | instskip(NEXT) | instid1(VALU_DEP_1)
	v_dual_cndmask_b32 v10, v10, v12 :: v_dual_cndmask_b32 v3, v3, v11
	v_cmp_le_u32_e32 vcc_lo, s34, v10
	s_delay_alu instid0(VALU_DEP_2) | instskip(NEXT) | instid1(VALU_DEP_1)
	v_add_nc_u32_e32 v11, 1, v3
	v_dual_cndmask_b32 v10, v3, v11 :: v_dual_mov_b32 v11, v2
.LBB59_9:                               ;   in Loop: Header=BB59_5 Depth=2
	s_or_b32 exec_lo, exec_lo, s0
	s_delay_alu instid0(VALU_DEP_1)
	v_mul_u64_e32 v[12:13], s[34:35], v[10:11]
	s_load_b64 s[34:35], s[30:31], 0xc8
	s_add_co_i32 s27, s27, -1
	s_wait_xcnt 0x0
	s_add_nc_u64 s[30:31], s[30:31], -8
	s_cmp_gt_u32 s27, 2
	s_delay_alu instid0(VALU_DEP_1) | instskip(SKIP_1) | instid1(VALU_DEP_1)
	v_sub_nc_u64_e32 v[8:9], v[8:9], v[12:13]
	s_wait_kmcnt 0x0
	v_mad_nc_u64_u32 v[6:7], s34, v8, v[6:7]
	s_delay_alu instid0(VALU_DEP_1) | instskip(NEXT) | instid1(VALU_DEP_1)
	v_mad_u32 v3, s35, v8, v7
	v_mad_u32 v7, s34, v9, v3
	s_cbranch_scc0 .LBB59_11
; %bb.10:                               ;   in Loop: Header=BB59_5 Depth=2
	v_mov_b64_e32 v[8:9], v[10:11]
	s_branch .LBB59_5
.LBB59_11:                              ;   in Loop: Header=BB59_4 Depth=1
	s_delay_alu instid0(VALU_DEP_1) | instskip(NEXT) | instid1(VALU_DEP_1)
	v_mul_u64_e32 v[8:9], s[16:17], v[10:11]
	v_lshl_add_u64 v[8:9], v[8:9], 1, s[18:19]
	s_delay_alu instid0(VALU_DEP_1) | instskip(SKIP_4) | instid1(VALU_DEP_1)
	v_lshl_add_u64 v[6:7], v[6:7], 1, v[8:9]
	global_load_u16 v3, v[6:7], off
	s_wait_loadcnt 0x0
	s_wait_xcnt 0x0
	v_bfe_i32 v6, v3, 0, 16
	v_ashrrev_i32_e32 v7, 31, v6
	s_delay_alu instid0(VALU_DEP_1) | instskip(SKIP_2) | instid1(SALU_CYCLE_1)
	v_cmp_le_i64_e32 vcc_lo, s[6:7], v[6:7]
	v_cmp_ge_i64_e64 s0, s[8:9], v[6:7]
	s_and_b32 s0, vcc_lo, s0
	s_and_saveexec_b32 s34, s0
	s_cbranch_execz .LBB59_3
; %bb.12:                               ;   in Loop: Header=BB59_4 Depth=1
	v_sub_nc_u64_e64 v[6:7], v[6:7], s[6:7]
                                        ; implicit-def: $vgpr8_vgpr9
	s_mov_b32 s0, exec_lo
	s_delay_alu instid0(VALU_DEP_1) | instskip(NEXT) | instid1(VALU_DEP_1)
	v_mul_u64_e32 v[6:7], s[4:5], v[6:7]
	v_or_b32_e32 v3, s21, v7
	s_delay_alu instid0(VALU_DEP_1)
	v_cmpx_ne_u64_e32 0, v[2:3]
	s_xor_b32 s35, exec_lo, s0
	s_cbranch_execz .LBB59_14
; %bb.13:                               ;   in Loop: Header=BB59_4 Depth=1
	s_mov_b32 s27, s26
	v_dual_mov_b32 v11, v2 :: v_dual_ashrrev_i32 v8, 31, v7
	s_add_nc_u64 s[30:31], s[20:21], s[26:27]
	v_mov_b32_e32 v19, v2
	s_xor_b64 s[30:31], s[30:31], s[26:27]
	s_delay_alu instid0(VALU_DEP_2) | instskip(SKIP_3) | instid1(VALU_DEP_1)
	v_mov_b32_e32 v9, v8
	s_cvt_f32_u32 s0, s30
	s_cvt_f32_u32 s2, s31
	s_sub_nc_u64 s[38:39], 0, s[30:31]
	v_add_nc_u64_e32 v[6:7], v[6:7], v[8:9]
	s_delay_alu instid0(SALU_CYCLE_1) | instskip(SKIP_1) | instid1(SALU_CYCLE_2)
	s_fmamk_f32 s0, s2, 0x4f800000, s0
	v_mov_b32_e32 v15, v2
	v_s_rcp_f32 s0, s0
	s_delay_alu instid0(VALU_DEP_2) | instskip(NEXT) | instid1(VALU_DEP_3)
	v_xor_b32_e32 v10, v6, v8
	v_xor_b32_e32 v14, v7, v8
	s_delay_alu instid0(TRANS32_DEP_1) | instskip(NEXT) | instid1(SALU_CYCLE_3)
	s_mul_f32 s0, s0, 0x5f7ffffc
	s_mul_f32 s2, s0, 0x2f800000
	s_delay_alu instid0(SALU_CYCLE_3) | instskip(NEXT) | instid1(SALU_CYCLE_3)
	s_trunc_f32 s2, s2
	s_fmamk_f32 s0, s2, 0xcf800000, s0
	s_cvt_u32_f32 s37, s2
	s_delay_alu instid0(SALU_CYCLE_2) | instskip(NEXT) | instid1(SALU_CYCLE_3)
	s_cvt_u32_f32 s36, s0
	s_mul_u64 s[42:43], s[38:39], s[36:37]
	s_delay_alu instid0(SALU_CYCLE_1)
	s_mul_hi_u32 s45, s36, s43
	s_mul_i32 s44, s36, s43
	s_mul_hi_u32 s2, s36, s42
	s_mul_i32 s27, s37, s42
	s_add_nc_u64 s[44:45], s[2:3], s[44:45]
	s_mul_hi_u32 s0, s37, s42
	s_mul_hi_u32 s41, s37, s43
	s_add_co_u32 s2, s44, s27
	s_add_co_ci_u32 s2, s45, s0
	s_mul_i32 s42, s37, s43
	s_add_co_ci_u32 s43, s41, 0
	s_delay_alu instid0(SALU_CYCLE_1) | instskip(NEXT) | instid1(SALU_CYCLE_1)
	s_add_nc_u64 s[42:43], s[2:3], s[42:43]
	s_add_co_u32 s36, s36, s42
	s_cselect_b32 s0, -1, 0
	s_delay_alu instid0(SALU_CYCLE_1) | instskip(SKIP_1) | instid1(SALU_CYCLE_1)
	s_cmp_lg_u32 s0, 0
	s_add_co_ci_u32 s37, s37, s43
	s_mul_u64 s[38:39], s[38:39], s[36:37]
	s_delay_alu instid0(SALU_CYCLE_1)
	s_mul_hi_u32 s43, s36, s39
	s_mul_i32 s42, s36, s39
	s_mul_hi_u32 s2, s36, s38
	s_mul_i32 s27, s37, s38
	s_add_nc_u64 s[42:43], s[2:3], s[42:43]
	s_mul_hi_u32 s0, s37, s38
	s_mul_hi_u32 s41, s37, s39
	s_add_co_u32 s2, s42, s27
	s_add_co_ci_u32 s2, s43, s0
	s_mul_i32 s38, s37, s39
	s_add_co_ci_u32 s39, s41, 0
	s_delay_alu instid0(SALU_CYCLE_1) | instskip(NEXT) | instid1(SALU_CYCLE_1)
	s_add_nc_u64 s[38:39], s[2:3], s[38:39]
	s_add_co_u32 s0, s36, s38
	s_cselect_b32 s2, -1, 0
	v_mul_hi_u32 v18, v10, s0
	s_cmp_lg_u32 s2, 0
	s_add_co_ci_u32 s2, s37, s39
	s_and_b64 s[36:37], s[0:1], s[24:25]
	v_mul_u64_e32 v[12:13], s[2:3], v[10:11]
	v_mul_u64_e32 v[6:7], s[36:37], v[14:15]
	;; [unrolled: 1-line block ×3, first 2 shown]
	s_delay_alu instid0(VALU_DEP_3) | instskip(NEXT) | instid1(VALU_DEP_1)
	v_add_nc_u64_e32 v[12:13], v[18:19], v[12:13]
	v_add_co_u32 v3, vcc_lo, v12, v6
	s_delay_alu instid0(VALU_DEP_2) | instskip(NEXT) | instid1(VALU_DEP_4)
	v_add_co_ci_u32_e32 v18, vcc_lo, v13, v7, vcc_lo
	v_add_co_ci_u32_e32 v17, vcc_lo, 0, v17, vcc_lo
	s_delay_alu instid0(VALU_DEP_1) | instskip(NEXT) | instid1(VALU_DEP_1)
	v_add_nc_u64_e32 v[6:7], v[18:19], v[16:17]
	v_mul_u64_e32 v[12:13], s[30:31], v[6:7]
	s_delay_alu instid0(VALU_DEP_1) | instskip(NEXT) | instid1(VALU_DEP_2)
	v_sub_nc_u32_e32 v3, v14, v13
	v_sub_co_u32 v9, vcc_lo, v10, v12
	s_delay_alu instid0(VALU_DEP_1) | instskip(NEXT) | instid1(VALU_DEP_3)
	v_sub_co_ci_u32_e64 v14, null, v14, v13, vcc_lo
	v_subrev_co_ci_u32_e64 v3, null, s31, v3, vcc_lo
	s_delay_alu instid0(VALU_DEP_3) | instskip(SKIP_1) | instid1(VALU_DEP_3)
	v_sub_co_u32 v10, s0, v9, s30
	v_add_nc_u64_e32 v[12:13], 1, v[6:7]
	v_subrev_co_ci_u32_e64 v3, null, 0, v3, s0
	s_delay_alu instid0(VALU_DEP_3) | instskip(SKIP_1) | instid1(VALU_DEP_3)
	v_cmp_le_u32_e32 vcc_lo, s30, v10
	v_cndmask_b32_e64 v10, 0, -1, vcc_lo
	v_cmp_le_u32_e32 vcc_lo, s31, v3
	v_cndmask_b32_e64 v11, 0, -1, vcc_lo
	;; [unrolled: 2-line block ×4, first 2 shown]
	v_cmp_eq_u32_e32 vcc_lo, s31, v3
	v_cndmask_b32_e32 v3, v11, v10, vcc_lo
	v_cmp_eq_u32_e32 vcc_lo, s31, v14
	v_add_nc_u64_e32 v[10:11], 2, v[6:7]
	v_cndmask_b32_e32 v9, v15, v9, vcc_lo
	s_delay_alu instid0(VALU_DEP_4) | instskip(NEXT) | instid1(VALU_DEP_3)
	v_cmp_ne_u32_e32 vcc_lo, 0, v3
	v_cndmask_b32_e32 v3, v13, v11, vcc_lo
	s_delay_alu instid0(VALU_DEP_3) | instskip(SKIP_1) | instid1(VALU_DEP_1)
	v_cmp_ne_u32_e64 s0, 0, v9
	v_dual_cndmask_b32 v9, v12, v10, vcc_lo :: v_dual_bitop2_b32 v8, s26, v8 bitop3:0x14
	v_dual_cndmask_b32 v3, v7, v3, s0 :: v_dual_cndmask_b32 v6, v6, v9, s0
	s_delay_alu instid0(VALU_DEP_1) | instskip(NEXT) | instid1(VALU_DEP_2)
	v_dual_mov_b32 v9, v8 :: v_dual_bitop2_b32 v7, v3, v8 bitop3:0x14
	v_xor_b32_e32 v6, v6, v8
	s_delay_alu instid0(VALU_DEP_1)
	v_sub_nc_u64_e32 v[8:9], v[6:7], v[8:9]
                                        ; implicit-def: $vgpr6_vgpr7
.LBB59_14:                              ;   in Loop: Header=BB59_4 Depth=1
	s_and_not1_saveexec_b32 s0, s35
	s_cbranch_execz .LBB59_2
; %bb.15:                               ;   in Loop: Header=BB59_4 Depth=1
	v_cvt_f32_u32_e32 v3, s20
	s_sub_co_i32 s2, 0, s20
	s_delay_alu instid0(VALU_DEP_1) | instskip(SKIP_1) | instid1(TRANS32_DEP_1)
	v_rcp_iflag_f32_e32 v3, v3
	v_nop
	v_mul_f32_e32 v3, 0x4f7ffffe, v3
	s_delay_alu instid0(VALU_DEP_1) | instskip(NEXT) | instid1(VALU_DEP_1)
	v_cvt_u32_f32_e32 v3, v3
	v_mul_lo_u32 v7, s2, v3
	s_delay_alu instid0(VALU_DEP_1) | instskip(NEXT) | instid1(VALU_DEP_1)
	v_mul_hi_u32 v7, v3, v7
	v_add_nc_u32_e32 v3, v3, v7
	s_delay_alu instid0(VALU_DEP_1) | instskip(NEXT) | instid1(VALU_DEP_1)
	v_mul_hi_u32 v3, v6, v3
	v_mul_lo_u32 v7, v3, s20
	s_delay_alu instid0(VALU_DEP_1) | instskip(SKIP_1) | instid1(VALU_DEP_2)
	v_sub_nc_u32_e32 v6, v6, v7
	v_add_nc_u32_e32 v7, 1, v3
	v_subrev_nc_u32_e32 v8, s20, v6
	v_cmp_le_u32_e32 vcc_lo, s20, v6
	s_delay_alu instid0(VALU_DEP_2) | instskip(NEXT) | instid1(VALU_DEP_1)
	v_dual_cndmask_b32 v6, v6, v8 :: v_dual_cndmask_b32 v3, v3, v7
	v_cmp_le_u32_e32 vcc_lo, s20, v6
	s_delay_alu instid0(VALU_DEP_2) | instskip(NEXT) | instid1(VALU_DEP_1)
	v_add_nc_u32_e32 v7, 1, v3
	v_cndmask_b32_e32 v8, v3, v7, vcc_lo
	s_branch .LBB59_2
.LBB59_16:
	s_endpgm
	.section	.rodata,"a",@progbits
	.p2align	6, 0x0
	.amdhsa_kernel _ZN2at4cuda17kernelHistogram1DIdslLi1ELi2ELin1ELNS0_23CUDAHistogramMemoryTypeE1EZNS0_21CUDA_tensor_histogramIdsLb1EEEbNS_6TensorES4_S4_lNS_14AccumulateTypeIT0_Lb1EE4typeES8_NS0_13TensorArgTypeES9_S9_EUllE0_EEvNS0_6detail10TensorInfoIT_T1_EESF_NSC_IKS6_SE_EElS8_S8_SE_T6_
		.amdhsa_group_segment_fixed_size 0
		.amdhsa_private_segment_fixed_size 0
		.amdhsa_kernarg_size 1544
		.amdhsa_user_sgpr_count 2
		.amdhsa_user_sgpr_dispatch_ptr 0
		.amdhsa_user_sgpr_queue_ptr 0
		.amdhsa_user_sgpr_kernarg_segment_ptr 1
		.amdhsa_user_sgpr_dispatch_id 0
		.amdhsa_user_sgpr_kernarg_preload_length 0
		.amdhsa_user_sgpr_kernarg_preload_offset 0
		.amdhsa_user_sgpr_private_segment_size 0
		.amdhsa_wavefront_size32 1
		.amdhsa_uses_dynamic_stack 0
		.amdhsa_enable_private_segment 0
		.amdhsa_system_sgpr_workgroup_id_x 1
		.amdhsa_system_sgpr_workgroup_id_y 0
		.amdhsa_system_sgpr_workgroup_id_z 0
		.amdhsa_system_sgpr_workgroup_info 0
		.amdhsa_system_vgpr_workitem_id 0
		.amdhsa_next_free_vgpr 24
		.amdhsa_next_free_sgpr 51
		.amdhsa_named_barrier_count 0
		.amdhsa_reserve_vcc 1
		.amdhsa_float_round_mode_32 0
		.amdhsa_float_round_mode_16_64 0
		.amdhsa_float_denorm_mode_32 3
		.amdhsa_float_denorm_mode_16_64 3
		.amdhsa_fp16_overflow 0
		.amdhsa_memory_ordered 1
		.amdhsa_forward_progress 1
		.amdhsa_inst_pref_size 16
		.amdhsa_round_robin_scheduling 0
		.amdhsa_exception_fp_ieee_invalid_op 0
		.amdhsa_exception_fp_denorm_src 0
		.amdhsa_exception_fp_ieee_div_zero 0
		.amdhsa_exception_fp_ieee_overflow 0
		.amdhsa_exception_fp_ieee_underflow 0
		.amdhsa_exception_fp_ieee_inexact 0
		.amdhsa_exception_int_div_zero 0
	.end_amdhsa_kernel
	.section	.text._ZN2at4cuda17kernelHistogram1DIdslLi1ELi2ELin1ELNS0_23CUDAHistogramMemoryTypeE1EZNS0_21CUDA_tensor_histogramIdsLb1EEEbNS_6TensorES4_S4_lNS_14AccumulateTypeIT0_Lb1EE4typeES8_NS0_13TensorArgTypeES9_S9_EUllE0_EEvNS0_6detail10TensorInfoIT_T1_EESF_NSC_IKS6_SE_EElS8_S8_SE_T6_,"axG",@progbits,_ZN2at4cuda17kernelHistogram1DIdslLi1ELi2ELin1ELNS0_23CUDAHistogramMemoryTypeE1EZNS0_21CUDA_tensor_histogramIdsLb1EEEbNS_6TensorES4_S4_lNS_14AccumulateTypeIT0_Lb1EE4typeES8_NS0_13TensorArgTypeES9_S9_EUllE0_EEvNS0_6detail10TensorInfoIT_T1_EESF_NSC_IKS6_SE_EElS8_S8_SE_T6_,comdat
.Lfunc_end59:
	.size	_ZN2at4cuda17kernelHistogram1DIdslLi1ELi2ELin1ELNS0_23CUDAHistogramMemoryTypeE1EZNS0_21CUDA_tensor_histogramIdsLb1EEEbNS_6TensorES4_S4_lNS_14AccumulateTypeIT0_Lb1EE4typeES8_NS0_13TensorArgTypeES9_S9_EUllE0_EEvNS0_6detail10TensorInfoIT_T1_EESF_NSC_IKS6_SE_EElS8_S8_SE_T6_, .Lfunc_end59-_ZN2at4cuda17kernelHistogram1DIdslLi1ELi2ELin1ELNS0_23CUDAHistogramMemoryTypeE1EZNS0_21CUDA_tensor_histogramIdsLb1EEEbNS_6TensorES4_S4_lNS_14AccumulateTypeIT0_Lb1EE4typeES8_NS0_13TensorArgTypeES9_S9_EUllE0_EEvNS0_6detail10TensorInfoIT_T1_EESF_NSC_IKS6_SE_EElS8_S8_SE_T6_
                                        ; -- End function
	.set _ZN2at4cuda17kernelHistogram1DIdslLi1ELi2ELin1ELNS0_23CUDAHistogramMemoryTypeE1EZNS0_21CUDA_tensor_histogramIdsLb1EEEbNS_6TensorES4_S4_lNS_14AccumulateTypeIT0_Lb1EE4typeES8_NS0_13TensorArgTypeES9_S9_EUllE0_EEvNS0_6detail10TensorInfoIT_T1_EESF_NSC_IKS6_SE_EElS8_S8_SE_T6_.num_vgpr, 24
	.set _ZN2at4cuda17kernelHistogram1DIdslLi1ELi2ELin1ELNS0_23CUDAHistogramMemoryTypeE1EZNS0_21CUDA_tensor_histogramIdsLb1EEEbNS_6TensorES4_S4_lNS_14AccumulateTypeIT0_Lb1EE4typeES8_NS0_13TensorArgTypeES9_S9_EUllE0_EEvNS0_6detail10TensorInfoIT_T1_EESF_NSC_IKS6_SE_EElS8_S8_SE_T6_.num_agpr, 0
	.set _ZN2at4cuda17kernelHistogram1DIdslLi1ELi2ELin1ELNS0_23CUDAHistogramMemoryTypeE1EZNS0_21CUDA_tensor_histogramIdsLb1EEEbNS_6TensorES4_S4_lNS_14AccumulateTypeIT0_Lb1EE4typeES8_NS0_13TensorArgTypeES9_S9_EUllE0_EEvNS0_6detail10TensorInfoIT_T1_EESF_NSC_IKS6_SE_EElS8_S8_SE_T6_.numbered_sgpr, 51
	.set _ZN2at4cuda17kernelHistogram1DIdslLi1ELi2ELin1ELNS0_23CUDAHistogramMemoryTypeE1EZNS0_21CUDA_tensor_histogramIdsLb1EEEbNS_6TensorES4_S4_lNS_14AccumulateTypeIT0_Lb1EE4typeES8_NS0_13TensorArgTypeES9_S9_EUllE0_EEvNS0_6detail10TensorInfoIT_T1_EESF_NSC_IKS6_SE_EElS8_S8_SE_T6_.num_named_barrier, 0
	.set _ZN2at4cuda17kernelHistogram1DIdslLi1ELi2ELin1ELNS0_23CUDAHistogramMemoryTypeE1EZNS0_21CUDA_tensor_histogramIdsLb1EEEbNS_6TensorES4_S4_lNS_14AccumulateTypeIT0_Lb1EE4typeES8_NS0_13TensorArgTypeES9_S9_EUllE0_EEvNS0_6detail10TensorInfoIT_T1_EESF_NSC_IKS6_SE_EElS8_S8_SE_T6_.private_seg_size, 0
	.set _ZN2at4cuda17kernelHistogram1DIdslLi1ELi2ELin1ELNS0_23CUDAHistogramMemoryTypeE1EZNS0_21CUDA_tensor_histogramIdsLb1EEEbNS_6TensorES4_S4_lNS_14AccumulateTypeIT0_Lb1EE4typeES8_NS0_13TensorArgTypeES9_S9_EUllE0_EEvNS0_6detail10TensorInfoIT_T1_EESF_NSC_IKS6_SE_EElS8_S8_SE_T6_.uses_vcc, 1
	.set _ZN2at4cuda17kernelHistogram1DIdslLi1ELi2ELin1ELNS0_23CUDAHistogramMemoryTypeE1EZNS0_21CUDA_tensor_histogramIdsLb1EEEbNS_6TensorES4_S4_lNS_14AccumulateTypeIT0_Lb1EE4typeES8_NS0_13TensorArgTypeES9_S9_EUllE0_EEvNS0_6detail10TensorInfoIT_T1_EESF_NSC_IKS6_SE_EElS8_S8_SE_T6_.uses_flat_scratch, 0
	.set _ZN2at4cuda17kernelHistogram1DIdslLi1ELi2ELin1ELNS0_23CUDAHistogramMemoryTypeE1EZNS0_21CUDA_tensor_histogramIdsLb1EEEbNS_6TensorES4_S4_lNS_14AccumulateTypeIT0_Lb1EE4typeES8_NS0_13TensorArgTypeES9_S9_EUllE0_EEvNS0_6detail10TensorInfoIT_T1_EESF_NSC_IKS6_SE_EElS8_S8_SE_T6_.has_dyn_sized_stack, 0
	.set _ZN2at4cuda17kernelHistogram1DIdslLi1ELi2ELin1ELNS0_23CUDAHistogramMemoryTypeE1EZNS0_21CUDA_tensor_histogramIdsLb1EEEbNS_6TensorES4_S4_lNS_14AccumulateTypeIT0_Lb1EE4typeES8_NS0_13TensorArgTypeES9_S9_EUllE0_EEvNS0_6detail10TensorInfoIT_T1_EESF_NSC_IKS6_SE_EElS8_S8_SE_T6_.has_recursion, 0
	.set _ZN2at4cuda17kernelHistogram1DIdslLi1ELi2ELin1ELNS0_23CUDAHistogramMemoryTypeE1EZNS0_21CUDA_tensor_histogramIdsLb1EEEbNS_6TensorES4_S4_lNS_14AccumulateTypeIT0_Lb1EE4typeES8_NS0_13TensorArgTypeES9_S9_EUllE0_EEvNS0_6detail10TensorInfoIT_T1_EESF_NSC_IKS6_SE_EElS8_S8_SE_T6_.has_indirect_call, 0
	.section	.AMDGPU.csdata,"",@progbits
; Kernel info:
; codeLenInByte = 2040
; TotalNumSgprs: 53
; NumVgprs: 24
; ScratchSize: 0
; MemoryBound: 0
; FloatMode: 240
; IeeeMode: 1
; LDSByteSize: 0 bytes/workgroup (compile time only)
; SGPRBlocks: 0
; VGPRBlocks: 1
; NumSGPRsForWavesPerEU: 53
; NumVGPRsForWavesPerEU: 24
; NamedBarCnt: 0
; Occupancy: 16
; WaveLimiterHint : 1
; COMPUTE_PGM_RSRC2:SCRATCH_EN: 0
; COMPUTE_PGM_RSRC2:USER_SGPR: 2
; COMPUTE_PGM_RSRC2:TRAP_HANDLER: 0
; COMPUTE_PGM_RSRC2:TGID_X_EN: 1
; COMPUTE_PGM_RSRC2:TGID_Y_EN: 0
; COMPUTE_PGM_RSRC2:TGID_Z_EN: 0
; COMPUTE_PGM_RSRC2:TIDIG_COMP_CNT: 0
	.section	.text._ZN2at4cuda17kernelHistogram1DIhhlLi1ELi2ELin1ELNS0_23CUDAHistogramMemoryTypeE0EZNS0_21CUDA_tensor_histogramIhhLb0EEEbNS_6TensorES4_S4_lNS_14AccumulateTypeIT0_Lb1EE4typeES8_NS0_13TensorArgTypeES9_S9_EUllE_EEvNS0_6detail10TensorInfoIT_T1_EESF_NSC_IKS6_SE_EElS8_S8_SE_T6_,"axG",@progbits,_ZN2at4cuda17kernelHistogram1DIhhlLi1ELi2ELin1ELNS0_23CUDAHistogramMemoryTypeE0EZNS0_21CUDA_tensor_histogramIhhLb0EEEbNS_6TensorES4_S4_lNS_14AccumulateTypeIT0_Lb1EE4typeES8_NS0_13TensorArgTypeES9_S9_EUllE_EEvNS0_6detail10TensorInfoIT_T1_EESF_NSC_IKS6_SE_EElS8_S8_SE_T6_,comdat
	.protected	_ZN2at4cuda17kernelHistogram1DIhhlLi1ELi2ELin1ELNS0_23CUDAHistogramMemoryTypeE0EZNS0_21CUDA_tensor_histogramIhhLb0EEEbNS_6TensorES4_S4_lNS_14AccumulateTypeIT0_Lb1EE4typeES8_NS0_13TensorArgTypeES9_S9_EUllE_EEvNS0_6detail10TensorInfoIT_T1_EESF_NSC_IKS6_SE_EElS8_S8_SE_T6_ ; -- Begin function _ZN2at4cuda17kernelHistogram1DIhhlLi1ELi2ELin1ELNS0_23CUDAHistogramMemoryTypeE0EZNS0_21CUDA_tensor_histogramIhhLb0EEEbNS_6TensorES4_S4_lNS_14AccumulateTypeIT0_Lb1EE4typeES8_NS0_13TensorArgTypeES9_S9_EUllE_EEvNS0_6detail10TensorInfoIT_T1_EESF_NSC_IKS6_SE_EElS8_S8_SE_T6_
	.globl	_ZN2at4cuda17kernelHistogram1DIhhlLi1ELi2ELin1ELNS0_23CUDAHistogramMemoryTypeE0EZNS0_21CUDA_tensor_histogramIhhLb0EEEbNS_6TensorES4_S4_lNS_14AccumulateTypeIT0_Lb1EE4typeES8_NS0_13TensorArgTypeES9_S9_EUllE_EEvNS0_6detail10TensorInfoIT_T1_EESF_NSC_IKS6_SE_EElS8_S8_SE_T6_
	.p2align	8
	.type	_ZN2at4cuda17kernelHistogram1DIhhlLi1ELi2ELin1ELNS0_23CUDAHistogramMemoryTypeE0EZNS0_21CUDA_tensor_histogramIhhLb0EEEbNS_6TensorES4_S4_lNS_14AccumulateTypeIT0_Lb1EE4typeES8_NS0_13TensorArgTypeES9_S9_EUllE_EEvNS0_6detail10TensorInfoIT_T1_EESF_NSC_IKS6_SE_EElS8_S8_SE_T6_,@function
_ZN2at4cuda17kernelHistogram1DIhhlLi1ELi2ELin1ELNS0_23CUDAHistogramMemoryTypeE0EZNS0_21CUDA_tensor_histogramIhhLb0EEEbNS_6TensorES4_S4_lNS_14AccumulateTypeIT0_Lb1EE4typeES8_NS0_13TensorArgTypeES9_S9_EUllE_EEvNS0_6detail10TensorInfoIT_T1_EESF_NSC_IKS6_SE_EElS8_S8_SE_T6_: ; @_ZN2at4cuda17kernelHistogram1DIhhlLi1ELi2ELin1ELNS0_23CUDAHistogramMemoryTypeE0EZNS0_21CUDA_tensor_histogramIhhLb0EEEbNS_6TensorES4_S4_lNS_14AccumulateTypeIT0_Lb1EE4typeES8_NS0_13TensorArgTypeES9_S9_EUllE_EEvNS0_6detail10TensorInfoIT_T1_EESF_NSC_IKS6_SE_EElS8_S8_SE_T6_
; %bb.0:
	s_clause 0x2
	s_load_b128 s[12:15], s[0:1], 0x0
	s_load_b64 s[16:17], s[0:1], 0x500
	s_load_b256 s[4:11], s[0:1], 0x4e0
	v_mov_b32_e32 v1, 0
	s_add_nc_u64 s[28:29], s[0:1], 0x6a0
	s_mov_b32 s3, exec_lo
                                        ; implicit-def: $sgpr18
	s_wait_kmcnt 0x0
	s_delay_alu instid0(VALU_DEP_1)
	v_cmp_gt_i64_e64 s2, s[14:15], v[0:1]
	v_cmpx_le_i64_e64 s[14:15], v[0:1]
	s_xor_b32 s3, exec_lo, s3
; %bb.1:
	s_load_b32 s18, s[28:29], 0xc
; %bb.2:
	s_or_saveexec_b32 s3, s3
	s_wait_kmcnt 0x0
	v_mov_b32_e32 v4, s18
	s_xor_b32 exec_lo, exec_lo, s3
	s_cbranch_execz .LBB60_12
; %bb.3:
	v_dual_mov_b32 v3, 0 :: v_dual_add_nc_u32 v2, 1, v0
	s_load_b32 s20, s[28:29], 0xc
	s_mov_b32 s22, -1
	s_delay_alu instid0(VALU_DEP_1) | instskip(SKIP_2) | instid1(SALU_CYCLE_1)
	v_max_i64 v[2:3], s[14:15], v[2:3]
	s_wait_kmcnt 0x0
	s_and_b32 s18, s20, 0xffff
	s_cmp_eq_u32 s18, 1
	s_cselect_b32 s19, -1, 0
	s_delay_alu instid0(VALU_DEP_1) | instskip(SKIP_1) | instid1(VALU_DEP_2)
	v_sub_nc_u64_e32 v[4:5], v[2:3], v[0:1]
	v_mov_b64_e32 v[2:3], v[0:1]
	v_cmp_lt_u64_e32 vcc_lo, 7, v[4:5]
	s_and_b32 s21, vcc_lo, s19
	s_delay_alu instid0(SALU_CYCLE_1)
	s_and_saveexec_b32 s19, s21
	s_cbranch_execz .LBB60_7
; %bb.4:
	v_dual_mov_b32 v3, v5 :: v_dual_bitop2_b32 v2, -8, v4 bitop3:0x40
	v_mov_b64_e32 v[6:7], 0
	v_add_nc_u32_e32 v10, 0, v0
	s_mov_b32 s21, 0
	s_delay_alu instid0(VALU_DEP_3)
	v_mov_b64_e32 v[8:9], v[2:3]
.LBB60_5:                               ; =>This Inner Loop Header: Depth=1
	s_delay_alu instid0(VALU_DEP_1) | instskip(SKIP_4) | instid1(SALU_CYCLE_1)
	v_add_nc_u64_e32 v[8:9], -8, v[8:9]
	ds_store_b64 v10, v[6:7]
	v_add_nc_u32_e32 v10, 8, v10
	v_cmp_eq_u64_e32 vcc_lo, 0, v[8:9]
	s_or_b32 s21, vcc_lo, s21
	s_and_not1_b32 exec_lo, exec_lo, s21
	s_cbranch_execnz .LBB60_5
; %bb.6:
	s_or_b32 exec_lo, exec_lo, s21
	v_cmp_ne_u64_e32 vcc_lo, v[4:5], v[2:3]
	v_add_nc_u64_e32 v[2:3], v[2:3], v[0:1]
	s_or_not1_b32 s22, vcc_lo, exec_lo
.LBB60_7:
	s_or_b32 exec_lo, exec_lo, s19
	v_mov_b32_e32 v4, 1
	s_and_saveexec_b32 s21, s22
	s_cbranch_execz .LBB60_11
; %bb.8:
	s_delay_alu instid0(VALU_DEP_2) | instskip(SKIP_1) | instid1(SALU_CYCLE_1)
	v_dual_mov_b32 v5, 0 :: v_dual_add_nc_u32 v4, 0, v2
	s_mov_b32 s19, 0
	s_mov_b32 s22, s19
.LBB60_9:                               ; =>This Inner Loop Header: Depth=1
	v_add_nc_u64_e32 v[2:3], s[18:19], v[2:3]
	ds_store_b8 v4, v5
	v_add_nc_u32_e32 v4, s18, v4
	v_cmp_le_i64_e32 vcc_lo, s[14:15], v[2:3]
	s_or_b32 s22, vcc_lo, s22
	s_delay_alu instid0(SALU_CYCLE_1)
	s_and_not1_b32 exec_lo, exec_lo, s22
	s_cbranch_execnz .LBB60_9
; %bb.10:
	s_or_b32 exec_lo, exec_lo, s22
	v_mov_b32_e32 v4, s20
.LBB60_11:
	s_or_b32 exec_lo, exec_lo, s21
.LBB60_12:
	s_delay_alu instid0(SALU_CYCLE_1)
	s_or_b32 exec_lo, exec_lo, s3
	s_bfe_u32 s3, ttmp6, 0x4000c
	s_and_b32 s18, ttmp6, 15
	s_add_co_i32 s3, s3, 1
	s_getreg_b32 s19, hwreg(HW_REG_IB_STS2, 6, 4)
	s_mul_i32 s3, ttmp9, s3
	v_and_b32_e32 v2, 0xffff, v4
	s_add_co_i32 s3, s18, s3
	s_cmp_eq_u32 s19, 0
	s_load_b64 s[18:19], s[0:1], 0xd0
	s_cselect_b32 s3, ttmp9, s3
	v_mov_b32_e32 v6, 0
	v_mad_u32 v4, s3, v2, v0
	s_mov_b32 s21, 0
	s_mov_b32 s3, exec_lo
	s_wait_dscnt 0x0
	v_mov_b32_e32 v5, v6
	s_barrier_signal -1
	s_barrier_wait -1
	s_delay_alu instid0(VALU_DEP_1)
	v_cmpx_gt_i64_e64 s[10:11], v[4:5]
	s_cbranch_execz .LBB60_29
; %bb.13:
	s_load_b32 s33, s[0:1], 0x4d8
	s_load_b32 s20, s[28:29], 0x0
	s_clause 0x2
	s_load_b64 s[22:23], s[0:1], 0x5d0
	s_load_b64 s[24:25], s[0:1], 0x410
	;; [unrolled: 1-line block ×3, first 2 shown]
	s_add_nc_u64 s[34:35], s[0:1], 0x340
	v_mov_b32_e32 v9, v6
	s_wait_xcnt 0x0
	s_sub_nc_u64 s[28:29], s[8:9], s[6:7]
	s_mov_b64 s[30:31], 0xffffffff
	s_mov_b32 s46, 0
	s_wait_kmcnt 0x0
	s_cmp_gt_i32 s33, 1
	v_mul_lo_u32 v8, s20, v2
	s_cselect_b32 s1, -1, 0
	s_add_co_i32 s20, s33, -1
	s_add_co_i32 s33, s33, 1
	s_lshl_b64 s[36:37], s[20:21], 3
	s_delay_alu instid0(SALU_CYCLE_1)
	s_add_nc_u64 s[34:35], s[34:35], s[36:37]
	s_ashr_i32 s36, s29, 31
	s_add_nc_u64 s[34:35], s[34:35], 8
	s_branch .LBB60_15
.LBB60_14:                              ;   in Loop: Header=BB60_15 Depth=1
	s_or_b32 exec_lo, exec_lo, s40
	v_add_nc_u64_e32 v[4:5], v[4:5], v[8:9]
	s_delay_alu instid0(VALU_DEP_1) | instskip(SKIP_1) | instid1(SALU_CYCLE_1)
	v_cmp_le_i64_e32 vcc_lo, s[10:11], v[4:5]
	s_or_b32 s46, vcc_lo, s46
	s_and_not1_b32 exec_lo, exec_lo, s46
	s_cbranch_execz .LBB60_29
.LBB60_15:                              ; =>This Loop Header: Depth=1
                                        ;     Child Loop BB60_16 Depth 2
                                        ;     Child Loop BB60_28 Depth 2
	v_mov_b64_e32 v[10:11], 0
	v_mov_b64_e32 v[12:13], v[4:5]
	;; [unrolled: 1-line block ×3, first 2 shown]
	s_and_not1_b32 vcc_lo, exec_lo, s1
	s_mov_b64 s[38:39], s[34:35]
	s_mov_b32 s37, s33
	s_cbranch_vccnz .LBB60_22
.LBB60_16:                              ;   Parent Loop BB60_15 Depth=1
                                        ; =>  This Inner Loop Header: Depth=2
	s_load_b64 s[40:41], s[38:39], 0x0
                                        ; implicit-def: $vgpr14_vgpr15
	s_mov_b32 s0, exec_lo
	s_wait_kmcnt 0x0
	s_delay_alu instid0(VALU_DEP_1) | instskip(NEXT) | instid1(VALU_DEP_1)
	v_or_b32_e32 v7, s41, v13
	v_cmpx_ne_u64_e32 0, v[6:7]
	s_xor_b32 s47, exec_lo, s0
	s_cbranch_execz .LBB60_18
; %bb.17:                               ;   in Loop: Header=BB60_16 Depth=2
	s_ashr_i32 s42, s41, 31
	v_dual_mov_b32 v19, v6 :: v_dual_ashrrev_i32 v14, 31, v13
	s_mov_b32 s43, s42
	v_mov_b32_e32 v27, v6
	s_add_nc_u64 s[44:45], s[40:41], s[42:43]
	s_delay_alu instid0(VALU_DEP_2) | instskip(SKIP_1) | instid1(SALU_CYCLE_1)
	v_mov_b32_e32 v15, v14
	s_xor_b64 s[44:45], s[44:45], s[42:43]
	s_cvt_f32_u32 s0, s44
	s_cvt_f32_u32 s20, s45
	s_sub_nc_u64 s[50:51], 0, s[44:45]
	v_add_nc_u64_e32 v[16:17], v[12:13], v[14:15]
	v_mov_b32_e32 v23, v6
	s_fmamk_f32 s0, s20, 0x4f800000, s0
	s_delay_alu instid0(SALU_CYCLE_3) | instskip(NEXT) | instid1(VALU_DEP_2)
	v_s_rcp_f32 s0, s0
	v_xor_b32_e32 v18, v16, v14
	s_delay_alu instid0(VALU_DEP_3) | instskip(SKIP_1) | instid1(TRANS32_DEP_1)
	v_xor_b32_e32 v22, v17, v14
	v_xor_b32_e32 v14, s42, v14
	s_mul_f32 s0, s0, 0x5f7ffffc
	s_delay_alu instid0(SALU_CYCLE_3) | instskip(NEXT) | instid1(SALU_CYCLE_3)
	s_mul_f32 s20, s0, 0x2f800000
	s_trunc_f32 s20, s20
	s_delay_alu instid0(SALU_CYCLE_3) | instskip(SKIP_1) | instid1(SALU_CYCLE_2)
	s_fmamk_f32 s0, s20, 0xcf800000, s0
	s_cvt_u32_f32 s49, s20
	s_cvt_u32_f32 s48, s0
	s_delay_alu instid0(SALU_CYCLE_3) | instskip(NEXT) | instid1(SALU_CYCLE_1)
	s_mul_u64 s[52:53], s[50:51], s[48:49]
	s_mul_hi_u32 s55, s48, s53
	s_mul_i32 s54, s48, s53
	s_mul_hi_u32 s20, s48, s52
	s_mul_i32 s43, s49, s52
	s_add_nc_u64 s[54:55], s[20:21], s[54:55]
	s_mul_hi_u32 s0, s49, s52
	s_mul_hi_u32 s56, s49, s53
	s_add_co_u32 s20, s54, s43
	s_add_co_ci_u32 s20, s55, s0
	s_mul_i32 s52, s49, s53
	s_add_co_ci_u32 s53, s56, 0
	s_delay_alu instid0(SALU_CYCLE_1) | instskip(NEXT) | instid1(SALU_CYCLE_1)
	s_add_nc_u64 s[52:53], s[20:21], s[52:53]
	s_add_co_u32 s48, s48, s52
	s_cselect_b32 s0, -1, 0
	s_delay_alu instid0(SALU_CYCLE_1) | instskip(SKIP_1) | instid1(SALU_CYCLE_1)
	s_cmp_lg_u32 s0, 0
	s_add_co_ci_u32 s49, s49, s53
	s_mul_u64 s[50:51], s[50:51], s[48:49]
	s_delay_alu instid0(SALU_CYCLE_1)
	s_mul_hi_u32 s53, s48, s51
	s_mul_i32 s52, s48, s51
	s_mul_hi_u32 s20, s48, s50
	s_mul_i32 s43, s49, s50
	s_add_nc_u64 s[52:53], s[20:21], s[52:53]
	s_mul_hi_u32 s0, s49, s50
	s_mul_hi_u32 s54, s49, s51
	s_add_co_u32 s20, s52, s43
	s_add_co_ci_u32 s20, s53, s0
	s_mul_i32 s50, s49, s51
	s_add_co_ci_u32 s51, s54, 0
	s_delay_alu instid0(SALU_CYCLE_1) | instskip(NEXT) | instid1(SALU_CYCLE_1)
	s_add_nc_u64 s[50:51], s[20:21], s[50:51]
	s_add_co_u32 s0, s48, s50
	s_cselect_b32 s20, -1, 0
	v_mul_hi_u32 v26, v18, s0
	s_cmp_lg_u32 s20, 0
	s_add_co_ci_u32 s20, s49, s51
	s_and_b64 s[48:49], s[0:1], s[30:31]
	v_mul_u64_e32 v[20:21], s[20:21], v[18:19]
	v_mul_u64_e32 v[16:17], s[48:49], v[22:23]
	;; [unrolled: 1-line block ×3, first 2 shown]
	s_delay_alu instid0(VALU_DEP_3) | instskip(NEXT) | instid1(VALU_DEP_1)
	v_add_nc_u64_e32 v[20:21], v[26:27], v[20:21]
	v_add_co_u32 v3, vcc_lo, v20, v16
	s_delay_alu instid0(VALU_DEP_2) | instskip(NEXT) | instid1(VALU_DEP_4)
	v_add_co_ci_u32_e32 v26, vcc_lo, v21, v17, vcc_lo
	v_add_co_ci_u32_e32 v25, vcc_lo, 0, v25, vcc_lo
	s_delay_alu instid0(VALU_DEP_1) | instskip(NEXT) | instid1(VALU_DEP_1)
	v_add_nc_u64_e32 v[16:17], v[26:27], v[24:25]
	v_mul_u64_e32 v[20:21], s[44:45], v[16:17]
	s_delay_alu instid0(VALU_DEP_1) | instskip(NEXT) | instid1(VALU_DEP_2)
	v_sub_nc_u32_e32 v3, v22, v21
	v_sub_co_u32 v7, vcc_lo, v18, v20
	s_delay_alu instid0(VALU_DEP_1) | instskip(NEXT) | instid1(VALU_DEP_3)
	v_sub_co_ci_u32_e64 v22, null, v22, v21, vcc_lo
	v_subrev_co_ci_u32_e64 v3, null, s45, v3, vcc_lo
	s_delay_alu instid0(VALU_DEP_3) | instskip(SKIP_1) | instid1(VALU_DEP_3)
	v_sub_co_u32 v15, s0, v7, s44
	v_add_nc_u64_e32 v[20:21], 1, v[16:17]
	v_subrev_co_ci_u32_e64 v3, null, 0, v3, s0
	s_delay_alu instid0(VALU_DEP_3) | instskip(SKIP_1) | instid1(VALU_DEP_3)
	v_cmp_le_u32_e32 vcc_lo, s44, v15
	v_cndmask_b32_e64 v15, 0, -1, vcc_lo
	v_cmp_le_u32_e32 vcc_lo, s45, v3
	v_cndmask_b32_e64 v18, 0, -1, vcc_lo
	;; [unrolled: 2-line block ×4, first 2 shown]
	v_cmp_eq_u32_e32 vcc_lo, s45, v3
	v_cndmask_b32_e32 v3, v18, v15, vcc_lo
	v_cmp_eq_u32_e32 vcc_lo, s45, v22
	v_add_nc_u64_e32 v[18:19], 2, v[16:17]
	v_dual_mov_b32 v15, v14 :: v_dual_cndmask_b32 v7, v23, v7, vcc_lo
	s_delay_alu instid0(VALU_DEP_4) | instskip(NEXT) | instid1(VALU_DEP_2)
	v_cmp_ne_u32_e32 vcc_lo, 0, v3
	v_cmp_ne_u32_e64 s0, 0, v7
	s_delay_alu instid0(VALU_DEP_4) | instskip(NEXT) | instid1(VALU_DEP_1)
	v_dual_cndmask_b32 v3, v21, v19, vcc_lo :: v_dual_cndmask_b32 v7, v20, v18, vcc_lo
	v_cndmask_b32_e64 v7, v16, v7, s0
	s_delay_alu instid0(VALU_DEP_1) | instskip(NEXT) | instid1(VALU_DEP_1)
	v_dual_cndmask_b32 v3, v17, v3, s0 :: v_dual_bitop2_b32 v16, v7, v14 bitop3:0x14
	v_xor_b32_e32 v17, v3, v14
	s_delay_alu instid0(VALU_DEP_1)
	v_sub_nc_u64_e32 v[14:15], v[16:17], v[14:15]
.LBB60_18:                              ;   in Loop: Header=BB60_16 Depth=2
	s_and_not1_saveexec_b32 s0, s47
	s_cbranch_execz .LBB60_20
; %bb.19:                               ;   in Loop: Header=BB60_16 Depth=2
	v_cvt_f32_u32_e32 v3, s40
	s_sub_co_i32 s20, 0, s40
	s_delay_alu instid0(VALU_DEP_1) | instskip(SKIP_1) | instid1(TRANS32_DEP_1)
	v_rcp_iflag_f32_e32 v3, v3
	v_nop
	v_mul_f32_e32 v3, 0x4f7ffffe, v3
	s_delay_alu instid0(VALU_DEP_1) | instskip(NEXT) | instid1(VALU_DEP_1)
	v_cvt_u32_f32_e32 v3, v3
	v_mul_lo_u32 v7, s20, v3
	s_delay_alu instid0(VALU_DEP_1) | instskip(NEXT) | instid1(VALU_DEP_1)
	v_mul_hi_u32 v7, v3, v7
	v_add_nc_u32_e32 v3, v3, v7
	s_delay_alu instid0(VALU_DEP_1) | instskip(NEXT) | instid1(VALU_DEP_1)
	v_mul_hi_u32 v3, v12, v3
	v_mul_lo_u32 v7, v3, s40
	v_add_nc_u32_e32 v14, 1, v3
	s_delay_alu instid0(VALU_DEP_2) | instskip(NEXT) | instid1(VALU_DEP_1)
	v_sub_nc_u32_e32 v7, v12, v7
	v_subrev_nc_u32_e32 v15, s40, v7
	v_cmp_le_u32_e32 vcc_lo, s40, v7
	s_delay_alu instid0(VALU_DEP_2) | instskip(SKIP_1) | instid1(VALU_DEP_2)
	v_dual_cndmask_b32 v7, v7, v15, vcc_lo :: v_dual_mov_b32 v15, v6
	v_cndmask_b32_e32 v3, v3, v14, vcc_lo
	v_cmp_le_u32_e32 vcc_lo, s40, v7
	s_delay_alu instid0(VALU_DEP_2) | instskip(NEXT) | instid1(VALU_DEP_1)
	v_add_nc_u32_e32 v14, 1, v3
	v_cndmask_b32_e32 v14, v3, v14, vcc_lo
.LBB60_20:                              ;   in Loop: Header=BB60_16 Depth=2
	s_or_b32 exec_lo, exec_lo, s0
	s_delay_alu instid0(VALU_DEP_1)
	v_mul_u64_e32 v[16:17], s[40:41], v[14:15]
	s_load_b64 s[40:41], s[38:39], 0xc8
	s_add_co_i32 s37, s37, -1
	s_wait_xcnt 0x0
	s_add_nc_u64 s[38:39], s[38:39], -8
	s_cmp_gt_u32 s37, 2
	s_delay_alu instid0(VALU_DEP_1) | instskip(SKIP_1) | instid1(VALU_DEP_1)
	v_sub_nc_u64_e32 v[12:13], v[12:13], v[16:17]
	s_wait_kmcnt 0x0
	v_mad_nc_u64_u32 v[10:11], s40, v12, v[10:11]
	s_delay_alu instid0(VALU_DEP_1) | instskip(NEXT) | instid1(VALU_DEP_1)
	v_mad_u32 v3, s41, v12, v11
	v_mad_u32 v11, s40, v13, v3
	s_cbranch_scc0 .LBB60_22
; %bb.21:                               ;   in Loop: Header=BB60_16 Depth=2
	v_mov_b64_e32 v[12:13], v[14:15]
	s_branch .LBB60_16
.LBB60_22:                              ;   in Loop: Header=BB60_15 Depth=1
	s_delay_alu instid0(VALU_DEP_1) | instskip(NEXT) | instid1(VALU_DEP_1)
	v_mad_nc_u64_u32 v[12:13], s24, v14, s[26:27]
	v_mad_u32 v3, s25, v14, v13
	s_delay_alu instid0(VALU_DEP_1) | instskip(NEXT) | instid1(VALU_DEP_1)
	v_mad_u32 v13, s24, v15, v3
	v_add_nc_u64_e32 v[10:11], v[12:13], v[10:11]
	global_load_u8 v3, v[10:11], off
	s_wait_xcnt 0x0
	v_mov_b32_e32 v11, s21
	s_wait_loadcnt 0x0
	v_and_b32_e32 v10, 0xffff, v3
	s_delay_alu instid0(VALU_DEP_1) | instskip(SKIP_2) | instid1(SALU_CYCLE_1)
	v_cmp_le_i64_e32 vcc_lo, s[6:7], v[10:11]
	v_cmp_ge_i64_e64 s0, s[8:9], v[10:11]
	s_and_b32 s0, vcc_lo, s0
	s_and_saveexec_b32 s40, s0
	s_cbranch_execz .LBB60_14
; %bb.23:                               ;   in Loop: Header=BB60_15 Depth=1
	v_sub_nc_u64_e64 v[10:11], v[10:11], s[6:7]
                                        ; implicit-def: $vgpr12_vgpr13
	s_mov_b32 s0, exec_lo
	s_delay_alu instid0(VALU_DEP_1) | instskip(NEXT) | instid1(VALU_DEP_1)
	v_mul_u64_e32 v[10:11], s[4:5], v[10:11]
	v_or_b32_e32 v7, s29, v11
	s_delay_alu instid0(VALU_DEP_1)
	v_cmpx_ne_u64_e32 0, v[6:7]
	s_xor_b32 s41, exec_lo, s0
	s_cbranch_execz .LBB60_25
; %bb.24:                               ;   in Loop: Header=BB60_15 Depth=1
	s_mov_b32 s37, s36
	v_dual_mov_b32 v15, v6 :: v_dual_ashrrev_i32 v12, 31, v11
	s_add_nc_u64 s[38:39], s[28:29], s[36:37]
	v_mov_b32_e32 v23, v6
	s_xor_b64 s[38:39], s[38:39], s[36:37]
	s_delay_alu instid0(VALU_DEP_2) | instskip(SKIP_3) | instid1(VALU_DEP_1)
	v_mov_b32_e32 v13, v12
	s_cvt_f32_u32 s0, s38
	s_cvt_f32_u32 s20, s39
	s_sub_nc_u64 s[44:45], 0, s[38:39]
	v_add_nc_u64_e32 v[10:11], v[10:11], v[12:13]
	s_delay_alu instid0(SALU_CYCLE_1) | instskip(SKIP_1) | instid1(SALU_CYCLE_2)
	s_fmamk_f32 s0, s20, 0x4f800000, s0
	v_mov_b32_e32 v19, v6
	v_s_rcp_f32 s0, s0
	s_delay_alu instid0(VALU_DEP_2) | instskip(NEXT) | instid1(VALU_DEP_3)
	v_xor_b32_e32 v14, v10, v12
	v_xor_b32_e32 v18, v11, v12
	;; [unrolled: 1-line block ×3, first 2 shown]
	s_delay_alu instid0(TRANS32_DEP_1) | instskip(NEXT) | instid1(SALU_CYCLE_3)
	s_mul_f32 s0, s0, 0x5f7ffffc
	s_mul_f32 s20, s0, 0x2f800000
	s_delay_alu instid0(SALU_CYCLE_3) | instskip(NEXT) | instid1(SALU_CYCLE_3)
	s_trunc_f32 s20, s20
	s_fmamk_f32 s0, s20, 0xcf800000, s0
	s_cvt_u32_f32 s43, s20
	s_delay_alu instid0(SALU_CYCLE_2) | instskip(NEXT) | instid1(SALU_CYCLE_3)
	s_cvt_u32_f32 s42, s0
	s_mul_u64 s[48:49], s[44:45], s[42:43]
	s_delay_alu instid0(SALU_CYCLE_1)
	s_mul_hi_u32 s51, s42, s49
	s_mul_i32 s50, s42, s49
	s_mul_hi_u32 s20, s42, s48
	s_mul_i32 s37, s43, s48
	s_add_nc_u64 s[50:51], s[20:21], s[50:51]
	s_mul_hi_u32 s0, s43, s48
	s_mul_hi_u32 s47, s43, s49
	s_add_co_u32 s20, s50, s37
	s_add_co_ci_u32 s20, s51, s0
	s_mul_i32 s48, s43, s49
	s_add_co_ci_u32 s49, s47, 0
	s_delay_alu instid0(SALU_CYCLE_1) | instskip(NEXT) | instid1(SALU_CYCLE_1)
	s_add_nc_u64 s[48:49], s[20:21], s[48:49]
	s_add_co_u32 s42, s42, s48
	s_cselect_b32 s0, -1, 0
	s_delay_alu instid0(SALU_CYCLE_1) | instskip(SKIP_1) | instid1(SALU_CYCLE_1)
	s_cmp_lg_u32 s0, 0
	s_add_co_ci_u32 s43, s43, s49
	s_mul_u64 s[44:45], s[44:45], s[42:43]
	s_delay_alu instid0(SALU_CYCLE_1)
	s_mul_hi_u32 s49, s42, s45
	s_mul_i32 s48, s42, s45
	s_mul_hi_u32 s20, s42, s44
	s_mul_i32 s37, s43, s44
	s_add_nc_u64 s[48:49], s[20:21], s[48:49]
	s_mul_hi_u32 s0, s43, s44
	s_mul_hi_u32 s47, s43, s45
	s_add_co_u32 s20, s48, s37
	s_add_co_ci_u32 s20, s49, s0
	s_mul_i32 s44, s43, s45
	s_add_co_ci_u32 s45, s47, 0
	s_delay_alu instid0(SALU_CYCLE_1) | instskip(NEXT) | instid1(SALU_CYCLE_1)
	s_add_nc_u64 s[44:45], s[20:21], s[44:45]
	s_add_co_u32 s0, s42, s44
	s_cselect_b32 s20, -1, 0
	v_mul_hi_u32 v22, v14, s0
	s_cmp_lg_u32 s20, 0
	s_add_co_ci_u32 s20, s43, s45
	s_and_b64 s[42:43], s[0:1], s[30:31]
	v_mul_u64_e32 v[16:17], s[20:21], v[14:15]
	v_mul_u64_e32 v[10:11], s[42:43], v[18:19]
	;; [unrolled: 1-line block ×3, first 2 shown]
	s_delay_alu instid0(VALU_DEP_3) | instskip(NEXT) | instid1(VALU_DEP_1)
	v_add_nc_u64_e32 v[16:17], v[22:23], v[16:17]
	v_add_co_u32 v3, vcc_lo, v16, v10
	s_delay_alu instid0(VALU_DEP_2) | instskip(NEXT) | instid1(VALU_DEP_4)
	v_add_co_ci_u32_e32 v22, vcc_lo, v17, v11, vcc_lo
	v_add_co_ci_u32_e32 v21, vcc_lo, 0, v21, vcc_lo
	s_delay_alu instid0(VALU_DEP_1) | instskip(NEXT) | instid1(VALU_DEP_1)
	v_add_nc_u64_e32 v[10:11], v[22:23], v[20:21]
	v_mul_u64_e32 v[16:17], s[38:39], v[10:11]
	s_delay_alu instid0(VALU_DEP_1) | instskip(NEXT) | instid1(VALU_DEP_2)
	v_sub_nc_u32_e32 v3, v18, v17
	v_sub_co_u32 v7, vcc_lo, v14, v16
	s_delay_alu instid0(VALU_DEP_1) | instskip(NEXT) | instid1(VALU_DEP_3)
	v_sub_co_ci_u32_e64 v18, null, v18, v17, vcc_lo
	v_subrev_co_ci_u32_e64 v3, null, s39, v3, vcc_lo
	s_delay_alu instid0(VALU_DEP_3) | instskip(SKIP_1) | instid1(VALU_DEP_3)
	v_sub_co_u32 v13, s0, v7, s38
	v_add_nc_u64_e32 v[16:17], 1, v[10:11]
	v_subrev_co_ci_u32_e64 v3, null, 0, v3, s0
	s_delay_alu instid0(VALU_DEP_3) | instskip(SKIP_1) | instid1(VALU_DEP_3)
	v_cmp_le_u32_e32 vcc_lo, s38, v13
	v_cndmask_b32_e64 v13, 0, -1, vcc_lo
	v_cmp_le_u32_e32 vcc_lo, s39, v3
	v_cndmask_b32_e64 v14, 0, -1, vcc_lo
	;; [unrolled: 2-line block ×4, first 2 shown]
	v_cmp_eq_u32_e32 vcc_lo, s39, v3
	v_cndmask_b32_e32 v3, v14, v13, vcc_lo
	v_cmp_eq_u32_e32 vcc_lo, s39, v18
	v_add_nc_u64_e32 v[14:15], 2, v[10:11]
	v_dual_mov_b32 v13, v12 :: v_dual_cndmask_b32 v7, v19, v7, vcc_lo
	s_delay_alu instid0(VALU_DEP_4) | instskip(NEXT) | instid1(VALU_DEP_2)
	v_cmp_ne_u32_e32 vcc_lo, 0, v3
	v_cmp_ne_u32_e64 s0, 0, v7
	s_delay_alu instid0(VALU_DEP_4) | instskip(NEXT) | instid1(VALU_DEP_1)
	v_dual_cndmask_b32 v3, v17, v15, vcc_lo :: v_dual_cndmask_b32 v7, v16, v14, vcc_lo
	v_cndmask_b32_e64 v3, v11, v3, s0
	s_delay_alu instid0(VALU_DEP_1) | instskip(NEXT) | instid1(VALU_DEP_1)
	v_dual_cndmask_b32 v7, v10, v7, s0 :: v_dual_bitop2_b32 v11, v3, v12 bitop3:0x14
	v_xor_b32_e32 v10, v7, v12
	s_delay_alu instid0(VALU_DEP_1)
	v_sub_nc_u64_e32 v[12:13], v[10:11], v[12:13]
                                        ; implicit-def: $vgpr10_vgpr11
.LBB60_25:                              ;   in Loop: Header=BB60_15 Depth=1
	s_and_not1_saveexec_b32 s0, s41
	s_cbranch_execz .LBB60_27
; %bb.26:                               ;   in Loop: Header=BB60_15 Depth=1
	v_cvt_f32_u32_e32 v3, s28
	s_sub_co_i32 s20, 0, s28
	s_delay_alu instid0(VALU_DEP_1) | instskip(SKIP_1) | instid1(TRANS32_DEP_1)
	v_rcp_iflag_f32_e32 v3, v3
	v_nop
	v_mul_f32_e32 v3, 0x4f7ffffe, v3
	s_delay_alu instid0(VALU_DEP_1) | instskip(NEXT) | instid1(VALU_DEP_1)
	v_cvt_u32_f32_e32 v3, v3
	v_mul_lo_u32 v7, s20, v3
	s_delay_alu instid0(VALU_DEP_1) | instskip(NEXT) | instid1(VALU_DEP_1)
	v_mul_hi_u32 v7, v3, v7
	v_add_nc_u32_e32 v3, v3, v7
	s_delay_alu instid0(VALU_DEP_1) | instskip(NEXT) | instid1(VALU_DEP_1)
	v_mul_hi_u32 v3, v10, v3
	v_mul_lo_u32 v7, v3, s28
	s_delay_alu instid0(VALU_DEP_1) | instskip(SKIP_1) | instid1(VALU_DEP_2)
	v_sub_nc_u32_e32 v7, v10, v7
	v_add_nc_u32_e32 v10, 1, v3
	v_subrev_nc_u32_e32 v11, s28, v7
	v_cmp_le_u32_e32 vcc_lo, s28, v7
	s_delay_alu instid0(VALU_DEP_2) | instskip(NEXT) | instid1(VALU_DEP_4)
	v_cndmask_b32_e32 v7, v7, v11, vcc_lo
	v_cndmask_b32_e32 v3, v3, v10, vcc_lo
	s_delay_alu instid0(VALU_DEP_2) | instskip(NEXT) | instid1(VALU_DEP_2)
	v_cmp_le_u32_e32 vcc_lo, s28, v7
	v_add_nc_u32_e32 v10, 1, v3
	s_delay_alu instid0(VALU_DEP_1)
	v_cndmask_b32_e32 v12, v3, v10, vcc_lo
.LBB60_27:                              ;   in Loop: Header=BB60_15 Depth=1
	s_or_b32 exec_lo, exec_lo, s0
	v_mad_nc_u64_u32 v[10:11], v4, s22, s[16:17]
	s_delay_alu instid0(VALU_DEP_2) | instskip(SKIP_1) | instid1(VALU_DEP_1)
	v_ashrrev_i32_e32 v13, 31, v12
	s_mov_b32 s0, 0
	v_cmp_eq_u64_e32 vcc_lo, s[4:5], v[12:13]
	s_delay_alu instid0(VALU_DEP_3) | instskip(SKIP_1) | instid1(VALU_DEP_1)
	v_mad_u32 v3, v5, s22, v11
	v_subrev_co_ci_u32_e64 v7, null, 0, v12, vcc_lo
	v_add_nc_u32_e32 v12, 0, v7
	s_delay_alu instid0(VALU_DEP_3) | instskip(SKIP_3) | instid1(VALU_DEP_1)
	v_mad_u32 v11, v4, s23, v3
	global_load_u8 v3, v[10:11], off
	s_wait_xcnt 0x0
	v_and_b32_e32 v11, 3, v12
	v_dual_sub_nc_u32 v14, 0, v11 :: v_dual_bitop2_b32 v7, -4, v12 bitop3:0x40
	ds_load_b32 v10, v7
	v_dual_add_nc_u32 v12, v12, v14 :: v_dual_lshlrev_b32 v7, 3, v11
	s_delay_alu instid0(VALU_DEP_1) | instskip(NEXT) | instid1(VALU_DEP_1)
	v_lshlrev_b32_e64 v13, v7, 0xff
	v_not_b32_e32 v11, v13
.LBB60_28:                              ;   Parent Loop BB60_15 Depth=1
                                        ; =>  This Inner Loop Header: Depth=2
	s_wait_dscnt 0x0
	s_delay_alu instid0(VALU_DEP_1) | instskip(SKIP_1) | instid1(VALU_DEP_1)
	v_dual_lshrrev_b32 v13, v7, v10 :: v_dual_bitop2_b32 v14, v10, v11 bitop3:0x40
	s_wait_loadcnt 0x0
	v_add_nc_u16 v13, v3, v13
	s_delay_alu instid0(VALU_DEP_1) | instskip(NEXT) | instid1(VALU_DEP_1)
	v_and_b32_e32 v13, 0xff, v13
	v_lshl_or_b32 v13, v13, v7, v14
	ds_cmpstore_rtn_b32 v13, v12, v13, v10
	s_wait_dscnt 0x0
	v_cmp_eq_u32_e32 vcc_lo, v10, v13
	v_mov_b32_e32 v10, v13
	s_or_b32 s0, vcc_lo, s0
	s_delay_alu instid0(SALU_CYCLE_1)
	s_and_not1_b32 exec_lo, exec_lo, s0
	s_cbranch_execnz .LBB60_28
	s_branch .LBB60_14
.LBB60_29:
	s_or_b32 exec_lo, exec_lo, s3
; %bb.30:
	s_barrier_signal -1
	s_barrier_wait -1
	s_wait_xcnt 0x0
	s_and_saveexec_b32 s0, s2
	s_cbranch_execz .LBB60_35
; %bb.31:
	v_mov_b32_e32 v5, 0
	s_mov_b32 s0, 0
	s_delay_alu instid0(VALU_DEP_1)
	v_mov_b32_e32 v3, v5
.LBB60_32:                              ; =>This Loop Header: Depth=1
                                        ;     Child Loop BB60_33 Depth 2
	s_wait_kmcnt 0x0
	v_mad_nc_u64_u32 v[6:7], v0, s18, s[12:13]
	s_mov_b32 s1, 0
	s_delay_alu instid0(VALU_DEP_1) | instskip(NEXT) | instid1(VALU_DEP_2)
	v_mad_u32 v7, v1, s18, v7
	v_and_b32_e32 v4, 3, v6
	s_delay_alu instid0(VALU_DEP_1) | instskip(NEXT) | instid1(VALU_DEP_3)
	v_sub_nc_u64_e32 v[8:9], 0, v[4:5]
	v_mad_u32 v7, v0, s19, v7
	s_delay_alu instid0(VALU_DEP_1)
	v_add_nc_u64_e32 v[6:7], v[6:7], v[8:9]
	v_add_nc_u32_e32 v8, 0, v0
	v_lshlrev_b32_e32 v4, 3, v4
	ds_load_u8 v10, v8
	global_load_b32 v9, v[6:7], off
	v_lshlrev_b32_e64 v8, v4, 0xff
	s_delay_alu instid0(VALU_DEP_1)
	v_not_b32_e32 v11, v8
.LBB60_33:                              ;   Parent Loop BB60_32 Depth=1
                                        ; =>  This Inner Loop Header: Depth=2
	s_wait_loadcnt 0x0
	s_delay_alu instid0(VALU_DEP_1) | instskip(SKIP_1) | instid1(VALU_DEP_1)
	v_dual_lshrrev_b32 v8, v4, v9 :: v_dual_bitop2_b32 v12, v9, v11 bitop3:0x40
	s_wait_dscnt 0x0
	v_add_nc_u16 v8, v10, v8
	s_delay_alu instid0(VALU_DEP_1) | instskip(NEXT) | instid1(VALU_DEP_1)
	v_and_b32_e32 v8, 0xff, v8
	v_lshl_or_b32 v8, v8, v4, v12
	global_atomic_cmpswap_b32 v8, v[6:7], v[8:9], off th:TH_ATOMIC_RETURN scope:SCOPE_DEV
	s_wait_loadcnt 0x0
	v_cmp_eq_u32_e32 vcc_lo, v9, v8
	v_mov_b32_e32 v9, v8
	s_or_b32 s1, vcc_lo, s1
	s_delay_alu instid0(SALU_CYCLE_1)
	s_and_not1_b32 exec_lo, exec_lo, s1
	s_cbranch_execnz .LBB60_33
; %bb.34:                               ;   in Loop: Header=BB60_32 Depth=1
	s_or_b32 exec_lo, exec_lo, s1
	v_add_nc_u64_e32 v[0:1], v[0:1], v[2:3]
	s_delay_alu instid0(VALU_DEP_1) | instskip(SKIP_1) | instid1(SALU_CYCLE_1)
	v_cmp_le_i64_e32 vcc_lo, s[14:15], v[0:1]
	s_or_b32 s0, vcc_lo, s0
	s_and_not1_b32 exec_lo, exec_lo, s0
	s_cbranch_execnz .LBB60_32
.LBB60_35:
	s_endpgm
	.section	.rodata,"a",@progbits
	.p2align	6, 0x0
	.amdhsa_kernel _ZN2at4cuda17kernelHistogram1DIhhlLi1ELi2ELin1ELNS0_23CUDAHistogramMemoryTypeE0EZNS0_21CUDA_tensor_histogramIhhLb0EEEbNS_6TensorES4_S4_lNS_14AccumulateTypeIT0_Lb1EE4typeES8_NS0_13TensorArgTypeES9_S9_EUllE_EEvNS0_6detail10TensorInfoIT_T1_EESF_NSC_IKS6_SE_EElS8_S8_SE_T6_
		.amdhsa_group_segment_fixed_size 0
		.amdhsa_private_segment_fixed_size 0
		.amdhsa_kernarg_size 1952
		.amdhsa_user_sgpr_count 2
		.amdhsa_user_sgpr_dispatch_ptr 0
		.amdhsa_user_sgpr_queue_ptr 0
		.amdhsa_user_sgpr_kernarg_segment_ptr 1
		.amdhsa_user_sgpr_dispatch_id 0
		.amdhsa_user_sgpr_kernarg_preload_length 0
		.amdhsa_user_sgpr_kernarg_preload_offset 0
		.amdhsa_user_sgpr_private_segment_size 0
		.amdhsa_wavefront_size32 1
		.amdhsa_uses_dynamic_stack 0
		.amdhsa_enable_private_segment 0
		.amdhsa_system_sgpr_workgroup_id_x 1
		.amdhsa_system_sgpr_workgroup_id_y 0
		.amdhsa_system_sgpr_workgroup_id_z 0
		.amdhsa_system_sgpr_workgroup_info 0
		.amdhsa_system_vgpr_workitem_id 0
		.amdhsa_next_free_vgpr 28
		.amdhsa_next_free_sgpr 57
		.amdhsa_named_barrier_count 0
		.amdhsa_reserve_vcc 1
		.amdhsa_float_round_mode_32 0
		.amdhsa_float_round_mode_16_64 0
		.amdhsa_float_denorm_mode_32 3
		.amdhsa_float_denorm_mode_16_64 3
		.amdhsa_fp16_overflow 0
		.amdhsa_memory_ordered 1
		.amdhsa_forward_progress 1
		.amdhsa_inst_pref_size 22
		.amdhsa_round_robin_scheduling 0
		.amdhsa_exception_fp_ieee_invalid_op 0
		.amdhsa_exception_fp_denorm_src 0
		.amdhsa_exception_fp_ieee_div_zero 0
		.amdhsa_exception_fp_ieee_overflow 0
		.amdhsa_exception_fp_ieee_underflow 0
		.amdhsa_exception_fp_ieee_inexact 0
		.amdhsa_exception_int_div_zero 0
	.end_amdhsa_kernel
	.section	.text._ZN2at4cuda17kernelHistogram1DIhhlLi1ELi2ELin1ELNS0_23CUDAHistogramMemoryTypeE0EZNS0_21CUDA_tensor_histogramIhhLb0EEEbNS_6TensorES4_S4_lNS_14AccumulateTypeIT0_Lb1EE4typeES8_NS0_13TensorArgTypeES9_S9_EUllE_EEvNS0_6detail10TensorInfoIT_T1_EESF_NSC_IKS6_SE_EElS8_S8_SE_T6_,"axG",@progbits,_ZN2at4cuda17kernelHistogram1DIhhlLi1ELi2ELin1ELNS0_23CUDAHistogramMemoryTypeE0EZNS0_21CUDA_tensor_histogramIhhLb0EEEbNS_6TensorES4_S4_lNS_14AccumulateTypeIT0_Lb1EE4typeES8_NS0_13TensorArgTypeES9_S9_EUllE_EEvNS0_6detail10TensorInfoIT_T1_EESF_NSC_IKS6_SE_EElS8_S8_SE_T6_,comdat
.Lfunc_end60:
	.size	_ZN2at4cuda17kernelHistogram1DIhhlLi1ELi2ELin1ELNS0_23CUDAHistogramMemoryTypeE0EZNS0_21CUDA_tensor_histogramIhhLb0EEEbNS_6TensorES4_S4_lNS_14AccumulateTypeIT0_Lb1EE4typeES8_NS0_13TensorArgTypeES9_S9_EUllE_EEvNS0_6detail10TensorInfoIT_T1_EESF_NSC_IKS6_SE_EElS8_S8_SE_T6_, .Lfunc_end60-_ZN2at4cuda17kernelHistogram1DIhhlLi1ELi2ELin1ELNS0_23CUDAHistogramMemoryTypeE0EZNS0_21CUDA_tensor_histogramIhhLb0EEEbNS_6TensorES4_S4_lNS_14AccumulateTypeIT0_Lb1EE4typeES8_NS0_13TensorArgTypeES9_S9_EUllE_EEvNS0_6detail10TensorInfoIT_T1_EESF_NSC_IKS6_SE_EElS8_S8_SE_T6_
                                        ; -- End function
	.set _ZN2at4cuda17kernelHistogram1DIhhlLi1ELi2ELin1ELNS0_23CUDAHistogramMemoryTypeE0EZNS0_21CUDA_tensor_histogramIhhLb0EEEbNS_6TensorES4_S4_lNS_14AccumulateTypeIT0_Lb1EE4typeES8_NS0_13TensorArgTypeES9_S9_EUllE_EEvNS0_6detail10TensorInfoIT_T1_EESF_NSC_IKS6_SE_EElS8_S8_SE_T6_.num_vgpr, 28
	.set _ZN2at4cuda17kernelHistogram1DIhhlLi1ELi2ELin1ELNS0_23CUDAHistogramMemoryTypeE0EZNS0_21CUDA_tensor_histogramIhhLb0EEEbNS_6TensorES4_S4_lNS_14AccumulateTypeIT0_Lb1EE4typeES8_NS0_13TensorArgTypeES9_S9_EUllE_EEvNS0_6detail10TensorInfoIT_T1_EESF_NSC_IKS6_SE_EElS8_S8_SE_T6_.num_agpr, 0
	.set _ZN2at4cuda17kernelHistogram1DIhhlLi1ELi2ELin1ELNS0_23CUDAHistogramMemoryTypeE0EZNS0_21CUDA_tensor_histogramIhhLb0EEEbNS_6TensorES4_S4_lNS_14AccumulateTypeIT0_Lb1EE4typeES8_NS0_13TensorArgTypeES9_S9_EUllE_EEvNS0_6detail10TensorInfoIT_T1_EESF_NSC_IKS6_SE_EElS8_S8_SE_T6_.numbered_sgpr, 57
	.set _ZN2at4cuda17kernelHistogram1DIhhlLi1ELi2ELin1ELNS0_23CUDAHistogramMemoryTypeE0EZNS0_21CUDA_tensor_histogramIhhLb0EEEbNS_6TensorES4_S4_lNS_14AccumulateTypeIT0_Lb1EE4typeES8_NS0_13TensorArgTypeES9_S9_EUllE_EEvNS0_6detail10TensorInfoIT_T1_EESF_NSC_IKS6_SE_EElS8_S8_SE_T6_.num_named_barrier, 0
	.set _ZN2at4cuda17kernelHistogram1DIhhlLi1ELi2ELin1ELNS0_23CUDAHistogramMemoryTypeE0EZNS0_21CUDA_tensor_histogramIhhLb0EEEbNS_6TensorES4_S4_lNS_14AccumulateTypeIT0_Lb1EE4typeES8_NS0_13TensorArgTypeES9_S9_EUllE_EEvNS0_6detail10TensorInfoIT_T1_EESF_NSC_IKS6_SE_EElS8_S8_SE_T6_.private_seg_size, 0
	.set _ZN2at4cuda17kernelHistogram1DIhhlLi1ELi2ELin1ELNS0_23CUDAHistogramMemoryTypeE0EZNS0_21CUDA_tensor_histogramIhhLb0EEEbNS_6TensorES4_S4_lNS_14AccumulateTypeIT0_Lb1EE4typeES8_NS0_13TensorArgTypeES9_S9_EUllE_EEvNS0_6detail10TensorInfoIT_T1_EESF_NSC_IKS6_SE_EElS8_S8_SE_T6_.uses_vcc, 1
	.set _ZN2at4cuda17kernelHistogram1DIhhlLi1ELi2ELin1ELNS0_23CUDAHistogramMemoryTypeE0EZNS0_21CUDA_tensor_histogramIhhLb0EEEbNS_6TensorES4_S4_lNS_14AccumulateTypeIT0_Lb1EE4typeES8_NS0_13TensorArgTypeES9_S9_EUllE_EEvNS0_6detail10TensorInfoIT_T1_EESF_NSC_IKS6_SE_EElS8_S8_SE_T6_.uses_flat_scratch, 0
	.set _ZN2at4cuda17kernelHistogram1DIhhlLi1ELi2ELin1ELNS0_23CUDAHistogramMemoryTypeE0EZNS0_21CUDA_tensor_histogramIhhLb0EEEbNS_6TensorES4_S4_lNS_14AccumulateTypeIT0_Lb1EE4typeES8_NS0_13TensorArgTypeES9_S9_EUllE_EEvNS0_6detail10TensorInfoIT_T1_EESF_NSC_IKS6_SE_EElS8_S8_SE_T6_.has_dyn_sized_stack, 0
	.set _ZN2at4cuda17kernelHistogram1DIhhlLi1ELi2ELin1ELNS0_23CUDAHistogramMemoryTypeE0EZNS0_21CUDA_tensor_histogramIhhLb0EEEbNS_6TensorES4_S4_lNS_14AccumulateTypeIT0_Lb1EE4typeES8_NS0_13TensorArgTypeES9_S9_EUllE_EEvNS0_6detail10TensorInfoIT_T1_EESF_NSC_IKS6_SE_EElS8_S8_SE_T6_.has_recursion, 0
	.set _ZN2at4cuda17kernelHistogram1DIhhlLi1ELi2ELin1ELNS0_23CUDAHistogramMemoryTypeE0EZNS0_21CUDA_tensor_histogramIhhLb0EEEbNS_6TensorES4_S4_lNS_14AccumulateTypeIT0_Lb1EE4typeES8_NS0_13TensorArgTypeES9_S9_EUllE_EEvNS0_6detail10TensorInfoIT_T1_EESF_NSC_IKS6_SE_EElS8_S8_SE_T6_.has_indirect_call, 0
	.section	.AMDGPU.csdata,"",@progbits
; Kernel info:
; codeLenInByte = 2816
; TotalNumSgprs: 59
; NumVgprs: 28
; ScratchSize: 0
; MemoryBound: 0
; FloatMode: 240
; IeeeMode: 1
; LDSByteSize: 0 bytes/workgroup (compile time only)
; SGPRBlocks: 0
; VGPRBlocks: 1
; NumSGPRsForWavesPerEU: 59
; NumVGPRsForWavesPerEU: 28
; NamedBarCnt: 0
; Occupancy: 16
; WaveLimiterHint : 1
; COMPUTE_PGM_RSRC2:SCRATCH_EN: 0
; COMPUTE_PGM_RSRC2:USER_SGPR: 2
; COMPUTE_PGM_RSRC2:TRAP_HANDLER: 0
; COMPUTE_PGM_RSRC2:TGID_X_EN: 1
; COMPUTE_PGM_RSRC2:TGID_Y_EN: 0
; COMPUTE_PGM_RSRC2:TGID_Z_EN: 0
; COMPUTE_PGM_RSRC2:TIDIG_COMP_CNT: 0
	.section	.text._ZN2at4cuda17kernelHistogram1DIhhlLi1ELi2ELin1ELNS0_23CUDAHistogramMemoryTypeE1EZNS0_21CUDA_tensor_histogramIhhLb0EEEbNS_6TensorES4_S4_lNS_14AccumulateTypeIT0_Lb1EE4typeES8_NS0_13TensorArgTypeES9_S9_EUllE_EEvNS0_6detail10TensorInfoIT_T1_EESF_NSC_IKS6_SE_EElS8_S8_SE_T6_,"axG",@progbits,_ZN2at4cuda17kernelHistogram1DIhhlLi1ELi2ELin1ELNS0_23CUDAHistogramMemoryTypeE1EZNS0_21CUDA_tensor_histogramIhhLb0EEEbNS_6TensorES4_S4_lNS_14AccumulateTypeIT0_Lb1EE4typeES8_NS0_13TensorArgTypeES9_S9_EUllE_EEvNS0_6detail10TensorInfoIT_T1_EESF_NSC_IKS6_SE_EElS8_S8_SE_T6_,comdat
	.protected	_ZN2at4cuda17kernelHistogram1DIhhlLi1ELi2ELin1ELNS0_23CUDAHistogramMemoryTypeE1EZNS0_21CUDA_tensor_histogramIhhLb0EEEbNS_6TensorES4_S4_lNS_14AccumulateTypeIT0_Lb1EE4typeES8_NS0_13TensorArgTypeES9_S9_EUllE_EEvNS0_6detail10TensorInfoIT_T1_EESF_NSC_IKS6_SE_EElS8_S8_SE_T6_ ; -- Begin function _ZN2at4cuda17kernelHistogram1DIhhlLi1ELi2ELin1ELNS0_23CUDAHistogramMemoryTypeE1EZNS0_21CUDA_tensor_histogramIhhLb0EEEbNS_6TensorES4_S4_lNS_14AccumulateTypeIT0_Lb1EE4typeES8_NS0_13TensorArgTypeES9_S9_EUllE_EEvNS0_6detail10TensorInfoIT_T1_EESF_NSC_IKS6_SE_EElS8_S8_SE_T6_
	.globl	_ZN2at4cuda17kernelHistogram1DIhhlLi1ELi2ELin1ELNS0_23CUDAHistogramMemoryTypeE1EZNS0_21CUDA_tensor_histogramIhhLb0EEEbNS_6TensorES4_S4_lNS_14AccumulateTypeIT0_Lb1EE4typeES8_NS0_13TensorArgTypeES9_S9_EUllE_EEvNS0_6detail10TensorInfoIT_T1_EESF_NSC_IKS6_SE_EElS8_S8_SE_T6_
	.p2align	8
	.type	_ZN2at4cuda17kernelHistogram1DIhhlLi1ELi2ELin1ELNS0_23CUDAHistogramMemoryTypeE1EZNS0_21CUDA_tensor_histogramIhhLb0EEEbNS_6TensorES4_S4_lNS_14AccumulateTypeIT0_Lb1EE4typeES8_NS0_13TensorArgTypeES9_S9_EUllE_EEvNS0_6detail10TensorInfoIT_T1_EESF_NSC_IKS6_SE_EElS8_S8_SE_T6_,@function
_ZN2at4cuda17kernelHistogram1DIhhlLi1ELi2ELin1ELNS0_23CUDAHistogramMemoryTypeE1EZNS0_21CUDA_tensor_histogramIhhLb0EEEbNS_6TensorES4_S4_lNS_14AccumulateTypeIT0_Lb1EE4typeES8_NS0_13TensorArgTypeES9_S9_EUllE_EEvNS0_6detail10TensorInfoIT_T1_EESF_NSC_IKS6_SE_EElS8_S8_SE_T6_: ; @_ZN2at4cuda17kernelHistogram1DIhhlLi1ELi2ELin1ELNS0_23CUDAHistogramMemoryTypeE1EZNS0_21CUDA_tensor_histogramIhhLb0EEEbNS_6TensorES4_S4_lNS_14AccumulateTypeIT0_Lb1EE4typeES8_NS0_13TensorArgTypeES9_S9_EUllE_EEvNS0_6detail10TensorInfoIT_T1_EESF_NSC_IKS6_SE_EElS8_S8_SE_T6_
; %bb.0:
	s_load_b32 s2, s[0:1], 0x6ac
	s_bfe_u32 s12, ttmp6, 0x4000c
	s_load_b256 s[4:11], s[0:1], 0x4e0
	s_add_co_i32 s12, s12, 1
	s_and_b32 s3, ttmp6, 15
	s_mul_i32 s12, ttmp9, s12
	s_getreg_b32 s13, hwreg(HW_REG_IB_STS2, 6, 4)
	s_add_co_i32 s3, s3, s12
	v_mov_b32_e32 v2, 0
	s_mov_b32 s12, exec_lo
	s_delay_alu instid0(VALU_DEP_1) | instskip(SKIP_4) | instid1(SALU_CYCLE_1)
	v_mov_b32_e32 v1, v2
	s_wait_kmcnt 0x0
	s_and_b32 s2, s2, 0xffff
	s_cmp_eq_u32 s13, 0
	s_cselect_b32 s3, ttmp9, s3
	v_mad_u32 v0, s3, s2, v0
	s_mov_b32 s3, 0
	s_delay_alu instid0(VALU_DEP_1)
	v_cmpx_gt_i64_e64 s[10:11], v[0:1]
	s_cbranch_execz .LBB61_17
; %bb.1:
	s_clause 0x1
	s_load_b64 s[12:13], s[0:1], 0x5d0
	s_load_b32 s33, s[0:1], 0x4d8
	s_add_nc_u64 s[24:25], s[0:1], 0x6a0
	s_load_b32 s26, s[24:25], 0x0
	s_clause 0x4
	s_load_b64 s[14:15], s[0:1], 0x500
	s_load_b64 s[16:17], s[0:1], 0x0
	;; [unrolled: 1-line block ×5, first 2 shown]
	s_add_nc_u64 s[30:31], s[0:1], 0x340
	s_wait_xcnt 0x0
	s_sub_nc_u64 s[24:25], s[8:9], s[6:7]
	s_mov_b32 s27, s3
	s_mov_b64 s[28:29], 0xffffffff
	s_mov_b32 s44, 0
	s_wait_kmcnt 0x0
	s_mul_i32 s26, s26, s2
	s_cmp_gt_i32 s33, 1
	s_cselect_b32 s1, -1, 0
	s_add_co_i32 s2, s33, -1
	s_add_co_i32 s33, s33, 1
	s_lshl_b64 s[34:35], s[2:3], 3
	s_delay_alu instid0(SALU_CYCLE_1)
	s_add_nc_u64 s[34:35], s[30:31], s[34:35]
	s_ashr_i32 s30, s25, 31
	s_add_nc_u64 s[34:35], s[34:35], 8
	s_branch .LBB61_3
.LBB61_2:                               ;   in Loop: Header=BB61_3 Depth=1
	s_or_b32 exec_lo, exec_lo, s38
	v_add_nc_u64_e32 v[0:1], s[26:27], v[0:1]
	s_delay_alu instid0(VALU_DEP_1) | instskip(SKIP_1) | instid1(SALU_CYCLE_1)
	v_cmp_le_i64_e32 vcc_lo, s[10:11], v[0:1]
	s_or_b32 s44, vcc_lo, s44
	s_and_not1_b32 exec_lo, exec_lo, s44
	s_cbranch_execz .LBB61_17
.LBB61_3:                               ; =>This Loop Header: Depth=1
                                        ;     Child Loop BB61_4 Depth 2
                                        ;     Child Loop BB61_16 Depth 2
	v_mov_b64_e32 v[4:5], 0
	v_mov_b64_e32 v[6:7], v[0:1]
	;; [unrolled: 1-line block ×3, first 2 shown]
	s_and_not1_b32 vcc_lo, exec_lo, s1
	s_mov_b64 s[36:37], s[34:35]
	s_mov_b32 s31, s33
	s_cbranch_vccnz .LBB61_10
.LBB61_4:                               ;   Parent Loop BB61_3 Depth=1
                                        ; =>  This Inner Loop Header: Depth=2
	s_load_b64 s[38:39], s[36:37], 0x0
                                        ; implicit-def: $vgpr8_vgpr9
	s_mov_b32 s0, exec_lo
	s_wait_kmcnt 0x0
	s_delay_alu instid0(VALU_DEP_1) | instskip(NEXT) | instid1(VALU_DEP_1)
	v_or_b32_e32 v3, s39, v7
	v_cmpx_ne_u64_e32 0, v[2:3]
	s_xor_b32 s45, exec_lo, s0
	s_cbranch_execz .LBB61_6
; %bb.5:                                ;   in Loop: Header=BB61_4 Depth=2
	s_ashr_i32 s40, s39, 31
	v_dual_mov_b32 v13, v2 :: v_dual_ashrrev_i32 v8, 31, v7
	s_mov_b32 s41, s40
	s_delay_alu instid0(SALU_CYCLE_1) | instskip(NEXT) | instid1(VALU_DEP_1)
	s_add_nc_u64 s[42:43], s[38:39], s[40:41]
	v_mov_b32_e32 v9, v8
	s_xor_b64 s[42:43], s[42:43], s[40:41]
	s_delay_alu instid0(SALU_CYCLE_1)
	s_cvt_f32_u32 s0, s42
	s_cvt_f32_u32 s2, s43
	s_sub_nc_u64 s[48:49], 0, s[42:43]
	v_add_nc_u64_e32 v[10:11], v[6:7], v[8:9]
	v_mov_b32_e32 v17, v2
	s_fmamk_f32 s0, s2, 0x4f800000, s0
	s_delay_alu instid0(SALU_CYCLE_3) | instskip(NEXT) | instid1(VALU_DEP_2)
	v_s_rcp_f32 s0, s0
	v_xor_b32_e32 v12, v10, v8
	s_delay_alu instid0(VALU_DEP_3) | instskip(SKIP_1) | instid1(TRANS32_DEP_1)
	v_dual_mov_b32 v21, v2 :: v_dual_bitop2_b32 v16, v11, v8 bitop3:0x14
	v_xor_b32_e32 v8, s40, v8
	s_mul_f32 s0, s0, 0x5f7ffffc
	s_delay_alu instid0(SALU_CYCLE_3) | instskip(NEXT) | instid1(SALU_CYCLE_3)
	s_mul_f32 s2, s0, 0x2f800000
	s_trunc_f32 s2, s2
	s_delay_alu instid0(SALU_CYCLE_3) | instskip(SKIP_1) | instid1(SALU_CYCLE_2)
	s_fmamk_f32 s0, s2, 0xcf800000, s0
	s_cvt_u32_f32 s47, s2
	s_cvt_u32_f32 s46, s0
	s_delay_alu instid0(SALU_CYCLE_3) | instskip(NEXT) | instid1(SALU_CYCLE_1)
	s_mul_u64 s[50:51], s[48:49], s[46:47]
	s_mul_hi_u32 s53, s46, s51
	s_mul_i32 s52, s46, s51
	s_mul_hi_u32 s2, s46, s50
	s_mul_i32 s41, s47, s50
	s_add_nc_u64 s[52:53], s[2:3], s[52:53]
	s_mul_hi_u32 s0, s47, s50
	s_mul_hi_u32 s54, s47, s51
	s_add_co_u32 s2, s52, s41
	s_add_co_ci_u32 s2, s53, s0
	s_mul_i32 s50, s47, s51
	s_add_co_ci_u32 s51, s54, 0
	s_delay_alu instid0(SALU_CYCLE_1) | instskip(NEXT) | instid1(SALU_CYCLE_1)
	s_add_nc_u64 s[50:51], s[2:3], s[50:51]
	s_add_co_u32 s46, s46, s50
	s_cselect_b32 s0, -1, 0
	s_delay_alu instid0(SALU_CYCLE_1) | instskip(SKIP_1) | instid1(SALU_CYCLE_1)
	s_cmp_lg_u32 s0, 0
	s_add_co_ci_u32 s47, s47, s51
	s_mul_u64 s[48:49], s[48:49], s[46:47]
	s_delay_alu instid0(SALU_CYCLE_1)
	s_mul_hi_u32 s51, s46, s49
	s_mul_i32 s50, s46, s49
	s_mul_hi_u32 s2, s46, s48
	s_mul_i32 s41, s47, s48
	s_add_nc_u64 s[50:51], s[2:3], s[50:51]
	s_mul_hi_u32 s0, s47, s48
	s_mul_hi_u32 s52, s47, s49
	s_add_co_u32 s2, s50, s41
	s_add_co_ci_u32 s2, s51, s0
	s_mul_i32 s48, s47, s49
	s_add_co_ci_u32 s49, s52, 0
	s_delay_alu instid0(SALU_CYCLE_1) | instskip(NEXT) | instid1(SALU_CYCLE_1)
	s_add_nc_u64 s[48:49], s[2:3], s[48:49]
	s_add_co_u32 s0, s46, s48
	s_cselect_b32 s2, -1, 0
	v_mul_hi_u32 v20, v12, s0
	s_cmp_lg_u32 s2, 0
	s_add_co_ci_u32 s2, s47, s49
	s_and_b64 s[46:47], s[0:1], s[28:29]
	v_mul_u64_e32 v[14:15], s[2:3], v[12:13]
	v_mul_u64_e32 v[10:11], s[46:47], v[16:17]
	;; [unrolled: 1-line block ×3, first 2 shown]
	s_delay_alu instid0(VALU_DEP_3) | instskip(NEXT) | instid1(VALU_DEP_1)
	v_add_nc_u64_e32 v[14:15], v[20:21], v[14:15]
	v_add_co_u32 v3, vcc_lo, v14, v10
	s_delay_alu instid0(VALU_DEP_2) | instskip(NEXT) | instid1(VALU_DEP_4)
	v_add_co_ci_u32_e32 v20, vcc_lo, v15, v11, vcc_lo
	v_add_co_ci_u32_e32 v19, vcc_lo, 0, v19, vcc_lo
	s_delay_alu instid0(VALU_DEP_1) | instskip(NEXT) | instid1(VALU_DEP_1)
	v_add_nc_u64_e32 v[10:11], v[20:21], v[18:19]
	v_mul_u64_e32 v[14:15], s[42:43], v[10:11]
	s_delay_alu instid0(VALU_DEP_1) | instskip(NEXT) | instid1(VALU_DEP_2)
	v_sub_nc_u32_e32 v3, v16, v15
	v_sub_co_u32 v9, vcc_lo, v12, v14
	s_delay_alu instid0(VALU_DEP_1) | instskip(NEXT) | instid1(VALU_DEP_3)
	v_sub_co_ci_u32_e64 v16, null, v16, v15, vcc_lo
	v_subrev_co_ci_u32_e64 v3, null, s43, v3, vcc_lo
	s_delay_alu instid0(VALU_DEP_3) | instskip(SKIP_1) | instid1(VALU_DEP_3)
	v_sub_co_u32 v12, s0, v9, s42
	v_add_nc_u64_e32 v[14:15], 1, v[10:11]
	v_subrev_co_ci_u32_e64 v3, null, 0, v3, s0
	s_delay_alu instid0(VALU_DEP_3) | instskip(SKIP_1) | instid1(VALU_DEP_3)
	v_cmp_le_u32_e32 vcc_lo, s42, v12
	v_cndmask_b32_e64 v12, 0, -1, vcc_lo
	v_cmp_le_u32_e32 vcc_lo, s43, v3
	v_cndmask_b32_e64 v13, 0, -1, vcc_lo
	;; [unrolled: 2-line block ×4, first 2 shown]
	v_cmp_eq_u32_e32 vcc_lo, s43, v3
	v_cndmask_b32_e32 v3, v13, v12, vcc_lo
	v_cmp_eq_u32_e32 vcc_lo, s43, v16
	v_add_nc_u64_e32 v[12:13], 2, v[10:11]
	v_cndmask_b32_e32 v9, v17, v9, vcc_lo
	s_delay_alu instid0(VALU_DEP_4) | instskip(NEXT) | instid1(VALU_DEP_2)
	v_cmp_ne_u32_e32 vcc_lo, 0, v3
	v_cmp_ne_u32_e64 s0, 0, v9
	s_delay_alu instid0(VALU_DEP_4) | instskip(NEXT) | instid1(VALU_DEP_1)
	v_dual_cndmask_b32 v3, v15, v13, vcc_lo :: v_dual_cndmask_b32 v9, v14, v12, vcc_lo
	v_dual_cndmask_b32 v10, v10, v9, s0 :: v_dual_mov_b32 v9, v8
	s_delay_alu instid0(VALU_DEP_1) | instskip(NEXT) | instid1(VALU_DEP_1)
	v_dual_cndmask_b32 v3, v11, v3, s0 :: v_dual_bitop2_b32 v10, v10, v8 bitop3:0x14
	v_xor_b32_e32 v11, v3, v8
	s_delay_alu instid0(VALU_DEP_1)
	v_sub_nc_u64_e32 v[8:9], v[10:11], v[8:9]
.LBB61_6:                               ;   in Loop: Header=BB61_4 Depth=2
	s_and_not1_saveexec_b32 s0, s45
	s_cbranch_execz .LBB61_8
; %bb.7:                                ;   in Loop: Header=BB61_4 Depth=2
	v_cvt_f32_u32_e32 v3, s38
	s_sub_co_i32 s2, 0, s38
	s_delay_alu instid0(VALU_DEP_1) | instskip(SKIP_1) | instid1(TRANS32_DEP_1)
	v_rcp_iflag_f32_e32 v3, v3
	v_nop
	v_mul_f32_e32 v3, 0x4f7ffffe, v3
	s_delay_alu instid0(VALU_DEP_1) | instskip(NEXT) | instid1(VALU_DEP_1)
	v_cvt_u32_f32_e32 v3, v3
	v_mul_lo_u32 v8, s2, v3
	s_delay_alu instid0(VALU_DEP_1) | instskip(NEXT) | instid1(VALU_DEP_1)
	v_mul_hi_u32 v8, v3, v8
	v_add_nc_u32_e32 v3, v3, v8
	s_delay_alu instid0(VALU_DEP_1) | instskip(NEXT) | instid1(VALU_DEP_1)
	v_mul_hi_u32 v3, v6, v3
	v_mul_lo_u32 v8, v3, s38
	s_delay_alu instid0(VALU_DEP_1) | instskip(NEXT) | instid1(VALU_DEP_1)
	v_dual_add_nc_u32 v9, 1, v3 :: v_dual_sub_nc_u32 v8, v6, v8
	v_subrev_nc_u32_e32 v10, s38, v8
	v_cmp_le_u32_e32 vcc_lo, s38, v8
	s_delay_alu instid0(VALU_DEP_2) | instskip(NEXT) | instid1(VALU_DEP_1)
	v_dual_cndmask_b32 v8, v8, v10 :: v_dual_cndmask_b32 v3, v3, v9
	v_cmp_le_u32_e32 vcc_lo, s38, v8
	s_delay_alu instid0(VALU_DEP_2) | instskip(NEXT) | instid1(VALU_DEP_1)
	v_add_nc_u32_e32 v9, 1, v3
	v_dual_cndmask_b32 v8, v3, v9 :: v_dual_mov_b32 v9, v2
.LBB61_8:                               ;   in Loop: Header=BB61_4 Depth=2
	s_or_b32 exec_lo, exec_lo, s0
	s_delay_alu instid0(VALU_DEP_1)
	v_mul_u64_e32 v[10:11], s[38:39], v[8:9]
	s_load_b64 s[38:39], s[36:37], 0xc8
	s_add_co_i32 s31, s31, -1
	s_wait_xcnt 0x0
	s_add_nc_u64 s[36:37], s[36:37], -8
	s_cmp_gt_u32 s31, 2
	s_delay_alu instid0(VALU_DEP_1) | instskip(SKIP_1) | instid1(VALU_DEP_1)
	v_sub_nc_u64_e32 v[6:7], v[6:7], v[10:11]
	s_wait_kmcnt 0x0
	v_mad_nc_u64_u32 v[4:5], s38, v6, v[4:5]
	s_delay_alu instid0(VALU_DEP_1) | instskip(NEXT) | instid1(VALU_DEP_1)
	v_mad_u32 v3, s39, v6, v5
	v_mad_u32 v5, s38, v7, v3
	s_cbranch_scc0 .LBB61_10
; %bb.9:                                ;   in Loop: Header=BB61_4 Depth=2
	v_mov_b64_e32 v[6:7], v[8:9]
	s_branch .LBB61_4
.LBB61_10:                              ;   in Loop: Header=BB61_3 Depth=1
	s_delay_alu instid0(VALU_DEP_1) | instskip(NEXT) | instid1(VALU_DEP_1)
	v_mad_nc_u64_u32 v[6:7], s20, v8, s[22:23]
	v_mad_u32 v3, s21, v8, v7
	s_delay_alu instid0(VALU_DEP_1) | instskip(NEXT) | instid1(VALU_DEP_1)
	v_mad_u32 v7, s20, v9, v3
	v_add_nc_u64_e32 v[4:5], v[6:7], v[4:5]
	global_load_u8 v3, v[4:5], off
	s_wait_xcnt 0x0
	v_mov_b32_e32 v5, s3
	s_wait_loadcnt 0x0
	v_and_b32_e32 v4, 0xffff, v3
	s_delay_alu instid0(VALU_DEP_1) | instskip(SKIP_2) | instid1(SALU_CYCLE_1)
	v_cmp_le_i64_e32 vcc_lo, s[6:7], v[4:5]
	v_cmp_ge_i64_e64 s0, s[8:9], v[4:5]
	s_and_b32 s0, vcc_lo, s0
	s_and_saveexec_b32 s38, s0
	s_cbranch_execz .LBB61_2
; %bb.11:                               ;   in Loop: Header=BB61_3 Depth=1
	v_sub_nc_u64_e64 v[4:5], v[4:5], s[6:7]
                                        ; implicit-def: $vgpr6_vgpr7
	s_mov_b32 s0, exec_lo
	s_delay_alu instid0(VALU_DEP_1) | instskip(NEXT) | instid1(VALU_DEP_1)
	v_mul_u64_e32 v[4:5], s[4:5], v[4:5]
	v_or_b32_e32 v3, s25, v5
	s_delay_alu instid0(VALU_DEP_1)
	v_cmpx_ne_u64_e32 0, v[2:3]
	s_xor_b32 s39, exec_lo, s0
	s_cbranch_execz .LBB61_13
; %bb.12:                               ;   in Loop: Header=BB61_3 Depth=1
	s_mov_b32 s31, s30
	v_dual_mov_b32 v9, v2 :: v_dual_ashrrev_i32 v6, 31, v5
	s_add_nc_u64 s[36:37], s[24:25], s[30:31]
	s_delay_alu instid0(SALU_CYCLE_1) | instskip(NEXT) | instid1(VALU_DEP_1)
	s_xor_b64 s[36:37], s[36:37], s[30:31]
	v_mov_b32_e32 v7, v6
	s_cvt_f32_u32 s0, s36
	s_cvt_f32_u32 s2, s37
	s_sub_nc_u64 s[42:43], 0, s[36:37]
	s_delay_alu instid0(VALU_DEP_1) | instskip(NEXT) | instid1(SALU_CYCLE_1)
	v_add_nc_u64_e32 v[4:5], v[4:5], v[6:7]
	s_fmamk_f32 s0, s2, 0x4f800000, s0
	v_mov_b32_e32 v13, v2
	s_delay_alu instid0(SALU_CYCLE_2) | instskip(NEXT) | instid1(VALU_DEP_2)
	v_s_rcp_f32 s0, s0
	v_xor_b32_e32 v8, v4, v6
	s_delay_alu instid0(VALU_DEP_3) | instskip(NEXT) | instid1(TRANS32_DEP_1)
	v_dual_mov_b32 v17, v2 :: v_dual_bitop2_b32 v12, v5, v6 bitop3:0x14
	s_mul_f32 s0, s0, 0x5f7ffffc
	s_delay_alu instid0(SALU_CYCLE_3) | instskip(NEXT) | instid1(SALU_CYCLE_3)
	s_mul_f32 s2, s0, 0x2f800000
	s_trunc_f32 s2, s2
	s_delay_alu instid0(SALU_CYCLE_3) | instskip(SKIP_1) | instid1(SALU_CYCLE_2)
	s_fmamk_f32 s0, s2, 0xcf800000, s0
	s_cvt_u32_f32 s41, s2
	s_cvt_u32_f32 s40, s0
	s_delay_alu instid0(SALU_CYCLE_3) | instskip(NEXT) | instid1(SALU_CYCLE_1)
	s_mul_u64 s[46:47], s[42:43], s[40:41]
	s_mul_hi_u32 s49, s40, s47
	s_mul_i32 s48, s40, s47
	s_mul_hi_u32 s2, s40, s46
	s_mul_i32 s31, s41, s46
	s_add_nc_u64 s[48:49], s[2:3], s[48:49]
	s_mul_hi_u32 s0, s41, s46
	s_mul_hi_u32 s45, s41, s47
	s_add_co_u32 s2, s48, s31
	s_add_co_ci_u32 s2, s49, s0
	s_mul_i32 s46, s41, s47
	s_add_co_ci_u32 s47, s45, 0
	s_delay_alu instid0(SALU_CYCLE_1) | instskip(NEXT) | instid1(SALU_CYCLE_1)
	s_add_nc_u64 s[46:47], s[2:3], s[46:47]
	s_add_co_u32 s40, s40, s46
	s_cselect_b32 s0, -1, 0
	s_delay_alu instid0(SALU_CYCLE_1) | instskip(SKIP_1) | instid1(SALU_CYCLE_1)
	s_cmp_lg_u32 s0, 0
	s_add_co_ci_u32 s41, s41, s47
	s_mul_u64 s[42:43], s[42:43], s[40:41]
	s_delay_alu instid0(SALU_CYCLE_1)
	s_mul_hi_u32 s47, s40, s43
	s_mul_i32 s46, s40, s43
	s_mul_hi_u32 s2, s40, s42
	s_mul_i32 s31, s41, s42
	s_add_nc_u64 s[46:47], s[2:3], s[46:47]
	s_mul_hi_u32 s0, s41, s42
	s_mul_hi_u32 s45, s41, s43
	s_add_co_u32 s2, s46, s31
	s_add_co_ci_u32 s2, s47, s0
	s_mul_i32 s42, s41, s43
	s_add_co_ci_u32 s43, s45, 0
	s_delay_alu instid0(SALU_CYCLE_1) | instskip(NEXT) | instid1(SALU_CYCLE_1)
	s_add_nc_u64 s[42:43], s[2:3], s[42:43]
	s_add_co_u32 s0, s40, s42
	s_cselect_b32 s2, -1, 0
	v_mul_hi_u32 v16, v8, s0
	s_cmp_lg_u32 s2, 0
	s_add_co_ci_u32 s2, s41, s43
	s_and_b64 s[40:41], s[0:1], s[28:29]
	v_mul_u64_e32 v[10:11], s[2:3], v[8:9]
	v_mul_u64_e32 v[4:5], s[40:41], v[12:13]
	;; [unrolled: 1-line block ×3, first 2 shown]
	s_delay_alu instid0(VALU_DEP_3) | instskip(NEXT) | instid1(VALU_DEP_1)
	v_add_nc_u64_e32 v[10:11], v[16:17], v[10:11]
	v_add_co_u32 v3, vcc_lo, v10, v4
	s_delay_alu instid0(VALU_DEP_2) | instskip(NEXT) | instid1(VALU_DEP_4)
	v_add_co_ci_u32_e32 v16, vcc_lo, v11, v5, vcc_lo
	v_add_co_ci_u32_e32 v15, vcc_lo, 0, v15, vcc_lo
	s_delay_alu instid0(VALU_DEP_1) | instskip(NEXT) | instid1(VALU_DEP_1)
	v_add_nc_u64_e32 v[4:5], v[16:17], v[14:15]
	v_mul_u64_e32 v[10:11], s[36:37], v[4:5]
	s_delay_alu instid0(VALU_DEP_1) | instskip(NEXT) | instid1(VALU_DEP_2)
	v_sub_nc_u32_e32 v3, v12, v11
	v_sub_co_u32 v7, vcc_lo, v8, v10
	s_delay_alu instid0(VALU_DEP_1) | instskip(NEXT) | instid1(VALU_DEP_3)
	v_sub_co_ci_u32_e64 v12, null, v12, v11, vcc_lo
	v_subrev_co_ci_u32_e64 v3, null, s37, v3, vcc_lo
	s_delay_alu instid0(VALU_DEP_3) | instskip(SKIP_1) | instid1(VALU_DEP_3)
	v_sub_co_u32 v8, s0, v7, s36
	v_add_nc_u64_e32 v[10:11], 1, v[4:5]
	v_subrev_co_ci_u32_e64 v3, null, 0, v3, s0
	s_delay_alu instid0(VALU_DEP_3) | instskip(SKIP_1) | instid1(VALU_DEP_3)
	v_cmp_le_u32_e32 vcc_lo, s36, v8
	v_cndmask_b32_e64 v8, 0, -1, vcc_lo
	v_cmp_le_u32_e32 vcc_lo, s37, v3
	v_cndmask_b32_e64 v9, 0, -1, vcc_lo
	;; [unrolled: 2-line block ×4, first 2 shown]
	v_cmp_eq_u32_e32 vcc_lo, s37, v3
	v_cndmask_b32_e32 v3, v9, v8, vcc_lo
	v_cmp_eq_u32_e32 vcc_lo, s37, v12
	v_add_nc_u64_e32 v[8:9], 2, v[4:5]
	v_cndmask_b32_e32 v7, v13, v7, vcc_lo
	s_delay_alu instid0(VALU_DEP_4) | instskip(NEXT) | instid1(VALU_DEP_3)
	v_cmp_ne_u32_e32 vcc_lo, 0, v3
	v_cndmask_b32_e32 v3, v11, v9, vcc_lo
	s_delay_alu instid0(VALU_DEP_3) | instskip(SKIP_1) | instid1(VALU_DEP_2)
	v_cmp_ne_u32_e64 s0, 0, v7
	v_dual_cndmask_b32 v7, v10, v8, vcc_lo :: v_dual_bitop2_b32 v6, s30, v6 bitop3:0x14
	v_cndmask_b32_e64 v3, v5, v3, s0
	s_delay_alu instid0(VALU_DEP_2) | instskip(NEXT) | instid1(VALU_DEP_2)
	v_dual_cndmask_b32 v4, v4, v7, s0 :: v_dual_mov_b32 v7, v6
	v_xor_b32_e32 v5, v3, v6
	s_delay_alu instid0(VALU_DEP_2) | instskip(NEXT) | instid1(VALU_DEP_1)
	v_xor_b32_e32 v4, v4, v6
	v_sub_nc_u64_e32 v[6:7], v[4:5], v[6:7]
                                        ; implicit-def: $vgpr4_vgpr5
.LBB61_13:                              ;   in Loop: Header=BB61_3 Depth=1
	s_and_not1_saveexec_b32 s0, s39
	s_cbranch_execz .LBB61_15
; %bb.14:                               ;   in Loop: Header=BB61_3 Depth=1
	v_cvt_f32_u32_e32 v3, s24
	s_sub_co_i32 s2, 0, s24
	s_delay_alu instid0(VALU_DEP_1) | instskip(SKIP_1) | instid1(TRANS32_DEP_1)
	v_rcp_iflag_f32_e32 v3, v3
	v_nop
	v_mul_f32_e32 v3, 0x4f7ffffe, v3
	s_delay_alu instid0(VALU_DEP_1) | instskip(NEXT) | instid1(VALU_DEP_1)
	v_cvt_u32_f32_e32 v3, v3
	v_mul_lo_u32 v5, s2, v3
	s_delay_alu instid0(VALU_DEP_1) | instskip(NEXT) | instid1(VALU_DEP_1)
	v_mul_hi_u32 v5, v3, v5
	v_add_nc_u32_e32 v3, v3, v5
	s_delay_alu instid0(VALU_DEP_1) | instskip(NEXT) | instid1(VALU_DEP_1)
	v_mul_hi_u32 v3, v4, v3
	v_mul_lo_u32 v5, v3, s24
	s_delay_alu instid0(VALU_DEP_1) | instskip(NEXT) | instid1(VALU_DEP_1)
	v_dual_sub_nc_u32 v4, v4, v5 :: v_dual_add_nc_u32 v5, 1, v3
	v_subrev_nc_u32_e32 v6, s24, v4
	v_cmp_le_u32_e32 vcc_lo, s24, v4
	s_delay_alu instid0(VALU_DEP_2) | instskip(NEXT) | instid1(VALU_DEP_1)
	v_dual_cndmask_b32 v4, v4, v6 :: v_dual_cndmask_b32 v3, v3, v5
	v_cmp_le_u32_e32 vcc_lo, s24, v4
	s_delay_alu instid0(VALU_DEP_2) | instskip(NEXT) | instid1(VALU_DEP_1)
	v_add_nc_u32_e32 v5, 1, v3
	v_cndmask_b32_e32 v6, v3, v5, vcc_lo
.LBB61_15:                              ;   in Loop: Header=BB61_3 Depth=1
	s_or_b32 exec_lo, exec_lo, s0
	s_delay_alu instid0(VALU_DEP_1) | instskip(SKIP_3) | instid1(VALU_DEP_3)
	v_dual_ashrrev_i32 v7, 31, v6 :: v_dual_mov_b32 v5, s3
	v_mad_nc_u64_u32 v[8:9], v0, s12, s[14:15]
	s_mov_b32 s0, 0
	v_mov_b32_e32 v11, v2
	v_cmp_eq_u64_e32 vcc_lo, s[4:5], v[6:7]
	v_cndmask_b32_e64 v4, 0, 1, vcc_lo
	s_delay_alu instid0(VALU_DEP_4) | instskip(NEXT) | instid1(VALU_DEP_2)
	v_mad_u32 v9, v1, s12, v9
	v_sub_nc_u64_e32 v[4:5], v[6:7], v[4:5]
	s_delay_alu instid0(VALU_DEP_1) | instskip(NEXT) | instid1(VALU_DEP_3)
	v_mad_nc_u64_u32 v[6:7], v4, s18, s[16:17]
	v_mad_u32 v9, v0, s13, v9
	s_delay_alu instid0(VALU_DEP_2) | instskip(NEXT) | instid1(VALU_DEP_3)
	v_mad_u32 v3, v5, s18, v7
	v_and_b32_e32 v10, 3, v6
	s_delay_alu instid0(VALU_DEP_2) | instskip(NEXT) | instid1(VALU_DEP_2)
	v_mad_u32 v7, v4, s19, v3
	v_sub_nc_u64_e32 v[4:5], 0, v[10:11]
	s_delay_alu instid0(VALU_DEP_1) | instskip(SKIP_4) | instid1(VALU_DEP_1)
	v_add_nc_u64_e32 v[4:5], v[6:7], v[4:5]
	global_load_u8 v3, v[8:9], off
	global_load_b32 v7, v[4:5], off
	s_wait_xcnt 0x1
	v_lshlrev_b32_e32 v8, 3, v10
	v_lshlrev_b32_e64 v6, v8, 0xff
	s_delay_alu instid0(VALU_DEP_1)
	v_not_b32_e32 v9, v6
.LBB61_16:                              ;   Parent Loop BB61_3 Depth=1
                                        ; =>  This Inner Loop Header: Depth=2
	s_wait_loadcnt 0x0
	s_delay_alu instid0(VALU_DEP_1) | instskip(NEXT) | instid1(VALU_DEP_1)
	v_dual_lshrrev_b32 v6, v8, v7 :: v_dual_bitop2_b32 v10, v7, v9 bitop3:0x40
	v_add_nc_u16 v6, v3, v6
	s_delay_alu instid0(VALU_DEP_1) | instskip(NEXT) | instid1(VALU_DEP_1)
	v_and_b32_e32 v6, 0xff, v6
	v_lshl_or_b32 v6, v6, v8, v10
	global_atomic_cmpswap_b32 v6, v[4:5], v[6:7], off th:TH_ATOMIC_RETURN scope:SCOPE_DEV
	s_wait_loadcnt 0x0
	v_cmp_eq_u32_e32 vcc_lo, v7, v6
	v_mov_b32_e32 v7, v6
	s_or_b32 s0, vcc_lo, s0
	s_delay_alu instid0(SALU_CYCLE_1)
	s_and_not1_b32 exec_lo, exec_lo, s0
	s_cbranch_execnz .LBB61_16
	s_branch .LBB61_2
.LBB61_17:
	s_endpgm
	.section	.rodata,"a",@progbits
	.p2align	6, 0x0
	.amdhsa_kernel _ZN2at4cuda17kernelHistogram1DIhhlLi1ELi2ELin1ELNS0_23CUDAHistogramMemoryTypeE1EZNS0_21CUDA_tensor_histogramIhhLb0EEEbNS_6TensorES4_S4_lNS_14AccumulateTypeIT0_Lb1EE4typeES8_NS0_13TensorArgTypeES9_S9_EUllE_EEvNS0_6detail10TensorInfoIT_T1_EESF_NSC_IKS6_SE_EElS8_S8_SE_T6_
		.amdhsa_group_segment_fixed_size 0
		.amdhsa_private_segment_fixed_size 0
		.amdhsa_kernarg_size 1952
		.amdhsa_user_sgpr_count 2
		.amdhsa_user_sgpr_dispatch_ptr 0
		.amdhsa_user_sgpr_queue_ptr 0
		.amdhsa_user_sgpr_kernarg_segment_ptr 1
		.amdhsa_user_sgpr_dispatch_id 0
		.amdhsa_user_sgpr_kernarg_preload_length 0
		.amdhsa_user_sgpr_kernarg_preload_offset 0
		.amdhsa_user_sgpr_private_segment_size 0
		.amdhsa_wavefront_size32 1
		.amdhsa_uses_dynamic_stack 0
		.amdhsa_enable_private_segment 0
		.amdhsa_system_sgpr_workgroup_id_x 1
		.amdhsa_system_sgpr_workgroup_id_y 0
		.amdhsa_system_sgpr_workgroup_id_z 0
		.amdhsa_system_sgpr_workgroup_info 0
		.amdhsa_system_vgpr_workitem_id 0
		.amdhsa_next_free_vgpr 22
		.amdhsa_next_free_sgpr 55
		.amdhsa_named_barrier_count 0
		.amdhsa_reserve_vcc 1
		.amdhsa_float_round_mode_32 0
		.amdhsa_float_round_mode_16_64 0
		.amdhsa_float_denorm_mode_32 3
		.amdhsa_float_denorm_mode_16_64 3
		.amdhsa_fp16_overflow 0
		.amdhsa_memory_ordered 1
		.amdhsa_forward_progress 1
		.amdhsa_inst_pref_size 18
		.amdhsa_round_robin_scheduling 0
		.amdhsa_exception_fp_ieee_invalid_op 0
		.amdhsa_exception_fp_denorm_src 0
		.amdhsa_exception_fp_ieee_div_zero 0
		.amdhsa_exception_fp_ieee_overflow 0
		.amdhsa_exception_fp_ieee_underflow 0
		.amdhsa_exception_fp_ieee_inexact 0
		.amdhsa_exception_int_div_zero 0
	.end_amdhsa_kernel
	.section	.text._ZN2at4cuda17kernelHistogram1DIhhlLi1ELi2ELin1ELNS0_23CUDAHistogramMemoryTypeE1EZNS0_21CUDA_tensor_histogramIhhLb0EEEbNS_6TensorES4_S4_lNS_14AccumulateTypeIT0_Lb1EE4typeES8_NS0_13TensorArgTypeES9_S9_EUllE_EEvNS0_6detail10TensorInfoIT_T1_EESF_NSC_IKS6_SE_EElS8_S8_SE_T6_,"axG",@progbits,_ZN2at4cuda17kernelHistogram1DIhhlLi1ELi2ELin1ELNS0_23CUDAHistogramMemoryTypeE1EZNS0_21CUDA_tensor_histogramIhhLb0EEEbNS_6TensorES4_S4_lNS_14AccumulateTypeIT0_Lb1EE4typeES8_NS0_13TensorArgTypeES9_S9_EUllE_EEvNS0_6detail10TensorInfoIT_T1_EESF_NSC_IKS6_SE_EElS8_S8_SE_T6_,comdat
.Lfunc_end61:
	.size	_ZN2at4cuda17kernelHistogram1DIhhlLi1ELi2ELin1ELNS0_23CUDAHistogramMemoryTypeE1EZNS0_21CUDA_tensor_histogramIhhLb0EEEbNS_6TensorES4_S4_lNS_14AccumulateTypeIT0_Lb1EE4typeES8_NS0_13TensorArgTypeES9_S9_EUllE_EEvNS0_6detail10TensorInfoIT_T1_EESF_NSC_IKS6_SE_EElS8_S8_SE_T6_, .Lfunc_end61-_ZN2at4cuda17kernelHistogram1DIhhlLi1ELi2ELin1ELNS0_23CUDAHistogramMemoryTypeE1EZNS0_21CUDA_tensor_histogramIhhLb0EEEbNS_6TensorES4_S4_lNS_14AccumulateTypeIT0_Lb1EE4typeES8_NS0_13TensorArgTypeES9_S9_EUllE_EEvNS0_6detail10TensorInfoIT_T1_EESF_NSC_IKS6_SE_EElS8_S8_SE_T6_
                                        ; -- End function
	.set _ZN2at4cuda17kernelHistogram1DIhhlLi1ELi2ELin1ELNS0_23CUDAHistogramMemoryTypeE1EZNS0_21CUDA_tensor_histogramIhhLb0EEEbNS_6TensorES4_S4_lNS_14AccumulateTypeIT0_Lb1EE4typeES8_NS0_13TensorArgTypeES9_S9_EUllE_EEvNS0_6detail10TensorInfoIT_T1_EESF_NSC_IKS6_SE_EElS8_S8_SE_T6_.num_vgpr, 22
	.set _ZN2at4cuda17kernelHistogram1DIhhlLi1ELi2ELin1ELNS0_23CUDAHistogramMemoryTypeE1EZNS0_21CUDA_tensor_histogramIhhLb0EEEbNS_6TensorES4_S4_lNS_14AccumulateTypeIT0_Lb1EE4typeES8_NS0_13TensorArgTypeES9_S9_EUllE_EEvNS0_6detail10TensorInfoIT_T1_EESF_NSC_IKS6_SE_EElS8_S8_SE_T6_.num_agpr, 0
	.set _ZN2at4cuda17kernelHistogram1DIhhlLi1ELi2ELin1ELNS0_23CUDAHistogramMemoryTypeE1EZNS0_21CUDA_tensor_histogramIhhLb0EEEbNS_6TensorES4_S4_lNS_14AccumulateTypeIT0_Lb1EE4typeES8_NS0_13TensorArgTypeES9_S9_EUllE_EEvNS0_6detail10TensorInfoIT_T1_EESF_NSC_IKS6_SE_EElS8_S8_SE_T6_.numbered_sgpr, 55
	.set _ZN2at4cuda17kernelHistogram1DIhhlLi1ELi2ELin1ELNS0_23CUDAHistogramMemoryTypeE1EZNS0_21CUDA_tensor_histogramIhhLb0EEEbNS_6TensorES4_S4_lNS_14AccumulateTypeIT0_Lb1EE4typeES8_NS0_13TensorArgTypeES9_S9_EUllE_EEvNS0_6detail10TensorInfoIT_T1_EESF_NSC_IKS6_SE_EElS8_S8_SE_T6_.num_named_barrier, 0
	.set _ZN2at4cuda17kernelHistogram1DIhhlLi1ELi2ELin1ELNS0_23CUDAHistogramMemoryTypeE1EZNS0_21CUDA_tensor_histogramIhhLb0EEEbNS_6TensorES4_S4_lNS_14AccumulateTypeIT0_Lb1EE4typeES8_NS0_13TensorArgTypeES9_S9_EUllE_EEvNS0_6detail10TensorInfoIT_T1_EESF_NSC_IKS6_SE_EElS8_S8_SE_T6_.private_seg_size, 0
	.set _ZN2at4cuda17kernelHistogram1DIhhlLi1ELi2ELin1ELNS0_23CUDAHistogramMemoryTypeE1EZNS0_21CUDA_tensor_histogramIhhLb0EEEbNS_6TensorES4_S4_lNS_14AccumulateTypeIT0_Lb1EE4typeES8_NS0_13TensorArgTypeES9_S9_EUllE_EEvNS0_6detail10TensorInfoIT_T1_EESF_NSC_IKS6_SE_EElS8_S8_SE_T6_.uses_vcc, 1
	.set _ZN2at4cuda17kernelHistogram1DIhhlLi1ELi2ELin1ELNS0_23CUDAHistogramMemoryTypeE1EZNS0_21CUDA_tensor_histogramIhhLb0EEEbNS_6TensorES4_S4_lNS_14AccumulateTypeIT0_Lb1EE4typeES8_NS0_13TensorArgTypeES9_S9_EUllE_EEvNS0_6detail10TensorInfoIT_T1_EESF_NSC_IKS6_SE_EElS8_S8_SE_T6_.uses_flat_scratch, 0
	.set _ZN2at4cuda17kernelHistogram1DIhhlLi1ELi2ELin1ELNS0_23CUDAHistogramMemoryTypeE1EZNS0_21CUDA_tensor_histogramIhhLb0EEEbNS_6TensorES4_S4_lNS_14AccumulateTypeIT0_Lb1EE4typeES8_NS0_13TensorArgTypeES9_S9_EUllE_EEvNS0_6detail10TensorInfoIT_T1_EESF_NSC_IKS6_SE_EElS8_S8_SE_T6_.has_dyn_sized_stack, 0
	.set _ZN2at4cuda17kernelHistogram1DIhhlLi1ELi2ELin1ELNS0_23CUDAHistogramMemoryTypeE1EZNS0_21CUDA_tensor_histogramIhhLb0EEEbNS_6TensorES4_S4_lNS_14AccumulateTypeIT0_Lb1EE4typeES8_NS0_13TensorArgTypeES9_S9_EUllE_EEvNS0_6detail10TensorInfoIT_T1_EESF_NSC_IKS6_SE_EElS8_S8_SE_T6_.has_recursion, 0
	.set _ZN2at4cuda17kernelHistogram1DIhhlLi1ELi2ELin1ELNS0_23CUDAHistogramMemoryTypeE1EZNS0_21CUDA_tensor_histogramIhhLb0EEEbNS_6TensorES4_S4_lNS_14AccumulateTypeIT0_Lb1EE4typeES8_NS0_13TensorArgTypeES9_S9_EUllE_EEvNS0_6detail10TensorInfoIT_T1_EESF_NSC_IKS6_SE_EElS8_S8_SE_T6_.has_indirect_call, 0
	.section	.AMDGPU.csdata,"",@progbits
; Kernel info:
; codeLenInByte = 2272
; TotalNumSgprs: 57
; NumVgprs: 22
; ScratchSize: 0
; MemoryBound: 0
; FloatMode: 240
; IeeeMode: 1
; LDSByteSize: 0 bytes/workgroup (compile time only)
; SGPRBlocks: 0
; VGPRBlocks: 1
; NumSGPRsForWavesPerEU: 57
; NumVGPRsForWavesPerEU: 22
; NamedBarCnt: 0
; Occupancy: 16
; WaveLimiterHint : 1
; COMPUTE_PGM_RSRC2:SCRATCH_EN: 0
; COMPUTE_PGM_RSRC2:USER_SGPR: 2
; COMPUTE_PGM_RSRC2:TRAP_HANDLER: 0
; COMPUTE_PGM_RSRC2:TGID_X_EN: 1
; COMPUTE_PGM_RSRC2:TGID_Y_EN: 0
; COMPUTE_PGM_RSRC2:TGID_Z_EN: 0
; COMPUTE_PGM_RSRC2:TIDIG_COMP_CNT: 0
	.section	.text._ZN2at4cuda17kernelHistogram1DIhhlLi1ELi2ELin1ELNS0_23CUDAHistogramMemoryTypeE0EZNS0_21CUDA_tensor_histogramIhhLb0EEEbNS_6TensorES4_S4_lNS_14AccumulateTypeIT0_Lb1EE4typeES8_NS0_13TensorArgTypeES9_S9_EUllE0_EEvNS0_6detail10TensorInfoIT_T1_EESF_NSC_IKS6_SE_EElS8_S8_SE_T6_,"axG",@progbits,_ZN2at4cuda17kernelHistogram1DIhhlLi1ELi2ELin1ELNS0_23CUDAHistogramMemoryTypeE0EZNS0_21CUDA_tensor_histogramIhhLb0EEEbNS_6TensorES4_S4_lNS_14AccumulateTypeIT0_Lb1EE4typeES8_NS0_13TensorArgTypeES9_S9_EUllE0_EEvNS0_6detail10TensorInfoIT_T1_EESF_NSC_IKS6_SE_EElS8_S8_SE_T6_,comdat
	.protected	_ZN2at4cuda17kernelHistogram1DIhhlLi1ELi2ELin1ELNS0_23CUDAHistogramMemoryTypeE0EZNS0_21CUDA_tensor_histogramIhhLb0EEEbNS_6TensorES4_S4_lNS_14AccumulateTypeIT0_Lb1EE4typeES8_NS0_13TensorArgTypeES9_S9_EUllE0_EEvNS0_6detail10TensorInfoIT_T1_EESF_NSC_IKS6_SE_EElS8_S8_SE_T6_ ; -- Begin function _ZN2at4cuda17kernelHistogram1DIhhlLi1ELi2ELin1ELNS0_23CUDAHistogramMemoryTypeE0EZNS0_21CUDA_tensor_histogramIhhLb0EEEbNS_6TensorES4_S4_lNS_14AccumulateTypeIT0_Lb1EE4typeES8_NS0_13TensorArgTypeES9_S9_EUllE0_EEvNS0_6detail10TensorInfoIT_T1_EESF_NSC_IKS6_SE_EElS8_S8_SE_T6_
	.globl	_ZN2at4cuda17kernelHistogram1DIhhlLi1ELi2ELin1ELNS0_23CUDAHistogramMemoryTypeE0EZNS0_21CUDA_tensor_histogramIhhLb0EEEbNS_6TensorES4_S4_lNS_14AccumulateTypeIT0_Lb1EE4typeES8_NS0_13TensorArgTypeES9_S9_EUllE0_EEvNS0_6detail10TensorInfoIT_T1_EESF_NSC_IKS6_SE_EElS8_S8_SE_T6_
	.p2align	8
	.type	_ZN2at4cuda17kernelHistogram1DIhhlLi1ELi2ELin1ELNS0_23CUDAHistogramMemoryTypeE0EZNS0_21CUDA_tensor_histogramIhhLb0EEEbNS_6TensorES4_S4_lNS_14AccumulateTypeIT0_Lb1EE4typeES8_NS0_13TensorArgTypeES9_S9_EUllE0_EEvNS0_6detail10TensorInfoIT_T1_EESF_NSC_IKS6_SE_EElS8_S8_SE_T6_,@function
_ZN2at4cuda17kernelHistogram1DIhhlLi1ELi2ELin1ELNS0_23CUDAHistogramMemoryTypeE0EZNS0_21CUDA_tensor_histogramIhhLb0EEEbNS_6TensorES4_S4_lNS_14AccumulateTypeIT0_Lb1EE4typeES8_NS0_13TensorArgTypeES9_S9_EUllE0_EEvNS0_6detail10TensorInfoIT_T1_EESF_NSC_IKS6_SE_EElS8_S8_SE_T6_: ; @_ZN2at4cuda17kernelHistogram1DIhhlLi1ELi2ELin1ELNS0_23CUDAHistogramMemoryTypeE0EZNS0_21CUDA_tensor_histogramIhhLb0EEEbNS_6TensorES4_S4_lNS_14AccumulateTypeIT0_Lb1EE4typeES8_NS0_13TensorArgTypeES9_S9_EUllE0_EEvNS0_6detail10TensorInfoIT_T1_EESF_NSC_IKS6_SE_EElS8_S8_SE_T6_
; %bb.0:
	s_load_b128 s[12:15], s[0:1], 0x0
	v_mov_b32_e32 v1, 0
	s_add_nc_u64 s[24:25], s[0:1], 0x508
	s_mov_b32 s3, exec_lo
                                        ; implicit-def: $sgpr4
	s_wait_kmcnt 0x0
	s_delay_alu instid0(VALU_DEP_1)
	v_cmp_gt_i64_e64 s2, s[14:15], v[0:1]
	v_cmpx_le_i64_e64 s[14:15], v[0:1]
	s_xor_b32 s3, exec_lo, s3
; %bb.1:
	s_load_b32 s4, s[24:25], 0xc
; %bb.2:
	s_or_saveexec_b32 s3, s3
	s_wait_kmcnt 0x0
	v_mov_b32_e32 v4, s4
	s_xor_b32 exec_lo, exec_lo, s3
	s_cbranch_execz .LBB62_12
; %bb.3:
	v_dual_mov_b32 v3, 0 :: v_dual_add_nc_u32 v2, 1, v0
	s_load_b32 s6, s[24:25], 0xc
	s_mov_b32 s8, -1
	s_delay_alu instid0(VALU_DEP_1) | instskip(SKIP_2) | instid1(SALU_CYCLE_1)
	v_max_i64 v[2:3], s[14:15], v[2:3]
	s_wait_kmcnt 0x0
	s_and_b32 s4, s6, 0xffff
	s_cmp_eq_u32 s4, 1
	s_cselect_b32 s5, -1, 0
	s_delay_alu instid0(VALU_DEP_1) | instskip(SKIP_1) | instid1(VALU_DEP_2)
	v_sub_nc_u64_e32 v[4:5], v[2:3], v[0:1]
	v_mov_b64_e32 v[2:3], v[0:1]
	v_cmp_lt_u64_e32 vcc_lo, 7, v[4:5]
	s_and_b32 s7, vcc_lo, s5
	s_delay_alu instid0(SALU_CYCLE_1)
	s_and_saveexec_b32 s5, s7
	s_cbranch_execz .LBB62_7
; %bb.4:
	v_dual_mov_b32 v3, v5 :: v_dual_bitop2_b32 v2, -8, v4 bitop3:0x40
	v_mov_b64_e32 v[6:7], 0
	v_add_nc_u32_e32 v10, 0, v0
	s_mov_b32 s7, 0
	s_delay_alu instid0(VALU_DEP_3)
	v_mov_b64_e32 v[8:9], v[2:3]
.LBB62_5:                               ; =>This Inner Loop Header: Depth=1
	s_delay_alu instid0(VALU_DEP_1) | instskip(SKIP_4) | instid1(SALU_CYCLE_1)
	v_add_nc_u64_e32 v[8:9], -8, v[8:9]
	ds_store_b64 v10, v[6:7]
	v_add_nc_u32_e32 v10, 8, v10
	v_cmp_eq_u64_e32 vcc_lo, 0, v[8:9]
	s_or_b32 s7, vcc_lo, s7
	s_and_not1_b32 exec_lo, exec_lo, s7
	s_cbranch_execnz .LBB62_5
; %bb.6:
	s_or_b32 exec_lo, exec_lo, s7
	v_cmp_ne_u64_e32 vcc_lo, v[4:5], v[2:3]
	v_add_nc_u64_e32 v[2:3], v[2:3], v[0:1]
	s_or_not1_b32 s8, vcc_lo, exec_lo
.LBB62_7:
	s_or_b32 exec_lo, exec_lo, s5
	v_mov_b32_e32 v4, 1
	s_and_saveexec_b32 s7, s8
	s_cbranch_execz .LBB62_11
; %bb.8:
	s_delay_alu instid0(VALU_DEP_2) | instskip(SKIP_1) | instid1(SALU_CYCLE_1)
	v_dual_mov_b32 v5, 0 :: v_dual_add_nc_u32 v4, 0, v2
	s_mov_b32 s5, 0
	s_mov_b32 s8, s5
.LBB62_9:                               ; =>This Inner Loop Header: Depth=1
	v_add_nc_u64_e32 v[2:3], s[4:5], v[2:3]
	ds_store_b8 v4, v5
	v_add_nc_u32_e32 v4, s4, v4
	v_cmp_le_i64_e32 vcc_lo, s[14:15], v[2:3]
	s_or_b32 s8, vcc_lo, s8
	s_delay_alu instid0(SALU_CYCLE_1)
	s_and_not1_b32 exec_lo, exec_lo, s8
	s_cbranch_execnz .LBB62_9
; %bb.10:
	s_or_b32 exec_lo, exec_lo, s8
	v_mov_b32_e32 v4, s6
.LBB62_11:
	s_or_b32 exec_lo, exec_lo, s7
.LBB62_12:
	s_delay_alu instid0(SALU_CYCLE_1)
	s_or_b32 exec_lo, exec_lo, s3
	s_bfe_u32 s3, ttmp6, 0x4000c
	s_and_b32 s16, ttmp6, 15
	s_add_co_i32 s3, s3, 1
	s_getreg_b32 s17, hwreg(HW_REG_IB_STS2, 6, 4)
	s_mul_i32 s3, ttmp9, s3
	s_load_b256 s[4:11], s[0:1], 0x4e0
	s_add_co_i32 s3, s16, s3
	s_cmp_eq_u32 s17, 0
	s_load_b64 s[16:17], s[0:1], 0xd0
	v_and_b32_e32 v2, 0xffff, v4
	s_cselect_b32 s3, ttmp9, s3
	v_mov_b32_e32 v6, 0
	s_mov_b32 s19, 0
	s_wait_dscnt 0x0
	v_mad_u32 v4, s3, v2, v0
	s_mov_b32 s3, exec_lo
	v_mov_b32_e32 v5, v6
	s_barrier_signal -1
	s_barrier_wait -1
	s_wait_kmcnt 0x0
	s_delay_alu instid0(VALU_DEP_1)
	v_cmpx_gt_i64_e64 s[10:11], v[4:5]
	s_cbranch_execz .LBB62_29
; %bb.13:
	s_load_b32 s33, s[0:1], 0x4d8
	s_load_b32 s18, s[24:25], 0x0
	s_clause 0x1
	s_load_b64 s[20:21], s[0:1], 0x410
	s_load_b64 s[22:23], s[0:1], 0x340
	s_add_nc_u64 s[28:29], s[0:1], 0x340
	v_mov_b32_e32 v9, v6
	s_wait_xcnt 0x0
	s_sub_nc_u64 s[24:25], s[8:9], s[6:7]
	s_mov_b64 s[26:27], 0xffffffff
	s_mov_b32 s42, 0
	s_wait_kmcnt 0x0
	s_cmp_gt_i32 s33, 1
	v_mul_lo_u32 v8, s18, v2
	s_cselect_b32 s1, -1, 0
	s_add_co_i32 s18, s33, -1
	s_add_co_i32 s33, s33, 1
	s_lshl_b64 s[30:31], s[18:19], 3
	s_delay_alu instid0(SALU_CYCLE_1)
	s_add_nc_u64 s[28:29], s[28:29], s[30:31]
	s_ashr_i32 s30, s25, 31
	s_add_nc_u64 s[28:29], s[28:29], 8
	s_branch .LBB62_15
.LBB62_14:                              ;   in Loop: Header=BB62_15 Depth=1
	s_or_b32 exec_lo, exec_lo, s36
	v_add_nc_u64_e32 v[4:5], v[4:5], v[8:9]
	s_delay_alu instid0(VALU_DEP_1) | instskip(SKIP_1) | instid1(SALU_CYCLE_1)
	v_cmp_le_i64_e32 vcc_lo, s[10:11], v[4:5]
	s_or_b32 s42, vcc_lo, s42
	s_and_not1_b32 exec_lo, exec_lo, s42
	s_cbranch_execz .LBB62_29
.LBB62_15:                              ; =>This Loop Header: Depth=1
                                        ;     Child Loop BB62_16 Depth 2
                                        ;     Child Loop BB62_28 Depth 2
	v_mov_b64_e32 v[10:11], 0
	v_mov_b64_e32 v[12:13], v[4:5]
	;; [unrolled: 1-line block ×3, first 2 shown]
	s_and_not1_b32 vcc_lo, exec_lo, s1
	s_mov_b64 s[34:35], s[28:29]
	s_mov_b32 s31, s33
	s_cbranch_vccnz .LBB62_22
.LBB62_16:                              ;   Parent Loop BB62_15 Depth=1
                                        ; =>  This Inner Loop Header: Depth=2
	s_load_b64 s[36:37], s[34:35], 0x0
                                        ; implicit-def: $vgpr14_vgpr15
	s_mov_b32 s0, exec_lo
	s_wait_kmcnt 0x0
	s_delay_alu instid0(VALU_DEP_1) | instskip(NEXT) | instid1(VALU_DEP_1)
	v_or_b32_e32 v7, s37, v13
	v_cmpx_ne_u64_e32 0, v[6:7]
	s_xor_b32 s43, exec_lo, s0
	s_cbranch_execz .LBB62_18
; %bb.17:                               ;   in Loop: Header=BB62_16 Depth=2
	s_ashr_i32 s38, s37, 31
	v_dual_mov_b32 v19, v6 :: v_dual_ashrrev_i32 v14, 31, v13
	s_mov_b32 s39, s38
	v_mov_b32_e32 v27, v6
	s_add_nc_u64 s[40:41], s[36:37], s[38:39]
	s_delay_alu instid0(VALU_DEP_2) | instskip(SKIP_1) | instid1(SALU_CYCLE_1)
	v_mov_b32_e32 v15, v14
	s_xor_b64 s[40:41], s[40:41], s[38:39]
	s_cvt_f32_u32 s0, s40
	s_cvt_f32_u32 s18, s41
	s_sub_nc_u64 s[46:47], 0, s[40:41]
	v_add_nc_u64_e32 v[16:17], v[12:13], v[14:15]
	v_mov_b32_e32 v23, v6
	s_fmamk_f32 s0, s18, 0x4f800000, s0
	s_delay_alu instid0(SALU_CYCLE_3) | instskip(NEXT) | instid1(VALU_DEP_2)
	v_s_rcp_f32 s0, s0
	v_xor_b32_e32 v18, v16, v14
	s_delay_alu instid0(VALU_DEP_3) | instskip(SKIP_1) | instid1(TRANS32_DEP_1)
	v_xor_b32_e32 v22, v17, v14
	v_xor_b32_e32 v14, s38, v14
	s_mul_f32 s0, s0, 0x5f7ffffc
	s_delay_alu instid0(SALU_CYCLE_3) | instskip(NEXT) | instid1(SALU_CYCLE_3)
	s_mul_f32 s18, s0, 0x2f800000
	s_trunc_f32 s18, s18
	s_delay_alu instid0(SALU_CYCLE_3) | instskip(SKIP_1) | instid1(SALU_CYCLE_2)
	s_fmamk_f32 s0, s18, 0xcf800000, s0
	s_cvt_u32_f32 s45, s18
	s_cvt_u32_f32 s44, s0
	s_delay_alu instid0(SALU_CYCLE_3) | instskip(NEXT) | instid1(SALU_CYCLE_1)
	s_mul_u64 s[48:49], s[46:47], s[44:45]
	s_mul_hi_u32 s51, s44, s49
	s_mul_i32 s50, s44, s49
	s_mul_hi_u32 s18, s44, s48
	s_mul_i32 s39, s45, s48
	s_add_nc_u64 s[50:51], s[18:19], s[50:51]
	s_mul_hi_u32 s0, s45, s48
	s_mul_hi_u32 s52, s45, s49
	s_add_co_u32 s18, s50, s39
	s_add_co_ci_u32 s18, s51, s0
	s_mul_i32 s48, s45, s49
	s_add_co_ci_u32 s49, s52, 0
	s_delay_alu instid0(SALU_CYCLE_1) | instskip(NEXT) | instid1(SALU_CYCLE_1)
	s_add_nc_u64 s[48:49], s[18:19], s[48:49]
	s_add_co_u32 s44, s44, s48
	s_cselect_b32 s0, -1, 0
	s_delay_alu instid0(SALU_CYCLE_1) | instskip(SKIP_1) | instid1(SALU_CYCLE_1)
	s_cmp_lg_u32 s0, 0
	s_add_co_ci_u32 s45, s45, s49
	s_mul_u64 s[46:47], s[46:47], s[44:45]
	s_delay_alu instid0(SALU_CYCLE_1)
	s_mul_hi_u32 s49, s44, s47
	s_mul_i32 s48, s44, s47
	s_mul_hi_u32 s18, s44, s46
	s_mul_i32 s39, s45, s46
	s_add_nc_u64 s[48:49], s[18:19], s[48:49]
	s_mul_hi_u32 s0, s45, s46
	s_mul_hi_u32 s50, s45, s47
	s_add_co_u32 s18, s48, s39
	s_add_co_ci_u32 s18, s49, s0
	s_mul_i32 s46, s45, s47
	s_add_co_ci_u32 s47, s50, 0
	s_delay_alu instid0(SALU_CYCLE_1) | instskip(NEXT) | instid1(SALU_CYCLE_1)
	s_add_nc_u64 s[46:47], s[18:19], s[46:47]
	s_add_co_u32 s0, s44, s46
	s_cselect_b32 s18, -1, 0
	v_mul_hi_u32 v26, v18, s0
	s_cmp_lg_u32 s18, 0
	s_add_co_ci_u32 s18, s45, s47
	s_and_b64 s[44:45], s[0:1], s[26:27]
	v_mul_u64_e32 v[20:21], s[18:19], v[18:19]
	v_mul_u64_e32 v[16:17], s[44:45], v[22:23]
	;; [unrolled: 1-line block ×3, first 2 shown]
	s_delay_alu instid0(VALU_DEP_3) | instskip(NEXT) | instid1(VALU_DEP_1)
	v_add_nc_u64_e32 v[20:21], v[26:27], v[20:21]
	v_add_co_u32 v3, vcc_lo, v20, v16
	s_delay_alu instid0(VALU_DEP_2) | instskip(NEXT) | instid1(VALU_DEP_4)
	v_add_co_ci_u32_e32 v26, vcc_lo, v21, v17, vcc_lo
	v_add_co_ci_u32_e32 v25, vcc_lo, 0, v25, vcc_lo
	s_delay_alu instid0(VALU_DEP_1) | instskip(NEXT) | instid1(VALU_DEP_1)
	v_add_nc_u64_e32 v[16:17], v[26:27], v[24:25]
	v_mul_u64_e32 v[20:21], s[40:41], v[16:17]
	s_delay_alu instid0(VALU_DEP_1) | instskip(NEXT) | instid1(VALU_DEP_2)
	v_sub_nc_u32_e32 v3, v22, v21
	v_sub_co_u32 v7, vcc_lo, v18, v20
	s_delay_alu instid0(VALU_DEP_1) | instskip(NEXT) | instid1(VALU_DEP_3)
	v_sub_co_ci_u32_e64 v22, null, v22, v21, vcc_lo
	v_subrev_co_ci_u32_e64 v3, null, s41, v3, vcc_lo
	s_delay_alu instid0(VALU_DEP_3) | instskip(SKIP_1) | instid1(VALU_DEP_3)
	v_sub_co_u32 v15, s0, v7, s40
	v_add_nc_u64_e32 v[20:21], 1, v[16:17]
	v_subrev_co_ci_u32_e64 v3, null, 0, v3, s0
	s_delay_alu instid0(VALU_DEP_3) | instskip(SKIP_1) | instid1(VALU_DEP_3)
	v_cmp_le_u32_e32 vcc_lo, s40, v15
	v_cndmask_b32_e64 v15, 0, -1, vcc_lo
	v_cmp_le_u32_e32 vcc_lo, s41, v3
	v_cndmask_b32_e64 v18, 0, -1, vcc_lo
	;; [unrolled: 2-line block ×4, first 2 shown]
	v_cmp_eq_u32_e32 vcc_lo, s41, v3
	v_cndmask_b32_e32 v3, v18, v15, vcc_lo
	v_cmp_eq_u32_e32 vcc_lo, s41, v22
	v_add_nc_u64_e32 v[18:19], 2, v[16:17]
	v_dual_mov_b32 v15, v14 :: v_dual_cndmask_b32 v7, v23, v7, vcc_lo
	s_delay_alu instid0(VALU_DEP_4) | instskip(NEXT) | instid1(VALU_DEP_2)
	v_cmp_ne_u32_e32 vcc_lo, 0, v3
	v_cmp_ne_u32_e64 s0, 0, v7
	s_delay_alu instid0(VALU_DEP_4) | instskip(NEXT) | instid1(VALU_DEP_1)
	v_dual_cndmask_b32 v3, v21, v19, vcc_lo :: v_dual_cndmask_b32 v7, v20, v18, vcc_lo
	v_cndmask_b32_e64 v7, v16, v7, s0
	s_delay_alu instid0(VALU_DEP_1) | instskip(NEXT) | instid1(VALU_DEP_1)
	v_dual_cndmask_b32 v3, v17, v3, s0 :: v_dual_bitop2_b32 v16, v7, v14 bitop3:0x14
	v_xor_b32_e32 v17, v3, v14
	s_delay_alu instid0(VALU_DEP_1)
	v_sub_nc_u64_e32 v[14:15], v[16:17], v[14:15]
.LBB62_18:                              ;   in Loop: Header=BB62_16 Depth=2
	s_and_not1_saveexec_b32 s0, s43
	s_cbranch_execz .LBB62_20
; %bb.19:                               ;   in Loop: Header=BB62_16 Depth=2
	v_cvt_f32_u32_e32 v3, s36
	s_sub_co_i32 s18, 0, s36
	s_delay_alu instid0(VALU_DEP_1) | instskip(SKIP_1) | instid1(TRANS32_DEP_1)
	v_rcp_iflag_f32_e32 v3, v3
	v_nop
	v_mul_f32_e32 v3, 0x4f7ffffe, v3
	s_delay_alu instid0(VALU_DEP_1) | instskip(NEXT) | instid1(VALU_DEP_1)
	v_cvt_u32_f32_e32 v3, v3
	v_mul_lo_u32 v7, s18, v3
	s_delay_alu instid0(VALU_DEP_1) | instskip(NEXT) | instid1(VALU_DEP_1)
	v_mul_hi_u32 v7, v3, v7
	v_add_nc_u32_e32 v3, v3, v7
	s_delay_alu instid0(VALU_DEP_1) | instskip(NEXT) | instid1(VALU_DEP_1)
	v_mul_hi_u32 v3, v12, v3
	v_mul_lo_u32 v7, v3, s36
	v_add_nc_u32_e32 v14, 1, v3
	s_delay_alu instid0(VALU_DEP_2) | instskip(NEXT) | instid1(VALU_DEP_1)
	v_sub_nc_u32_e32 v7, v12, v7
	v_subrev_nc_u32_e32 v15, s36, v7
	v_cmp_le_u32_e32 vcc_lo, s36, v7
	s_delay_alu instid0(VALU_DEP_2) | instskip(SKIP_1) | instid1(VALU_DEP_2)
	v_dual_cndmask_b32 v7, v7, v15, vcc_lo :: v_dual_mov_b32 v15, v6
	v_cndmask_b32_e32 v3, v3, v14, vcc_lo
	v_cmp_le_u32_e32 vcc_lo, s36, v7
	s_delay_alu instid0(VALU_DEP_2) | instskip(NEXT) | instid1(VALU_DEP_1)
	v_add_nc_u32_e32 v14, 1, v3
	v_cndmask_b32_e32 v14, v3, v14, vcc_lo
.LBB62_20:                              ;   in Loop: Header=BB62_16 Depth=2
	s_or_b32 exec_lo, exec_lo, s0
	s_delay_alu instid0(VALU_DEP_1)
	v_mul_u64_e32 v[16:17], s[36:37], v[14:15]
	s_load_b64 s[36:37], s[34:35], 0xc8
	s_add_co_i32 s31, s31, -1
	s_wait_xcnt 0x0
	s_add_nc_u64 s[34:35], s[34:35], -8
	s_cmp_gt_u32 s31, 2
	s_delay_alu instid0(VALU_DEP_1) | instskip(SKIP_1) | instid1(VALU_DEP_1)
	v_sub_nc_u64_e32 v[12:13], v[12:13], v[16:17]
	s_wait_kmcnt 0x0
	v_mad_nc_u64_u32 v[10:11], s36, v12, v[10:11]
	s_delay_alu instid0(VALU_DEP_1) | instskip(NEXT) | instid1(VALU_DEP_1)
	v_mad_u32 v3, s37, v12, v11
	v_mad_u32 v11, s36, v13, v3
	s_cbranch_scc0 .LBB62_22
; %bb.21:                               ;   in Loop: Header=BB62_16 Depth=2
	v_mov_b64_e32 v[12:13], v[14:15]
	s_branch .LBB62_16
.LBB62_22:                              ;   in Loop: Header=BB62_15 Depth=1
	s_delay_alu instid0(VALU_DEP_1) | instskip(NEXT) | instid1(VALU_DEP_1)
	v_mad_nc_u64_u32 v[12:13], s20, v14, s[22:23]
	v_mad_u32 v3, s21, v14, v13
	s_delay_alu instid0(VALU_DEP_1) | instskip(NEXT) | instid1(VALU_DEP_1)
	v_mad_u32 v13, s20, v15, v3
	v_add_nc_u64_e32 v[10:11], v[12:13], v[10:11]
	global_load_u8 v3, v[10:11], off
	s_wait_xcnt 0x0
	v_mov_b32_e32 v11, s19
	s_wait_loadcnt 0x0
	v_and_b32_e32 v10, 0xffff, v3
	s_delay_alu instid0(VALU_DEP_1) | instskip(SKIP_2) | instid1(SALU_CYCLE_1)
	v_cmp_le_i64_e32 vcc_lo, s[6:7], v[10:11]
	v_cmp_ge_i64_e64 s0, s[8:9], v[10:11]
	s_and_b32 s0, vcc_lo, s0
	s_and_saveexec_b32 s36, s0
	s_cbranch_execz .LBB62_14
; %bb.23:                               ;   in Loop: Header=BB62_15 Depth=1
	v_sub_nc_u64_e64 v[10:11], v[10:11], s[6:7]
                                        ; implicit-def: $vgpr12_vgpr13
	s_mov_b32 s0, exec_lo
	s_delay_alu instid0(VALU_DEP_1) | instskip(NEXT) | instid1(VALU_DEP_1)
	v_mul_u64_e32 v[10:11], s[4:5], v[10:11]
	v_or_b32_e32 v7, s25, v11
	s_delay_alu instid0(VALU_DEP_1)
	v_cmpx_ne_u64_e32 0, v[6:7]
	s_xor_b32 s37, exec_lo, s0
	s_cbranch_execz .LBB62_25
; %bb.24:                               ;   in Loop: Header=BB62_15 Depth=1
	s_mov_b32 s31, s30
	v_dual_mov_b32 v15, v6 :: v_dual_ashrrev_i32 v12, 31, v11
	s_add_nc_u64 s[34:35], s[24:25], s[30:31]
	v_mov_b32_e32 v23, v6
	s_xor_b64 s[34:35], s[34:35], s[30:31]
	s_delay_alu instid0(VALU_DEP_2) | instskip(SKIP_3) | instid1(VALU_DEP_1)
	v_mov_b32_e32 v13, v12
	s_cvt_f32_u32 s0, s34
	s_cvt_f32_u32 s18, s35
	s_sub_nc_u64 s[40:41], 0, s[34:35]
	v_add_nc_u64_e32 v[10:11], v[10:11], v[12:13]
	s_delay_alu instid0(SALU_CYCLE_1) | instskip(SKIP_1) | instid1(SALU_CYCLE_2)
	s_fmamk_f32 s0, s18, 0x4f800000, s0
	v_mov_b32_e32 v19, v6
	v_s_rcp_f32 s0, s0
	s_delay_alu instid0(VALU_DEP_2) | instskip(NEXT) | instid1(VALU_DEP_3)
	v_xor_b32_e32 v14, v10, v12
	v_xor_b32_e32 v18, v11, v12
	;; [unrolled: 1-line block ×3, first 2 shown]
	s_delay_alu instid0(TRANS32_DEP_1) | instskip(NEXT) | instid1(SALU_CYCLE_3)
	s_mul_f32 s0, s0, 0x5f7ffffc
	s_mul_f32 s18, s0, 0x2f800000
	s_delay_alu instid0(SALU_CYCLE_3) | instskip(NEXT) | instid1(SALU_CYCLE_3)
	s_trunc_f32 s18, s18
	s_fmamk_f32 s0, s18, 0xcf800000, s0
	s_cvt_u32_f32 s39, s18
	s_delay_alu instid0(SALU_CYCLE_2) | instskip(NEXT) | instid1(SALU_CYCLE_3)
	s_cvt_u32_f32 s38, s0
	s_mul_u64 s[44:45], s[40:41], s[38:39]
	s_delay_alu instid0(SALU_CYCLE_1)
	s_mul_hi_u32 s47, s38, s45
	s_mul_i32 s46, s38, s45
	s_mul_hi_u32 s18, s38, s44
	s_mul_i32 s31, s39, s44
	s_add_nc_u64 s[46:47], s[18:19], s[46:47]
	s_mul_hi_u32 s0, s39, s44
	s_mul_hi_u32 s43, s39, s45
	s_add_co_u32 s18, s46, s31
	s_add_co_ci_u32 s18, s47, s0
	s_mul_i32 s44, s39, s45
	s_add_co_ci_u32 s45, s43, 0
	s_delay_alu instid0(SALU_CYCLE_1) | instskip(NEXT) | instid1(SALU_CYCLE_1)
	s_add_nc_u64 s[44:45], s[18:19], s[44:45]
	s_add_co_u32 s38, s38, s44
	s_cselect_b32 s0, -1, 0
	s_delay_alu instid0(SALU_CYCLE_1) | instskip(SKIP_1) | instid1(SALU_CYCLE_1)
	s_cmp_lg_u32 s0, 0
	s_add_co_ci_u32 s39, s39, s45
	s_mul_u64 s[40:41], s[40:41], s[38:39]
	s_delay_alu instid0(SALU_CYCLE_1)
	s_mul_hi_u32 s45, s38, s41
	s_mul_i32 s44, s38, s41
	s_mul_hi_u32 s18, s38, s40
	s_mul_i32 s31, s39, s40
	s_add_nc_u64 s[44:45], s[18:19], s[44:45]
	s_mul_hi_u32 s0, s39, s40
	s_mul_hi_u32 s43, s39, s41
	s_add_co_u32 s18, s44, s31
	s_add_co_ci_u32 s18, s45, s0
	s_mul_i32 s40, s39, s41
	s_add_co_ci_u32 s41, s43, 0
	s_delay_alu instid0(SALU_CYCLE_1) | instskip(NEXT) | instid1(SALU_CYCLE_1)
	s_add_nc_u64 s[40:41], s[18:19], s[40:41]
	s_add_co_u32 s0, s38, s40
	s_cselect_b32 s18, -1, 0
	v_mul_hi_u32 v22, v14, s0
	s_cmp_lg_u32 s18, 0
	s_add_co_ci_u32 s18, s39, s41
	s_and_b64 s[38:39], s[0:1], s[26:27]
	v_mul_u64_e32 v[16:17], s[18:19], v[14:15]
	v_mul_u64_e32 v[10:11], s[38:39], v[18:19]
	;; [unrolled: 1-line block ×3, first 2 shown]
	s_delay_alu instid0(VALU_DEP_3) | instskip(NEXT) | instid1(VALU_DEP_1)
	v_add_nc_u64_e32 v[16:17], v[22:23], v[16:17]
	v_add_co_u32 v3, vcc_lo, v16, v10
	s_delay_alu instid0(VALU_DEP_2) | instskip(NEXT) | instid1(VALU_DEP_4)
	v_add_co_ci_u32_e32 v22, vcc_lo, v17, v11, vcc_lo
	v_add_co_ci_u32_e32 v21, vcc_lo, 0, v21, vcc_lo
	s_delay_alu instid0(VALU_DEP_1) | instskip(NEXT) | instid1(VALU_DEP_1)
	v_add_nc_u64_e32 v[10:11], v[22:23], v[20:21]
	v_mul_u64_e32 v[16:17], s[34:35], v[10:11]
	s_delay_alu instid0(VALU_DEP_1) | instskip(NEXT) | instid1(VALU_DEP_2)
	v_sub_nc_u32_e32 v3, v18, v17
	v_sub_co_u32 v7, vcc_lo, v14, v16
	s_delay_alu instid0(VALU_DEP_1) | instskip(NEXT) | instid1(VALU_DEP_3)
	v_sub_co_ci_u32_e64 v18, null, v18, v17, vcc_lo
	v_subrev_co_ci_u32_e64 v3, null, s35, v3, vcc_lo
	s_delay_alu instid0(VALU_DEP_3) | instskip(SKIP_1) | instid1(VALU_DEP_3)
	v_sub_co_u32 v13, s0, v7, s34
	v_add_nc_u64_e32 v[16:17], 1, v[10:11]
	v_subrev_co_ci_u32_e64 v3, null, 0, v3, s0
	s_delay_alu instid0(VALU_DEP_3) | instskip(SKIP_1) | instid1(VALU_DEP_3)
	v_cmp_le_u32_e32 vcc_lo, s34, v13
	v_cndmask_b32_e64 v13, 0, -1, vcc_lo
	v_cmp_le_u32_e32 vcc_lo, s35, v3
	v_cndmask_b32_e64 v14, 0, -1, vcc_lo
	;; [unrolled: 2-line block ×4, first 2 shown]
	v_cmp_eq_u32_e32 vcc_lo, s35, v3
	v_cndmask_b32_e32 v3, v14, v13, vcc_lo
	v_cmp_eq_u32_e32 vcc_lo, s35, v18
	v_add_nc_u64_e32 v[14:15], 2, v[10:11]
	v_dual_mov_b32 v13, v12 :: v_dual_cndmask_b32 v7, v19, v7, vcc_lo
	s_delay_alu instid0(VALU_DEP_4) | instskip(NEXT) | instid1(VALU_DEP_2)
	v_cmp_ne_u32_e32 vcc_lo, 0, v3
	v_cmp_ne_u32_e64 s0, 0, v7
	s_delay_alu instid0(VALU_DEP_4) | instskip(NEXT) | instid1(VALU_DEP_1)
	v_dual_cndmask_b32 v3, v17, v15, vcc_lo :: v_dual_cndmask_b32 v7, v16, v14, vcc_lo
	v_cndmask_b32_e64 v3, v11, v3, s0
	s_delay_alu instid0(VALU_DEP_1) | instskip(NEXT) | instid1(VALU_DEP_1)
	v_dual_cndmask_b32 v7, v10, v7, s0 :: v_dual_bitop2_b32 v11, v3, v12 bitop3:0x14
	v_xor_b32_e32 v10, v7, v12
	s_delay_alu instid0(VALU_DEP_1)
	v_sub_nc_u64_e32 v[12:13], v[10:11], v[12:13]
                                        ; implicit-def: $vgpr10_vgpr11
.LBB62_25:                              ;   in Loop: Header=BB62_15 Depth=1
	s_and_not1_saveexec_b32 s0, s37
	s_cbranch_execz .LBB62_27
; %bb.26:                               ;   in Loop: Header=BB62_15 Depth=1
	v_cvt_f32_u32_e32 v3, s24
	s_sub_co_i32 s18, 0, s24
	s_delay_alu instid0(VALU_DEP_1) | instskip(SKIP_1) | instid1(TRANS32_DEP_1)
	v_rcp_iflag_f32_e32 v3, v3
	v_nop
	v_mul_f32_e32 v3, 0x4f7ffffe, v3
	s_delay_alu instid0(VALU_DEP_1) | instskip(NEXT) | instid1(VALU_DEP_1)
	v_cvt_u32_f32_e32 v3, v3
	v_mul_lo_u32 v7, s18, v3
	s_delay_alu instid0(VALU_DEP_1) | instskip(NEXT) | instid1(VALU_DEP_1)
	v_mul_hi_u32 v7, v3, v7
	v_add_nc_u32_e32 v3, v3, v7
	s_delay_alu instid0(VALU_DEP_1) | instskip(NEXT) | instid1(VALU_DEP_1)
	v_mul_hi_u32 v3, v10, v3
	v_mul_lo_u32 v7, v3, s24
	s_delay_alu instid0(VALU_DEP_1) | instskip(SKIP_1) | instid1(VALU_DEP_2)
	v_sub_nc_u32_e32 v7, v10, v7
	v_add_nc_u32_e32 v10, 1, v3
	v_subrev_nc_u32_e32 v11, s24, v7
	v_cmp_le_u32_e32 vcc_lo, s24, v7
	s_delay_alu instid0(VALU_DEP_2) | instskip(NEXT) | instid1(VALU_DEP_4)
	v_cndmask_b32_e32 v7, v7, v11, vcc_lo
	v_cndmask_b32_e32 v3, v3, v10, vcc_lo
	s_delay_alu instid0(VALU_DEP_2) | instskip(NEXT) | instid1(VALU_DEP_2)
	v_cmp_le_u32_e32 vcc_lo, s24, v7
	v_add_nc_u32_e32 v10, 1, v3
	s_delay_alu instid0(VALU_DEP_1)
	v_cndmask_b32_e32 v12, v3, v10, vcc_lo
.LBB62_27:                              ;   in Loop: Header=BB62_15 Depth=1
	s_or_b32 exec_lo, exec_lo, s0
	s_delay_alu instid0(VALU_DEP_1) | instskip(SKIP_1) | instid1(VALU_DEP_1)
	v_ashrrev_i32_e32 v13, 31, v12
	s_mov_b32 s0, 0
	v_cmp_eq_u64_e32 vcc_lo, s[4:5], v[12:13]
	v_subrev_co_ci_u32_e64 v3, null, 0, v12, vcc_lo
	s_delay_alu instid0(VALU_DEP_1) | instskip(NEXT) | instid1(VALU_DEP_1)
	v_add_nc_u32_e32 v11, 0, v3
	v_and_b32_e32 v10, 3, v11
	s_delay_alu instid0(VALU_DEP_1) | instskip(SKIP_2) | instid1(VALU_DEP_1)
	v_dual_sub_nc_u32 v13, 0, v10 :: v_dual_bitop2_b32 v3, -4, v11 bitop3:0x40
	ds_load_b32 v7, v3
	v_dual_add_nc_u32 v11, v11, v13 :: v_dual_lshlrev_b32 v3, 3, v10
	v_lshlrev_b32_e64 v12, v3, 0xff
	s_delay_alu instid0(VALU_DEP_1)
	v_not_b32_e32 v10, v12
.LBB62_28:                              ;   Parent Loop BB62_15 Depth=1
                                        ; =>  This Inner Loop Header: Depth=2
	s_wait_dscnt 0x0
	v_lshrrev_b32_e32 v12, v3, v7
	s_delay_alu instid0(VALU_DEP_1) | instskip(NEXT) | instid1(VALU_DEP_1)
	v_dual_add_nc_u32 v12, 1, v12 :: v_dual_bitop2_b32 v13, v7, v10 bitop3:0x40
	v_and_b32_e32 v12, 0xff, v12
	s_delay_alu instid0(VALU_DEP_1)
	v_lshl_or_b32 v12, v12, v3, v13
	ds_cmpstore_rtn_b32 v12, v11, v12, v7
	s_wait_dscnt 0x0
	v_cmp_eq_u32_e32 vcc_lo, v7, v12
	v_mov_b32_e32 v7, v12
	s_or_b32 s0, vcc_lo, s0
	s_delay_alu instid0(SALU_CYCLE_1)
	s_and_not1_b32 exec_lo, exec_lo, s0
	s_cbranch_execnz .LBB62_28
	s_branch .LBB62_14
.LBB62_29:
	s_or_b32 exec_lo, exec_lo, s3
; %bb.30:
	s_barrier_signal -1
	s_barrier_wait -1
	s_and_saveexec_b32 s0, s2
	s_cbranch_execz .LBB62_35
; %bb.31:
	v_mov_b32_e32 v5, 0
	s_mov_b32 s0, 0
	s_delay_alu instid0(VALU_DEP_1)
	v_mov_b32_e32 v3, v5
.LBB62_32:                              ; =>This Loop Header: Depth=1
                                        ;     Child Loop BB62_33 Depth 2
	v_mad_nc_u64_u32 v[6:7], v0, s16, s[12:13]
	s_mov_b32 s1, 0
	s_delay_alu instid0(VALU_DEP_1) | instskip(NEXT) | instid1(VALU_DEP_2)
	v_mad_u32 v7, v1, s16, v7
	v_and_b32_e32 v4, 3, v6
	s_delay_alu instid0(VALU_DEP_1) | instskip(NEXT) | instid1(VALU_DEP_3)
	v_sub_nc_u64_e32 v[8:9], 0, v[4:5]
	v_mad_u32 v7, v0, s17, v7
	s_delay_alu instid0(VALU_DEP_1)
	v_add_nc_u64_e32 v[6:7], v[6:7], v[8:9]
	v_add_nc_u32_e32 v8, 0, v0
	v_lshlrev_b32_e32 v4, 3, v4
	ds_load_u8 v10, v8
	global_load_b32 v9, v[6:7], off
	v_lshlrev_b32_e64 v8, v4, 0xff
	s_delay_alu instid0(VALU_DEP_1)
	v_not_b32_e32 v11, v8
.LBB62_33:                              ;   Parent Loop BB62_32 Depth=1
                                        ; =>  This Inner Loop Header: Depth=2
	s_wait_loadcnt 0x0
	s_delay_alu instid0(VALU_DEP_1) | instskip(SKIP_1) | instid1(VALU_DEP_1)
	v_dual_lshrrev_b32 v8, v4, v9 :: v_dual_bitop2_b32 v12, v9, v11 bitop3:0x40
	s_wait_dscnt 0x0
	v_add_nc_u16 v8, v10, v8
	s_delay_alu instid0(VALU_DEP_1) | instskip(NEXT) | instid1(VALU_DEP_1)
	v_and_b32_e32 v8, 0xff, v8
	v_lshl_or_b32 v8, v8, v4, v12
	global_atomic_cmpswap_b32 v8, v[6:7], v[8:9], off th:TH_ATOMIC_RETURN scope:SCOPE_DEV
	s_wait_loadcnt 0x0
	v_cmp_eq_u32_e32 vcc_lo, v9, v8
	v_mov_b32_e32 v9, v8
	s_or_b32 s1, vcc_lo, s1
	s_delay_alu instid0(SALU_CYCLE_1)
	s_and_not1_b32 exec_lo, exec_lo, s1
	s_cbranch_execnz .LBB62_33
; %bb.34:                               ;   in Loop: Header=BB62_32 Depth=1
	s_or_b32 exec_lo, exec_lo, s1
	v_add_nc_u64_e32 v[0:1], v[0:1], v[2:3]
	s_delay_alu instid0(VALU_DEP_1) | instskip(SKIP_1) | instid1(SALU_CYCLE_1)
	v_cmp_le_i64_e32 vcc_lo, s[14:15], v[0:1]
	s_or_b32 s0, vcc_lo, s0
	s_and_not1_b32 exec_lo, exec_lo, s0
	s_cbranch_execnz .LBB62_32
.LBB62_35:
	s_endpgm
	.section	.rodata,"a",@progbits
	.p2align	6, 0x0
	.amdhsa_kernel _ZN2at4cuda17kernelHistogram1DIhhlLi1ELi2ELin1ELNS0_23CUDAHistogramMemoryTypeE0EZNS0_21CUDA_tensor_histogramIhhLb0EEEbNS_6TensorES4_S4_lNS_14AccumulateTypeIT0_Lb1EE4typeES8_NS0_13TensorArgTypeES9_S9_EUllE0_EEvNS0_6detail10TensorInfoIT_T1_EESF_NSC_IKS6_SE_EElS8_S8_SE_T6_
		.amdhsa_group_segment_fixed_size 0
		.amdhsa_private_segment_fixed_size 0
		.amdhsa_kernarg_size 1544
		.amdhsa_user_sgpr_count 2
		.amdhsa_user_sgpr_dispatch_ptr 0
		.amdhsa_user_sgpr_queue_ptr 0
		.amdhsa_user_sgpr_kernarg_segment_ptr 1
		.amdhsa_user_sgpr_dispatch_id 0
		.amdhsa_user_sgpr_kernarg_preload_length 0
		.amdhsa_user_sgpr_kernarg_preload_offset 0
		.amdhsa_user_sgpr_private_segment_size 0
		.amdhsa_wavefront_size32 1
		.amdhsa_uses_dynamic_stack 0
		.amdhsa_enable_private_segment 0
		.amdhsa_system_sgpr_workgroup_id_x 1
		.amdhsa_system_sgpr_workgroup_id_y 0
		.amdhsa_system_sgpr_workgroup_id_z 0
		.amdhsa_system_sgpr_workgroup_info 0
		.amdhsa_system_vgpr_workitem_id 0
		.amdhsa_next_free_vgpr 28
		.amdhsa_next_free_sgpr 53
		.amdhsa_named_barrier_count 0
		.amdhsa_reserve_vcc 1
		.amdhsa_float_round_mode_32 0
		.amdhsa_float_round_mode_16_64 0
		.amdhsa_float_denorm_mode_32 3
		.amdhsa_float_denorm_mode_16_64 3
		.amdhsa_fp16_overflow 0
		.amdhsa_memory_ordered 1
		.amdhsa_forward_progress 1
		.amdhsa_inst_pref_size 22
		.amdhsa_round_robin_scheduling 0
		.amdhsa_exception_fp_ieee_invalid_op 0
		.amdhsa_exception_fp_denorm_src 0
		.amdhsa_exception_fp_ieee_div_zero 0
		.amdhsa_exception_fp_ieee_overflow 0
		.amdhsa_exception_fp_ieee_underflow 0
		.amdhsa_exception_fp_ieee_inexact 0
		.amdhsa_exception_int_div_zero 0
	.end_amdhsa_kernel
	.section	.text._ZN2at4cuda17kernelHistogram1DIhhlLi1ELi2ELin1ELNS0_23CUDAHistogramMemoryTypeE0EZNS0_21CUDA_tensor_histogramIhhLb0EEEbNS_6TensorES4_S4_lNS_14AccumulateTypeIT0_Lb1EE4typeES8_NS0_13TensorArgTypeES9_S9_EUllE0_EEvNS0_6detail10TensorInfoIT_T1_EESF_NSC_IKS6_SE_EElS8_S8_SE_T6_,"axG",@progbits,_ZN2at4cuda17kernelHistogram1DIhhlLi1ELi2ELin1ELNS0_23CUDAHistogramMemoryTypeE0EZNS0_21CUDA_tensor_histogramIhhLb0EEEbNS_6TensorES4_S4_lNS_14AccumulateTypeIT0_Lb1EE4typeES8_NS0_13TensorArgTypeES9_S9_EUllE0_EEvNS0_6detail10TensorInfoIT_T1_EESF_NSC_IKS6_SE_EElS8_S8_SE_T6_,comdat
.Lfunc_end62:
	.size	_ZN2at4cuda17kernelHistogram1DIhhlLi1ELi2ELin1ELNS0_23CUDAHistogramMemoryTypeE0EZNS0_21CUDA_tensor_histogramIhhLb0EEEbNS_6TensorES4_S4_lNS_14AccumulateTypeIT0_Lb1EE4typeES8_NS0_13TensorArgTypeES9_S9_EUllE0_EEvNS0_6detail10TensorInfoIT_T1_EESF_NSC_IKS6_SE_EElS8_S8_SE_T6_, .Lfunc_end62-_ZN2at4cuda17kernelHistogram1DIhhlLi1ELi2ELin1ELNS0_23CUDAHistogramMemoryTypeE0EZNS0_21CUDA_tensor_histogramIhhLb0EEEbNS_6TensorES4_S4_lNS_14AccumulateTypeIT0_Lb1EE4typeES8_NS0_13TensorArgTypeES9_S9_EUllE0_EEvNS0_6detail10TensorInfoIT_T1_EESF_NSC_IKS6_SE_EElS8_S8_SE_T6_
                                        ; -- End function
	.set _ZN2at4cuda17kernelHistogram1DIhhlLi1ELi2ELin1ELNS0_23CUDAHistogramMemoryTypeE0EZNS0_21CUDA_tensor_histogramIhhLb0EEEbNS_6TensorES4_S4_lNS_14AccumulateTypeIT0_Lb1EE4typeES8_NS0_13TensorArgTypeES9_S9_EUllE0_EEvNS0_6detail10TensorInfoIT_T1_EESF_NSC_IKS6_SE_EElS8_S8_SE_T6_.num_vgpr, 28
	.set _ZN2at4cuda17kernelHistogram1DIhhlLi1ELi2ELin1ELNS0_23CUDAHistogramMemoryTypeE0EZNS0_21CUDA_tensor_histogramIhhLb0EEEbNS_6TensorES4_S4_lNS_14AccumulateTypeIT0_Lb1EE4typeES8_NS0_13TensorArgTypeES9_S9_EUllE0_EEvNS0_6detail10TensorInfoIT_T1_EESF_NSC_IKS6_SE_EElS8_S8_SE_T6_.num_agpr, 0
	.set _ZN2at4cuda17kernelHistogram1DIhhlLi1ELi2ELin1ELNS0_23CUDAHistogramMemoryTypeE0EZNS0_21CUDA_tensor_histogramIhhLb0EEEbNS_6TensorES4_S4_lNS_14AccumulateTypeIT0_Lb1EE4typeES8_NS0_13TensorArgTypeES9_S9_EUllE0_EEvNS0_6detail10TensorInfoIT_T1_EESF_NSC_IKS6_SE_EElS8_S8_SE_T6_.numbered_sgpr, 53
	.set _ZN2at4cuda17kernelHistogram1DIhhlLi1ELi2ELin1ELNS0_23CUDAHistogramMemoryTypeE0EZNS0_21CUDA_tensor_histogramIhhLb0EEEbNS_6TensorES4_S4_lNS_14AccumulateTypeIT0_Lb1EE4typeES8_NS0_13TensorArgTypeES9_S9_EUllE0_EEvNS0_6detail10TensorInfoIT_T1_EESF_NSC_IKS6_SE_EElS8_S8_SE_T6_.num_named_barrier, 0
	.set _ZN2at4cuda17kernelHistogram1DIhhlLi1ELi2ELin1ELNS0_23CUDAHistogramMemoryTypeE0EZNS0_21CUDA_tensor_histogramIhhLb0EEEbNS_6TensorES4_S4_lNS_14AccumulateTypeIT0_Lb1EE4typeES8_NS0_13TensorArgTypeES9_S9_EUllE0_EEvNS0_6detail10TensorInfoIT_T1_EESF_NSC_IKS6_SE_EElS8_S8_SE_T6_.private_seg_size, 0
	.set _ZN2at4cuda17kernelHistogram1DIhhlLi1ELi2ELin1ELNS0_23CUDAHistogramMemoryTypeE0EZNS0_21CUDA_tensor_histogramIhhLb0EEEbNS_6TensorES4_S4_lNS_14AccumulateTypeIT0_Lb1EE4typeES8_NS0_13TensorArgTypeES9_S9_EUllE0_EEvNS0_6detail10TensorInfoIT_T1_EESF_NSC_IKS6_SE_EElS8_S8_SE_T6_.uses_vcc, 1
	.set _ZN2at4cuda17kernelHistogram1DIhhlLi1ELi2ELin1ELNS0_23CUDAHistogramMemoryTypeE0EZNS0_21CUDA_tensor_histogramIhhLb0EEEbNS_6TensorES4_S4_lNS_14AccumulateTypeIT0_Lb1EE4typeES8_NS0_13TensorArgTypeES9_S9_EUllE0_EEvNS0_6detail10TensorInfoIT_T1_EESF_NSC_IKS6_SE_EElS8_S8_SE_T6_.uses_flat_scratch, 0
	.set _ZN2at4cuda17kernelHistogram1DIhhlLi1ELi2ELin1ELNS0_23CUDAHistogramMemoryTypeE0EZNS0_21CUDA_tensor_histogramIhhLb0EEEbNS_6TensorES4_S4_lNS_14AccumulateTypeIT0_Lb1EE4typeES8_NS0_13TensorArgTypeES9_S9_EUllE0_EEvNS0_6detail10TensorInfoIT_T1_EESF_NSC_IKS6_SE_EElS8_S8_SE_T6_.has_dyn_sized_stack, 0
	.set _ZN2at4cuda17kernelHistogram1DIhhlLi1ELi2ELin1ELNS0_23CUDAHistogramMemoryTypeE0EZNS0_21CUDA_tensor_histogramIhhLb0EEEbNS_6TensorES4_S4_lNS_14AccumulateTypeIT0_Lb1EE4typeES8_NS0_13TensorArgTypeES9_S9_EUllE0_EEvNS0_6detail10TensorInfoIT_T1_EESF_NSC_IKS6_SE_EElS8_S8_SE_T6_.has_recursion, 0
	.set _ZN2at4cuda17kernelHistogram1DIhhlLi1ELi2ELin1ELNS0_23CUDAHistogramMemoryTypeE0EZNS0_21CUDA_tensor_histogramIhhLb0EEEbNS_6TensorES4_S4_lNS_14AccumulateTypeIT0_Lb1EE4typeES8_NS0_13TensorArgTypeES9_S9_EUllE0_EEvNS0_6detail10TensorInfoIT_T1_EESF_NSC_IKS6_SE_EElS8_S8_SE_T6_.has_indirect_call, 0
	.section	.AMDGPU.csdata,"",@progbits
; Kernel info:
; codeLenInByte = 2744
; TotalNumSgprs: 55
; NumVgprs: 28
; ScratchSize: 0
; MemoryBound: 0
; FloatMode: 240
; IeeeMode: 1
; LDSByteSize: 0 bytes/workgroup (compile time only)
; SGPRBlocks: 0
; VGPRBlocks: 1
; NumSGPRsForWavesPerEU: 55
; NumVGPRsForWavesPerEU: 28
; NamedBarCnt: 0
; Occupancy: 16
; WaveLimiterHint : 1
; COMPUTE_PGM_RSRC2:SCRATCH_EN: 0
; COMPUTE_PGM_RSRC2:USER_SGPR: 2
; COMPUTE_PGM_RSRC2:TRAP_HANDLER: 0
; COMPUTE_PGM_RSRC2:TGID_X_EN: 1
; COMPUTE_PGM_RSRC2:TGID_Y_EN: 0
; COMPUTE_PGM_RSRC2:TGID_Z_EN: 0
; COMPUTE_PGM_RSRC2:TIDIG_COMP_CNT: 0
	.section	.text._ZN2at4cuda17kernelHistogram1DIhhlLi1ELi2ELin1ELNS0_23CUDAHistogramMemoryTypeE1EZNS0_21CUDA_tensor_histogramIhhLb0EEEbNS_6TensorES4_S4_lNS_14AccumulateTypeIT0_Lb1EE4typeES8_NS0_13TensorArgTypeES9_S9_EUllE0_EEvNS0_6detail10TensorInfoIT_T1_EESF_NSC_IKS6_SE_EElS8_S8_SE_T6_,"axG",@progbits,_ZN2at4cuda17kernelHistogram1DIhhlLi1ELi2ELin1ELNS0_23CUDAHistogramMemoryTypeE1EZNS0_21CUDA_tensor_histogramIhhLb0EEEbNS_6TensorES4_S4_lNS_14AccumulateTypeIT0_Lb1EE4typeES8_NS0_13TensorArgTypeES9_S9_EUllE0_EEvNS0_6detail10TensorInfoIT_T1_EESF_NSC_IKS6_SE_EElS8_S8_SE_T6_,comdat
	.protected	_ZN2at4cuda17kernelHistogram1DIhhlLi1ELi2ELin1ELNS0_23CUDAHistogramMemoryTypeE1EZNS0_21CUDA_tensor_histogramIhhLb0EEEbNS_6TensorES4_S4_lNS_14AccumulateTypeIT0_Lb1EE4typeES8_NS0_13TensorArgTypeES9_S9_EUllE0_EEvNS0_6detail10TensorInfoIT_T1_EESF_NSC_IKS6_SE_EElS8_S8_SE_T6_ ; -- Begin function _ZN2at4cuda17kernelHistogram1DIhhlLi1ELi2ELin1ELNS0_23CUDAHistogramMemoryTypeE1EZNS0_21CUDA_tensor_histogramIhhLb0EEEbNS_6TensorES4_S4_lNS_14AccumulateTypeIT0_Lb1EE4typeES8_NS0_13TensorArgTypeES9_S9_EUllE0_EEvNS0_6detail10TensorInfoIT_T1_EESF_NSC_IKS6_SE_EElS8_S8_SE_T6_
	.globl	_ZN2at4cuda17kernelHistogram1DIhhlLi1ELi2ELin1ELNS0_23CUDAHistogramMemoryTypeE1EZNS0_21CUDA_tensor_histogramIhhLb0EEEbNS_6TensorES4_S4_lNS_14AccumulateTypeIT0_Lb1EE4typeES8_NS0_13TensorArgTypeES9_S9_EUllE0_EEvNS0_6detail10TensorInfoIT_T1_EESF_NSC_IKS6_SE_EElS8_S8_SE_T6_
	.p2align	8
	.type	_ZN2at4cuda17kernelHistogram1DIhhlLi1ELi2ELin1ELNS0_23CUDAHistogramMemoryTypeE1EZNS0_21CUDA_tensor_histogramIhhLb0EEEbNS_6TensorES4_S4_lNS_14AccumulateTypeIT0_Lb1EE4typeES8_NS0_13TensorArgTypeES9_S9_EUllE0_EEvNS0_6detail10TensorInfoIT_T1_EESF_NSC_IKS6_SE_EElS8_S8_SE_T6_,@function
_ZN2at4cuda17kernelHistogram1DIhhlLi1ELi2ELin1ELNS0_23CUDAHistogramMemoryTypeE1EZNS0_21CUDA_tensor_histogramIhhLb0EEEbNS_6TensorES4_S4_lNS_14AccumulateTypeIT0_Lb1EE4typeES8_NS0_13TensorArgTypeES9_S9_EUllE0_EEvNS0_6detail10TensorInfoIT_T1_EESF_NSC_IKS6_SE_EElS8_S8_SE_T6_: ; @_ZN2at4cuda17kernelHistogram1DIhhlLi1ELi2ELin1ELNS0_23CUDAHistogramMemoryTypeE1EZNS0_21CUDA_tensor_histogramIhhLb0EEEbNS_6TensorES4_S4_lNS_14AccumulateTypeIT0_Lb1EE4typeES8_NS0_13TensorArgTypeES9_S9_EUllE0_EEvNS0_6detail10TensorInfoIT_T1_EESF_NSC_IKS6_SE_EElS8_S8_SE_T6_
; %bb.0:
	s_load_b32 s2, s[0:1], 0x514
	s_bfe_u32 s12, ttmp6, 0x4000c
	s_load_b256 s[4:11], s[0:1], 0x4e0
	s_add_co_i32 s12, s12, 1
	s_and_b32 s3, ttmp6, 15
	s_mul_i32 s12, ttmp9, s12
	s_getreg_b32 s13, hwreg(HW_REG_IB_STS2, 6, 4)
	s_add_co_i32 s3, s3, s12
	v_mov_b32_e32 v2, 0
	s_mov_b32 s12, exec_lo
	s_delay_alu instid0(VALU_DEP_1) | instskip(SKIP_4) | instid1(SALU_CYCLE_1)
	v_mov_b32_e32 v1, v2
	s_wait_kmcnt 0x0
	s_and_b32 s2, s2, 0xffff
	s_cmp_eq_u32 s13, 0
	s_cselect_b32 s3, ttmp9, s3
	v_mad_u32 v0, s3, s2, v0
	s_mov_b32 s3, 0
	s_delay_alu instid0(VALU_DEP_1)
	v_cmpx_gt_i64_e64 s[10:11], v[0:1]
	s_cbranch_execz .LBB63_17
; %bb.1:
	s_load_b32 s28, s[0:1], 0x4d8
	s_add_nc_u64 s[20:21], s[0:1], 0x508
	s_load_b32 s22, s[20:21], 0x0
	s_clause 0x3
	s_load_b64 s[12:13], s[0:1], 0x0
	s_load_b64 s[14:15], s[0:1], 0xd0
	;; [unrolled: 1-line block ×4, first 2 shown]
	s_add_nc_u64 s[26:27], s[0:1], 0x340
	s_wait_xcnt 0x0
	s_sub_nc_u64 s[20:21], s[8:9], s[6:7]
	s_mov_b32 s23, s3
	s_mov_b64 s[24:25], 0xffffffff
	s_mov_b32 s40, 0
	s_wait_kmcnt 0x0
	s_mul_i32 s22, s22, s2
	s_cmp_gt_i32 s28, 1
	s_cselect_b32 s1, -1, 0
	s_add_co_i32 s2, s28, -1
	s_add_co_i32 s33, s28, 1
	s_lshl_b64 s[28:29], s[2:3], 3
	s_delay_alu instid0(SALU_CYCLE_1)
	s_add_nc_u64 s[28:29], s[26:27], s[28:29]
	s_ashr_i32 s26, s21, 31
	s_add_nc_u64 s[28:29], s[28:29], 8
	s_branch .LBB63_3
.LBB63_2:                               ;   in Loop: Header=BB63_3 Depth=1
	s_or_b32 exec_lo, exec_lo, s34
	v_add_nc_u64_e32 v[0:1], s[22:23], v[0:1]
	s_delay_alu instid0(VALU_DEP_1) | instskip(SKIP_1) | instid1(SALU_CYCLE_1)
	v_cmp_le_i64_e32 vcc_lo, s[10:11], v[0:1]
	s_or_b32 s40, vcc_lo, s40
	s_and_not1_b32 exec_lo, exec_lo, s40
	s_cbranch_execz .LBB63_17
.LBB63_3:                               ; =>This Loop Header: Depth=1
                                        ;     Child Loop BB63_4 Depth 2
                                        ;     Child Loop BB63_16 Depth 2
	v_mov_b64_e32 v[4:5], 0
	v_mov_b64_e32 v[6:7], v[0:1]
	;; [unrolled: 1-line block ×3, first 2 shown]
	s_and_not1_b32 vcc_lo, exec_lo, s1
	s_mov_b64 s[30:31], s[28:29]
	s_mov_b32 s27, s33
	s_cbranch_vccnz .LBB63_10
.LBB63_4:                               ;   Parent Loop BB63_3 Depth=1
                                        ; =>  This Inner Loop Header: Depth=2
	s_load_b64 s[34:35], s[30:31], 0x0
                                        ; implicit-def: $vgpr8_vgpr9
	s_mov_b32 s0, exec_lo
	s_wait_kmcnt 0x0
	s_delay_alu instid0(VALU_DEP_1) | instskip(NEXT) | instid1(VALU_DEP_1)
	v_or_b32_e32 v3, s35, v7
	v_cmpx_ne_u64_e32 0, v[2:3]
	s_xor_b32 s41, exec_lo, s0
	s_cbranch_execz .LBB63_6
; %bb.5:                                ;   in Loop: Header=BB63_4 Depth=2
	s_ashr_i32 s36, s35, 31
	v_dual_mov_b32 v13, v2 :: v_dual_ashrrev_i32 v8, 31, v7
	s_mov_b32 s37, s36
	s_delay_alu instid0(SALU_CYCLE_1) | instskip(NEXT) | instid1(VALU_DEP_1)
	s_add_nc_u64 s[38:39], s[34:35], s[36:37]
	v_mov_b32_e32 v9, v8
	s_xor_b64 s[38:39], s[38:39], s[36:37]
	s_delay_alu instid0(SALU_CYCLE_1)
	s_cvt_f32_u32 s0, s38
	s_cvt_f32_u32 s2, s39
	s_sub_nc_u64 s[44:45], 0, s[38:39]
	v_add_nc_u64_e32 v[10:11], v[6:7], v[8:9]
	v_mov_b32_e32 v17, v2
	s_fmamk_f32 s0, s2, 0x4f800000, s0
	s_delay_alu instid0(SALU_CYCLE_3) | instskip(NEXT) | instid1(VALU_DEP_2)
	v_s_rcp_f32 s0, s0
	v_xor_b32_e32 v12, v10, v8
	s_delay_alu instid0(VALU_DEP_3) | instskip(SKIP_1) | instid1(TRANS32_DEP_1)
	v_dual_mov_b32 v21, v2 :: v_dual_bitop2_b32 v16, v11, v8 bitop3:0x14
	v_xor_b32_e32 v8, s36, v8
	s_mul_f32 s0, s0, 0x5f7ffffc
	s_delay_alu instid0(SALU_CYCLE_3) | instskip(NEXT) | instid1(SALU_CYCLE_3)
	s_mul_f32 s2, s0, 0x2f800000
	s_trunc_f32 s2, s2
	s_delay_alu instid0(SALU_CYCLE_3) | instskip(SKIP_1) | instid1(SALU_CYCLE_2)
	s_fmamk_f32 s0, s2, 0xcf800000, s0
	s_cvt_u32_f32 s43, s2
	s_cvt_u32_f32 s42, s0
	s_delay_alu instid0(SALU_CYCLE_3) | instskip(NEXT) | instid1(SALU_CYCLE_1)
	s_mul_u64 s[46:47], s[44:45], s[42:43]
	s_mul_hi_u32 s49, s42, s47
	s_mul_i32 s48, s42, s47
	s_mul_hi_u32 s2, s42, s46
	s_mul_i32 s37, s43, s46
	s_add_nc_u64 s[48:49], s[2:3], s[48:49]
	s_mul_hi_u32 s0, s43, s46
	s_mul_hi_u32 s50, s43, s47
	s_add_co_u32 s2, s48, s37
	s_add_co_ci_u32 s2, s49, s0
	s_mul_i32 s46, s43, s47
	s_add_co_ci_u32 s47, s50, 0
	s_delay_alu instid0(SALU_CYCLE_1) | instskip(NEXT) | instid1(SALU_CYCLE_1)
	s_add_nc_u64 s[46:47], s[2:3], s[46:47]
	s_add_co_u32 s42, s42, s46
	s_cselect_b32 s0, -1, 0
	s_delay_alu instid0(SALU_CYCLE_1) | instskip(SKIP_1) | instid1(SALU_CYCLE_1)
	s_cmp_lg_u32 s0, 0
	s_add_co_ci_u32 s43, s43, s47
	s_mul_u64 s[44:45], s[44:45], s[42:43]
	s_delay_alu instid0(SALU_CYCLE_1)
	s_mul_hi_u32 s47, s42, s45
	s_mul_i32 s46, s42, s45
	s_mul_hi_u32 s2, s42, s44
	s_mul_i32 s37, s43, s44
	s_add_nc_u64 s[46:47], s[2:3], s[46:47]
	s_mul_hi_u32 s0, s43, s44
	s_mul_hi_u32 s48, s43, s45
	s_add_co_u32 s2, s46, s37
	s_add_co_ci_u32 s2, s47, s0
	s_mul_i32 s44, s43, s45
	s_add_co_ci_u32 s45, s48, 0
	s_delay_alu instid0(SALU_CYCLE_1) | instskip(NEXT) | instid1(SALU_CYCLE_1)
	s_add_nc_u64 s[44:45], s[2:3], s[44:45]
	s_add_co_u32 s0, s42, s44
	s_cselect_b32 s2, -1, 0
	v_mul_hi_u32 v20, v12, s0
	s_cmp_lg_u32 s2, 0
	s_add_co_ci_u32 s2, s43, s45
	s_and_b64 s[42:43], s[0:1], s[24:25]
	v_mul_u64_e32 v[14:15], s[2:3], v[12:13]
	v_mul_u64_e32 v[10:11], s[42:43], v[16:17]
	;; [unrolled: 1-line block ×3, first 2 shown]
	s_delay_alu instid0(VALU_DEP_3) | instskip(NEXT) | instid1(VALU_DEP_1)
	v_add_nc_u64_e32 v[14:15], v[20:21], v[14:15]
	v_add_co_u32 v3, vcc_lo, v14, v10
	s_delay_alu instid0(VALU_DEP_2) | instskip(NEXT) | instid1(VALU_DEP_4)
	v_add_co_ci_u32_e32 v20, vcc_lo, v15, v11, vcc_lo
	v_add_co_ci_u32_e32 v19, vcc_lo, 0, v19, vcc_lo
	s_delay_alu instid0(VALU_DEP_1) | instskip(NEXT) | instid1(VALU_DEP_1)
	v_add_nc_u64_e32 v[10:11], v[20:21], v[18:19]
	v_mul_u64_e32 v[14:15], s[38:39], v[10:11]
	s_delay_alu instid0(VALU_DEP_1) | instskip(NEXT) | instid1(VALU_DEP_2)
	v_sub_nc_u32_e32 v3, v16, v15
	v_sub_co_u32 v9, vcc_lo, v12, v14
	s_delay_alu instid0(VALU_DEP_1) | instskip(NEXT) | instid1(VALU_DEP_3)
	v_sub_co_ci_u32_e64 v16, null, v16, v15, vcc_lo
	v_subrev_co_ci_u32_e64 v3, null, s39, v3, vcc_lo
	s_delay_alu instid0(VALU_DEP_3) | instskip(SKIP_1) | instid1(VALU_DEP_3)
	v_sub_co_u32 v12, s0, v9, s38
	v_add_nc_u64_e32 v[14:15], 1, v[10:11]
	v_subrev_co_ci_u32_e64 v3, null, 0, v3, s0
	s_delay_alu instid0(VALU_DEP_3) | instskip(SKIP_1) | instid1(VALU_DEP_3)
	v_cmp_le_u32_e32 vcc_lo, s38, v12
	v_cndmask_b32_e64 v12, 0, -1, vcc_lo
	v_cmp_le_u32_e32 vcc_lo, s39, v3
	v_cndmask_b32_e64 v13, 0, -1, vcc_lo
	;; [unrolled: 2-line block ×4, first 2 shown]
	v_cmp_eq_u32_e32 vcc_lo, s39, v3
	v_cndmask_b32_e32 v3, v13, v12, vcc_lo
	v_cmp_eq_u32_e32 vcc_lo, s39, v16
	v_add_nc_u64_e32 v[12:13], 2, v[10:11]
	v_cndmask_b32_e32 v9, v17, v9, vcc_lo
	s_delay_alu instid0(VALU_DEP_4) | instskip(NEXT) | instid1(VALU_DEP_2)
	v_cmp_ne_u32_e32 vcc_lo, 0, v3
	v_cmp_ne_u32_e64 s0, 0, v9
	s_delay_alu instid0(VALU_DEP_4) | instskip(NEXT) | instid1(VALU_DEP_1)
	v_dual_cndmask_b32 v3, v15, v13, vcc_lo :: v_dual_cndmask_b32 v9, v14, v12, vcc_lo
	v_dual_cndmask_b32 v10, v10, v9, s0 :: v_dual_mov_b32 v9, v8
	s_delay_alu instid0(VALU_DEP_1) | instskip(NEXT) | instid1(VALU_DEP_1)
	v_dual_cndmask_b32 v3, v11, v3, s0 :: v_dual_bitop2_b32 v10, v10, v8 bitop3:0x14
	v_xor_b32_e32 v11, v3, v8
	s_delay_alu instid0(VALU_DEP_1)
	v_sub_nc_u64_e32 v[8:9], v[10:11], v[8:9]
.LBB63_6:                               ;   in Loop: Header=BB63_4 Depth=2
	s_and_not1_saveexec_b32 s0, s41
	s_cbranch_execz .LBB63_8
; %bb.7:                                ;   in Loop: Header=BB63_4 Depth=2
	v_cvt_f32_u32_e32 v3, s34
	s_sub_co_i32 s2, 0, s34
	s_delay_alu instid0(VALU_DEP_1) | instskip(SKIP_1) | instid1(TRANS32_DEP_1)
	v_rcp_iflag_f32_e32 v3, v3
	v_nop
	v_mul_f32_e32 v3, 0x4f7ffffe, v3
	s_delay_alu instid0(VALU_DEP_1) | instskip(NEXT) | instid1(VALU_DEP_1)
	v_cvt_u32_f32_e32 v3, v3
	v_mul_lo_u32 v8, s2, v3
	s_delay_alu instid0(VALU_DEP_1) | instskip(NEXT) | instid1(VALU_DEP_1)
	v_mul_hi_u32 v8, v3, v8
	v_add_nc_u32_e32 v3, v3, v8
	s_delay_alu instid0(VALU_DEP_1) | instskip(NEXT) | instid1(VALU_DEP_1)
	v_mul_hi_u32 v3, v6, v3
	v_mul_lo_u32 v8, v3, s34
	s_delay_alu instid0(VALU_DEP_1) | instskip(NEXT) | instid1(VALU_DEP_1)
	v_dual_add_nc_u32 v9, 1, v3 :: v_dual_sub_nc_u32 v8, v6, v8
	v_subrev_nc_u32_e32 v10, s34, v8
	v_cmp_le_u32_e32 vcc_lo, s34, v8
	s_delay_alu instid0(VALU_DEP_2) | instskip(NEXT) | instid1(VALU_DEP_1)
	v_dual_cndmask_b32 v8, v8, v10 :: v_dual_cndmask_b32 v3, v3, v9
	v_cmp_le_u32_e32 vcc_lo, s34, v8
	s_delay_alu instid0(VALU_DEP_2) | instskip(NEXT) | instid1(VALU_DEP_1)
	v_add_nc_u32_e32 v9, 1, v3
	v_dual_cndmask_b32 v8, v3, v9 :: v_dual_mov_b32 v9, v2
.LBB63_8:                               ;   in Loop: Header=BB63_4 Depth=2
	s_or_b32 exec_lo, exec_lo, s0
	s_delay_alu instid0(VALU_DEP_1)
	v_mul_u64_e32 v[10:11], s[34:35], v[8:9]
	s_load_b64 s[34:35], s[30:31], 0xc8
	s_add_co_i32 s27, s27, -1
	s_wait_xcnt 0x0
	s_add_nc_u64 s[30:31], s[30:31], -8
	s_cmp_gt_u32 s27, 2
	s_delay_alu instid0(VALU_DEP_1) | instskip(SKIP_1) | instid1(VALU_DEP_1)
	v_sub_nc_u64_e32 v[6:7], v[6:7], v[10:11]
	s_wait_kmcnt 0x0
	v_mad_nc_u64_u32 v[4:5], s34, v6, v[4:5]
	s_delay_alu instid0(VALU_DEP_1) | instskip(NEXT) | instid1(VALU_DEP_1)
	v_mad_u32 v3, s35, v6, v5
	v_mad_u32 v5, s34, v7, v3
	s_cbranch_scc0 .LBB63_10
; %bb.9:                                ;   in Loop: Header=BB63_4 Depth=2
	v_mov_b64_e32 v[6:7], v[8:9]
	s_branch .LBB63_4
.LBB63_10:                              ;   in Loop: Header=BB63_3 Depth=1
	s_delay_alu instid0(VALU_DEP_1) | instskip(NEXT) | instid1(VALU_DEP_1)
	v_mad_nc_u64_u32 v[6:7], s16, v8, s[18:19]
	v_mad_u32 v3, s17, v8, v7
	s_delay_alu instid0(VALU_DEP_1) | instskip(NEXT) | instid1(VALU_DEP_1)
	v_mad_u32 v7, s16, v9, v3
	v_add_nc_u64_e32 v[4:5], v[6:7], v[4:5]
	global_load_u8 v3, v[4:5], off
	s_wait_xcnt 0x0
	v_mov_b32_e32 v5, s3
	s_wait_loadcnt 0x0
	v_and_b32_e32 v4, 0xffff, v3
	s_delay_alu instid0(VALU_DEP_1) | instskip(SKIP_2) | instid1(SALU_CYCLE_1)
	v_cmp_le_i64_e32 vcc_lo, s[6:7], v[4:5]
	v_cmp_ge_i64_e64 s0, s[8:9], v[4:5]
	s_and_b32 s0, vcc_lo, s0
	s_and_saveexec_b32 s34, s0
	s_cbranch_execz .LBB63_2
; %bb.11:                               ;   in Loop: Header=BB63_3 Depth=1
	v_sub_nc_u64_e64 v[4:5], v[4:5], s[6:7]
                                        ; implicit-def: $vgpr6_vgpr7
	s_mov_b32 s0, exec_lo
	s_delay_alu instid0(VALU_DEP_1) | instskip(NEXT) | instid1(VALU_DEP_1)
	v_mul_u64_e32 v[4:5], s[4:5], v[4:5]
	v_or_b32_e32 v3, s21, v5
	s_delay_alu instid0(VALU_DEP_1)
	v_cmpx_ne_u64_e32 0, v[2:3]
	s_xor_b32 s35, exec_lo, s0
	s_cbranch_execz .LBB63_13
; %bb.12:                               ;   in Loop: Header=BB63_3 Depth=1
	s_mov_b32 s27, s26
	v_dual_mov_b32 v9, v2 :: v_dual_ashrrev_i32 v6, 31, v5
	s_add_nc_u64 s[30:31], s[20:21], s[26:27]
	s_delay_alu instid0(SALU_CYCLE_1) | instskip(NEXT) | instid1(VALU_DEP_1)
	s_xor_b64 s[30:31], s[30:31], s[26:27]
	v_mov_b32_e32 v7, v6
	s_cvt_f32_u32 s0, s30
	s_cvt_f32_u32 s2, s31
	s_sub_nc_u64 s[38:39], 0, s[30:31]
	s_delay_alu instid0(VALU_DEP_1) | instskip(NEXT) | instid1(SALU_CYCLE_1)
	v_add_nc_u64_e32 v[4:5], v[4:5], v[6:7]
	s_fmamk_f32 s0, s2, 0x4f800000, s0
	v_mov_b32_e32 v13, v2
	s_delay_alu instid0(SALU_CYCLE_2) | instskip(NEXT) | instid1(VALU_DEP_2)
	v_s_rcp_f32 s0, s0
	v_xor_b32_e32 v8, v4, v6
	s_delay_alu instid0(VALU_DEP_3) | instskip(NEXT) | instid1(TRANS32_DEP_1)
	v_dual_mov_b32 v17, v2 :: v_dual_bitop2_b32 v12, v5, v6 bitop3:0x14
	s_mul_f32 s0, s0, 0x5f7ffffc
	s_delay_alu instid0(SALU_CYCLE_3) | instskip(NEXT) | instid1(SALU_CYCLE_3)
	s_mul_f32 s2, s0, 0x2f800000
	s_trunc_f32 s2, s2
	s_delay_alu instid0(SALU_CYCLE_3) | instskip(SKIP_1) | instid1(SALU_CYCLE_2)
	s_fmamk_f32 s0, s2, 0xcf800000, s0
	s_cvt_u32_f32 s37, s2
	s_cvt_u32_f32 s36, s0
	s_delay_alu instid0(SALU_CYCLE_3) | instskip(NEXT) | instid1(SALU_CYCLE_1)
	s_mul_u64 s[42:43], s[38:39], s[36:37]
	s_mul_hi_u32 s45, s36, s43
	s_mul_i32 s44, s36, s43
	s_mul_hi_u32 s2, s36, s42
	s_mul_i32 s27, s37, s42
	s_add_nc_u64 s[44:45], s[2:3], s[44:45]
	s_mul_hi_u32 s0, s37, s42
	s_mul_hi_u32 s41, s37, s43
	s_add_co_u32 s2, s44, s27
	s_add_co_ci_u32 s2, s45, s0
	s_mul_i32 s42, s37, s43
	s_add_co_ci_u32 s43, s41, 0
	s_delay_alu instid0(SALU_CYCLE_1) | instskip(NEXT) | instid1(SALU_CYCLE_1)
	s_add_nc_u64 s[42:43], s[2:3], s[42:43]
	s_add_co_u32 s36, s36, s42
	s_cselect_b32 s0, -1, 0
	s_delay_alu instid0(SALU_CYCLE_1) | instskip(SKIP_1) | instid1(SALU_CYCLE_1)
	s_cmp_lg_u32 s0, 0
	s_add_co_ci_u32 s37, s37, s43
	s_mul_u64 s[38:39], s[38:39], s[36:37]
	s_delay_alu instid0(SALU_CYCLE_1)
	s_mul_hi_u32 s43, s36, s39
	s_mul_i32 s42, s36, s39
	s_mul_hi_u32 s2, s36, s38
	s_mul_i32 s27, s37, s38
	s_add_nc_u64 s[42:43], s[2:3], s[42:43]
	s_mul_hi_u32 s0, s37, s38
	s_mul_hi_u32 s41, s37, s39
	s_add_co_u32 s2, s42, s27
	s_add_co_ci_u32 s2, s43, s0
	s_mul_i32 s38, s37, s39
	s_add_co_ci_u32 s39, s41, 0
	s_delay_alu instid0(SALU_CYCLE_1) | instskip(NEXT) | instid1(SALU_CYCLE_1)
	s_add_nc_u64 s[38:39], s[2:3], s[38:39]
	s_add_co_u32 s0, s36, s38
	s_cselect_b32 s2, -1, 0
	v_mul_hi_u32 v16, v8, s0
	s_cmp_lg_u32 s2, 0
	s_add_co_ci_u32 s2, s37, s39
	s_and_b64 s[36:37], s[0:1], s[24:25]
	v_mul_u64_e32 v[10:11], s[2:3], v[8:9]
	v_mul_u64_e32 v[4:5], s[36:37], v[12:13]
	;; [unrolled: 1-line block ×3, first 2 shown]
	s_delay_alu instid0(VALU_DEP_3) | instskip(NEXT) | instid1(VALU_DEP_1)
	v_add_nc_u64_e32 v[10:11], v[16:17], v[10:11]
	v_add_co_u32 v3, vcc_lo, v10, v4
	s_delay_alu instid0(VALU_DEP_2) | instskip(NEXT) | instid1(VALU_DEP_4)
	v_add_co_ci_u32_e32 v16, vcc_lo, v11, v5, vcc_lo
	v_add_co_ci_u32_e32 v15, vcc_lo, 0, v15, vcc_lo
	s_delay_alu instid0(VALU_DEP_1) | instskip(NEXT) | instid1(VALU_DEP_1)
	v_add_nc_u64_e32 v[4:5], v[16:17], v[14:15]
	v_mul_u64_e32 v[10:11], s[30:31], v[4:5]
	s_delay_alu instid0(VALU_DEP_1) | instskip(NEXT) | instid1(VALU_DEP_2)
	v_sub_nc_u32_e32 v3, v12, v11
	v_sub_co_u32 v7, vcc_lo, v8, v10
	s_delay_alu instid0(VALU_DEP_1) | instskip(NEXT) | instid1(VALU_DEP_3)
	v_sub_co_ci_u32_e64 v12, null, v12, v11, vcc_lo
	v_subrev_co_ci_u32_e64 v3, null, s31, v3, vcc_lo
	s_delay_alu instid0(VALU_DEP_3) | instskip(SKIP_1) | instid1(VALU_DEP_3)
	v_sub_co_u32 v8, s0, v7, s30
	v_add_nc_u64_e32 v[10:11], 1, v[4:5]
	v_subrev_co_ci_u32_e64 v3, null, 0, v3, s0
	s_delay_alu instid0(VALU_DEP_3) | instskip(SKIP_1) | instid1(VALU_DEP_3)
	v_cmp_le_u32_e32 vcc_lo, s30, v8
	v_cndmask_b32_e64 v8, 0, -1, vcc_lo
	v_cmp_le_u32_e32 vcc_lo, s31, v3
	v_cndmask_b32_e64 v9, 0, -1, vcc_lo
	;; [unrolled: 2-line block ×4, first 2 shown]
	v_cmp_eq_u32_e32 vcc_lo, s31, v3
	v_cndmask_b32_e32 v3, v9, v8, vcc_lo
	v_cmp_eq_u32_e32 vcc_lo, s31, v12
	v_add_nc_u64_e32 v[8:9], 2, v[4:5]
	v_cndmask_b32_e32 v7, v13, v7, vcc_lo
	s_delay_alu instid0(VALU_DEP_4) | instskip(NEXT) | instid1(VALU_DEP_3)
	v_cmp_ne_u32_e32 vcc_lo, 0, v3
	v_cndmask_b32_e32 v3, v11, v9, vcc_lo
	s_delay_alu instid0(VALU_DEP_3) | instskip(SKIP_1) | instid1(VALU_DEP_2)
	v_cmp_ne_u32_e64 s0, 0, v7
	v_dual_cndmask_b32 v7, v10, v8, vcc_lo :: v_dual_bitop2_b32 v6, s26, v6 bitop3:0x14
	v_cndmask_b32_e64 v3, v5, v3, s0
	s_delay_alu instid0(VALU_DEP_2) | instskip(NEXT) | instid1(VALU_DEP_2)
	v_dual_cndmask_b32 v4, v4, v7, s0 :: v_dual_mov_b32 v7, v6
	v_xor_b32_e32 v5, v3, v6
	s_delay_alu instid0(VALU_DEP_2) | instskip(NEXT) | instid1(VALU_DEP_1)
	v_xor_b32_e32 v4, v4, v6
	v_sub_nc_u64_e32 v[6:7], v[4:5], v[6:7]
                                        ; implicit-def: $vgpr4_vgpr5
.LBB63_13:                              ;   in Loop: Header=BB63_3 Depth=1
	s_and_not1_saveexec_b32 s0, s35
	s_cbranch_execz .LBB63_15
; %bb.14:                               ;   in Loop: Header=BB63_3 Depth=1
	v_cvt_f32_u32_e32 v3, s20
	s_sub_co_i32 s2, 0, s20
	s_delay_alu instid0(VALU_DEP_1) | instskip(SKIP_1) | instid1(TRANS32_DEP_1)
	v_rcp_iflag_f32_e32 v3, v3
	v_nop
	v_mul_f32_e32 v3, 0x4f7ffffe, v3
	s_delay_alu instid0(VALU_DEP_1) | instskip(NEXT) | instid1(VALU_DEP_1)
	v_cvt_u32_f32_e32 v3, v3
	v_mul_lo_u32 v5, s2, v3
	s_delay_alu instid0(VALU_DEP_1) | instskip(NEXT) | instid1(VALU_DEP_1)
	v_mul_hi_u32 v5, v3, v5
	v_add_nc_u32_e32 v3, v3, v5
	s_delay_alu instid0(VALU_DEP_1) | instskip(NEXT) | instid1(VALU_DEP_1)
	v_mul_hi_u32 v3, v4, v3
	v_mul_lo_u32 v5, v3, s20
	s_delay_alu instid0(VALU_DEP_1) | instskip(NEXT) | instid1(VALU_DEP_1)
	v_dual_sub_nc_u32 v4, v4, v5 :: v_dual_add_nc_u32 v5, 1, v3
	v_subrev_nc_u32_e32 v6, s20, v4
	v_cmp_le_u32_e32 vcc_lo, s20, v4
	s_delay_alu instid0(VALU_DEP_2) | instskip(NEXT) | instid1(VALU_DEP_1)
	v_dual_cndmask_b32 v4, v4, v6 :: v_dual_cndmask_b32 v3, v3, v5
	v_cmp_le_u32_e32 vcc_lo, s20, v4
	s_delay_alu instid0(VALU_DEP_2) | instskip(NEXT) | instid1(VALU_DEP_1)
	v_add_nc_u32_e32 v5, 1, v3
	v_cndmask_b32_e32 v6, v3, v5, vcc_lo
.LBB63_15:                              ;   in Loop: Header=BB63_3 Depth=1
	s_or_b32 exec_lo, exec_lo, s0
	s_delay_alu instid0(VALU_DEP_1) | instskip(SKIP_2) | instid1(VALU_DEP_2)
	v_dual_ashrrev_i32 v7, 31, v6 :: v_dual_mov_b32 v5, s3
	s_mov_b32 s0, 0
	v_mov_b32_e32 v9, v2
	v_cmp_eq_u64_e32 vcc_lo, s[4:5], v[6:7]
	v_cndmask_b32_e64 v4, 0, 1, vcc_lo
	s_delay_alu instid0(VALU_DEP_1) | instskip(NEXT) | instid1(VALU_DEP_1)
	v_sub_nc_u64_e32 v[4:5], v[6:7], v[4:5]
	v_mad_nc_u64_u32 v[6:7], v4, s14, s[12:13]
	s_delay_alu instid0(VALU_DEP_1) | instskip(NEXT) | instid1(VALU_DEP_2)
	v_mad_u32 v3, v5, s14, v7
	v_and_b32_e32 v8, 3, v6
	s_delay_alu instid0(VALU_DEP_2) | instskip(NEXT) | instid1(VALU_DEP_2)
	v_mad_u32 v7, v4, s15, v3
	v_sub_nc_u64_e32 v[4:5], 0, v[8:9]
	v_lshlrev_b32_e32 v3, 3, v8
	s_delay_alu instid0(VALU_DEP_2) | instskip(NEXT) | instid1(VALU_DEP_2)
	v_add_nc_u64_e32 v[4:5], v[6:7], v[4:5]
	v_lshlrev_b32_e64 v6, v3, 0xff
	s_delay_alu instid0(VALU_DEP_1)
	v_not_b32_e32 v8, v6
	global_load_b32 v7, v[4:5], off
.LBB63_16:                              ;   Parent Loop BB63_3 Depth=1
                                        ; =>  This Inner Loop Header: Depth=2
	s_wait_loadcnt 0x0
	v_lshrrev_b32_e32 v6, v3, v7
	s_delay_alu instid0(VALU_DEP_1) | instskip(NEXT) | instid1(VALU_DEP_1)
	v_dual_add_nc_u32 v6, 1, v6 :: v_dual_bitop2_b32 v9, v7, v8 bitop3:0x40
	v_and_b32_e32 v6, 0xff, v6
	s_delay_alu instid0(VALU_DEP_1)
	v_lshl_or_b32 v6, v6, v3, v9
	global_atomic_cmpswap_b32 v6, v[4:5], v[6:7], off th:TH_ATOMIC_RETURN scope:SCOPE_DEV
	s_wait_loadcnt 0x0
	v_cmp_eq_u32_e32 vcc_lo, v7, v6
	v_mov_b32_e32 v7, v6
	s_or_b32 s0, vcc_lo, s0
	s_delay_alu instid0(SALU_CYCLE_1)
	s_and_not1_b32 exec_lo, exec_lo, s0
	s_cbranch_execnz .LBB63_16
	s_branch .LBB63_2
.LBB63_17:
	s_endpgm
	.section	.rodata,"a",@progbits
	.p2align	6, 0x0
	.amdhsa_kernel _ZN2at4cuda17kernelHistogram1DIhhlLi1ELi2ELin1ELNS0_23CUDAHistogramMemoryTypeE1EZNS0_21CUDA_tensor_histogramIhhLb0EEEbNS_6TensorES4_S4_lNS_14AccumulateTypeIT0_Lb1EE4typeES8_NS0_13TensorArgTypeES9_S9_EUllE0_EEvNS0_6detail10TensorInfoIT_T1_EESF_NSC_IKS6_SE_EElS8_S8_SE_T6_
		.amdhsa_group_segment_fixed_size 0
		.amdhsa_private_segment_fixed_size 0
		.amdhsa_kernarg_size 1544
		.amdhsa_user_sgpr_count 2
		.amdhsa_user_sgpr_dispatch_ptr 0
		.amdhsa_user_sgpr_queue_ptr 0
		.amdhsa_user_sgpr_kernarg_segment_ptr 1
		.amdhsa_user_sgpr_dispatch_id 0
		.amdhsa_user_sgpr_kernarg_preload_length 0
		.amdhsa_user_sgpr_kernarg_preload_offset 0
		.amdhsa_user_sgpr_private_segment_size 0
		.amdhsa_wavefront_size32 1
		.amdhsa_uses_dynamic_stack 0
		.amdhsa_enable_private_segment 0
		.amdhsa_system_sgpr_workgroup_id_x 1
		.amdhsa_system_sgpr_workgroup_id_y 0
		.amdhsa_system_sgpr_workgroup_id_z 0
		.amdhsa_system_sgpr_workgroup_info 0
		.amdhsa_system_vgpr_workitem_id 0
		.amdhsa_next_free_vgpr 22
		.amdhsa_next_free_sgpr 51
		.amdhsa_named_barrier_count 0
		.amdhsa_reserve_vcc 1
		.amdhsa_float_round_mode_32 0
		.amdhsa_float_round_mode_16_64 0
		.amdhsa_float_denorm_mode_32 3
		.amdhsa_float_denorm_mode_16_64 3
		.amdhsa_fp16_overflow 0
		.amdhsa_memory_ordered 1
		.amdhsa_forward_progress 1
		.amdhsa_inst_pref_size 18
		.amdhsa_round_robin_scheduling 0
		.amdhsa_exception_fp_ieee_invalid_op 0
		.amdhsa_exception_fp_denorm_src 0
		.amdhsa_exception_fp_ieee_div_zero 0
		.amdhsa_exception_fp_ieee_overflow 0
		.amdhsa_exception_fp_ieee_underflow 0
		.amdhsa_exception_fp_ieee_inexact 0
		.amdhsa_exception_int_div_zero 0
	.end_amdhsa_kernel
	.section	.text._ZN2at4cuda17kernelHistogram1DIhhlLi1ELi2ELin1ELNS0_23CUDAHistogramMemoryTypeE1EZNS0_21CUDA_tensor_histogramIhhLb0EEEbNS_6TensorES4_S4_lNS_14AccumulateTypeIT0_Lb1EE4typeES8_NS0_13TensorArgTypeES9_S9_EUllE0_EEvNS0_6detail10TensorInfoIT_T1_EESF_NSC_IKS6_SE_EElS8_S8_SE_T6_,"axG",@progbits,_ZN2at4cuda17kernelHistogram1DIhhlLi1ELi2ELin1ELNS0_23CUDAHistogramMemoryTypeE1EZNS0_21CUDA_tensor_histogramIhhLb0EEEbNS_6TensorES4_S4_lNS_14AccumulateTypeIT0_Lb1EE4typeES8_NS0_13TensorArgTypeES9_S9_EUllE0_EEvNS0_6detail10TensorInfoIT_T1_EESF_NSC_IKS6_SE_EElS8_S8_SE_T6_,comdat
.Lfunc_end63:
	.size	_ZN2at4cuda17kernelHistogram1DIhhlLi1ELi2ELin1ELNS0_23CUDAHistogramMemoryTypeE1EZNS0_21CUDA_tensor_histogramIhhLb0EEEbNS_6TensorES4_S4_lNS_14AccumulateTypeIT0_Lb1EE4typeES8_NS0_13TensorArgTypeES9_S9_EUllE0_EEvNS0_6detail10TensorInfoIT_T1_EESF_NSC_IKS6_SE_EElS8_S8_SE_T6_, .Lfunc_end63-_ZN2at4cuda17kernelHistogram1DIhhlLi1ELi2ELin1ELNS0_23CUDAHistogramMemoryTypeE1EZNS0_21CUDA_tensor_histogramIhhLb0EEEbNS_6TensorES4_S4_lNS_14AccumulateTypeIT0_Lb1EE4typeES8_NS0_13TensorArgTypeES9_S9_EUllE0_EEvNS0_6detail10TensorInfoIT_T1_EESF_NSC_IKS6_SE_EElS8_S8_SE_T6_
                                        ; -- End function
	.set _ZN2at4cuda17kernelHistogram1DIhhlLi1ELi2ELin1ELNS0_23CUDAHistogramMemoryTypeE1EZNS0_21CUDA_tensor_histogramIhhLb0EEEbNS_6TensorES4_S4_lNS_14AccumulateTypeIT0_Lb1EE4typeES8_NS0_13TensorArgTypeES9_S9_EUllE0_EEvNS0_6detail10TensorInfoIT_T1_EESF_NSC_IKS6_SE_EElS8_S8_SE_T6_.num_vgpr, 22
	.set _ZN2at4cuda17kernelHistogram1DIhhlLi1ELi2ELin1ELNS0_23CUDAHistogramMemoryTypeE1EZNS0_21CUDA_tensor_histogramIhhLb0EEEbNS_6TensorES4_S4_lNS_14AccumulateTypeIT0_Lb1EE4typeES8_NS0_13TensorArgTypeES9_S9_EUllE0_EEvNS0_6detail10TensorInfoIT_T1_EESF_NSC_IKS6_SE_EElS8_S8_SE_T6_.num_agpr, 0
	.set _ZN2at4cuda17kernelHistogram1DIhhlLi1ELi2ELin1ELNS0_23CUDAHistogramMemoryTypeE1EZNS0_21CUDA_tensor_histogramIhhLb0EEEbNS_6TensorES4_S4_lNS_14AccumulateTypeIT0_Lb1EE4typeES8_NS0_13TensorArgTypeES9_S9_EUllE0_EEvNS0_6detail10TensorInfoIT_T1_EESF_NSC_IKS6_SE_EElS8_S8_SE_T6_.numbered_sgpr, 51
	.set _ZN2at4cuda17kernelHistogram1DIhhlLi1ELi2ELin1ELNS0_23CUDAHistogramMemoryTypeE1EZNS0_21CUDA_tensor_histogramIhhLb0EEEbNS_6TensorES4_S4_lNS_14AccumulateTypeIT0_Lb1EE4typeES8_NS0_13TensorArgTypeES9_S9_EUllE0_EEvNS0_6detail10TensorInfoIT_T1_EESF_NSC_IKS6_SE_EElS8_S8_SE_T6_.num_named_barrier, 0
	.set _ZN2at4cuda17kernelHistogram1DIhhlLi1ELi2ELin1ELNS0_23CUDAHistogramMemoryTypeE1EZNS0_21CUDA_tensor_histogramIhhLb0EEEbNS_6TensorES4_S4_lNS_14AccumulateTypeIT0_Lb1EE4typeES8_NS0_13TensorArgTypeES9_S9_EUllE0_EEvNS0_6detail10TensorInfoIT_T1_EESF_NSC_IKS6_SE_EElS8_S8_SE_T6_.private_seg_size, 0
	.set _ZN2at4cuda17kernelHistogram1DIhhlLi1ELi2ELin1ELNS0_23CUDAHistogramMemoryTypeE1EZNS0_21CUDA_tensor_histogramIhhLb0EEEbNS_6TensorES4_S4_lNS_14AccumulateTypeIT0_Lb1EE4typeES8_NS0_13TensorArgTypeES9_S9_EUllE0_EEvNS0_6detail10TensorInfoIT_T1_EESF_NSC_IKS6_SE_EElS8_S8_SE_T6_.uses_vcc, 1
	.set _ZN2at4cuda17kernelHistogram1DIhhlLi1ELi2ELin1ELNS0_23CUDAHistogramMemoryTypeE1EZNS0_21CUDA_tensor_histogramIhhLb0EEEbNS_6TensorES4_S4_lNS_14AccumulateTypeIT0_Lb1EE4typeES8_NS0_13TensorArgTypeES9_S9_EUllE0_EEvNS0_6detail10TensorInfoIT_T1_EESF_NSC_IKS6_SE_EElS8_S8_SE_T6_.uses_flat_scratch, 0
	.set _ZN2at4cuda17kernelHistogram1DIhhlLi1ELi2ELin1ELNS0_23CUDAHistogramMemoryTypeE1EZNS0_21CUDA_tensor_histogramIhhLb0EEEbNS_6TensorES4_S4_lNS_14AccumulateTypeIT0_Lb1EE4typeES8_NS0_13TensorArgTypeES9_S9_EUllE0_EEvNS0_6detail10TensorInfoIT_T1_EESF_NSC_IKS6_SE_EElS8_S8_SE_T6_.has_dyn_sized_stack, 0
	.set _ZN2at4cuda17kernelHistogram1DIhhlLi1ELi2ELin1ELNS0_23CUDAHistogramMemoryTypeE1EZNS0_21CUDA_tensor_histogramIhhLb0EEEbNS_6TensorES4_S4_lNS_14AccumulateTypeIT0_Lb1EE4typeES8_NS0_13TensorArgTypeES9_S9_EUllE0_EEvNS0_6detail10TensorInfoIT_T1_EESF_NSC_IKS6_SE_EElS8_S8_SE_T6_.has_recursion, 0
	.set _ZN2at4cuda17kernelHistogram1DIhhlLi1ELi2ELin1ELNS0_23CUDAHistogramMemoryTypeE1EZNS0_21CUDA_tensor_histogramIhhLb0EEEbNS_6TensorES4_S4_lNS_14AccumulateTypeIT0_Lb1EE4typeES8_NS0_13TensorArgTypeES9_S9_EUllE0_EEvNS0_6detail10TensorInfoIT_T1_EESF_NSC_IKS6_SE_EElS8_S8_SE_T6_.has_indirect_call, 0
	.section	.AMDGPU.csdata,"",@progbits
; Kernel info:
; codeLenInByte = 2204
; TotalNumSgprs: 53
; NumVgprs: 22
; ScratchSize: 0
; MemoryBound: 0
; FloatMode: 240
; IeeeMode: 1
; LDSByteSize: 0 bytes/workgroup (compile time only)
; SGPRBlocks: 0
; VGPRBlocks: 1
; NumSGPRsForWavesPerEU: 53
; NumVGPRsForWavesPerEU: 22
; NamedBarCnt: 0
; Occupancy: 16
; WaveLimiterHint : 1
; COMPUTE_PGM_RSRC2:SCRATCH_EN: 0
; COMPUTE_PGM_RSRC2:USER_SGPR: 2
; COMPUTE_PGM_RSRC2:TRAP_HANDLER: 0
; COMPUTE_PGM_RSRC2:TGID_X_EN: 1
; COMPUTE_PGM_RSRC2:TGID_Y_EN: 0
; COMPUTE_PGM_RSRC2:TGID_Z_EN: 0
; COMPUTE_PGM_RSRC2:TIDIG_COMP_CNT: 0
	.section	.text._ZN2at4cuda17kernelHistogram1DIaalLi1ELi2ELin1ELNS0_23CUDAHistogramMemoryTypeE0EZNS0_21CUDA_tensor_histogramIaaLb0EEEbNS_6TensorES4_S4_lNS_14AccumulateTypeIT0_Lb1EE4typeES8_NS0_13TensorArgTypeES9_S9_EUllE_EEvNS0_6detail10TensorInfoIT_T1_EESF_NSC_IKS6_SE_EElS8_S8_SE_T6_,"axG",@progbits,_ZN2at4cuda17kernelHistogram1DIaalLi1ELi2ELin1ELNS0_23CUDAHistogramMemoryTypeE0EZNS0_21CUDA_tensor_histogramIaaLb0EEEbNS_6TensorES4_S4_lNS_14AccumulateTypeIT0_Lb1EE4typeES8_NS0_13TensorArgTypeES9_S9_EUllE_EEvNS0_6detail10TensorInfoIT_T1_EESF_NSC_IKS6_SE_EElS8_S8_SE_T6_,comdat
	.protected	_ZN2at4cuda17kernelHistogram1DIaalLi1ELi2ELin1ELNS0_23CUDAHistogramMemoryTypeE0EZNS0_21CUDA_tensor_histogramIaaLb0EEEbNS_6TensorES4_S4_lNS_14AccumulateTypeIT0_Lb1EE4typeES8_NS0_13TensorArgTypeES9_S9_EUllE_EEvNS0_6detail10TensorInfoIT_T1_EESF_NSC_IKS6_SE_EElS8_S8_SE_T6_ ; -- Begin function _ZN2at4cuda17kernelHistogram1DIaalLi1ELi2ELin1ELNS0_23CUDAHistogramMemoryTypeE0EZNS0_21CUDA_tensor_histogramIaaLb0EEEbNS_6TensorES4_S4_lNS_14AccumulateTypeIT0_Lb1EE4typeES8_NS0_13TensorArgTypeES9_S9_EUllE_EEvNS0_6detail10TensorInfoIT_T1_EESF_NSC_IKS6_SE_EElS8_S8_SE_T6_
	.globl	_ZN2at4cuda17kernelHistogram1DIaalLi1ELi2ELin1ELNS0_23CUDAHistogramMemoryTypeE0EZNS0_21CUDA_tensor_histogramIaaLb0EEEbNS_6TensorES4_S4_lNS_14AccumulateTypeIT0_Lb1EE4typeES8_NS0_13TensorArgTypeES9_S9_EUllE_EEvNS0_6detail10TensorInfoIT_T1_EESF_NSC_IKS6_SE_EElS8_S8_SE_T6_
	.p2align	8
	.type	_ZN2at4cuda17kernelHistogram1DIaalLi1ELi2ELin1ELNS0_23CUDAHistogramMemoryTypeE0EZNS0_21CUDA_tensor_histogramIaaLb0EEEbNS_6TensorES4_S4_lNS_14AccumulateTypeIT0_Lb1EE4typeES8_NS0_13TensorArgTypeES9_S9_EUllE_EEvNS0_6detail10TensorInfoIT_T1_EESF_NSC_IKS6_SE_EElS8_S8_SE_T6_,@function
_ZN2at4cuda17kernelHistogram1DIaalLi1ELi2ELin1ELNS0_23CUDAHistogramMemoryTypeE0EZNS0_21CUDA_tensor_histogramIaaLb0EEEbNS_6TensorES4_S4_lNS_14AccumulateTypeIT0_Lb1EE4typeES8_NS0_13TensorArgTypeES9_S9_EUllE_EEvNS0_6detail10TensorInfoIT_T1_EESF_NSC_IKS6_SE_EElS8_S8_SE_T6_: ; @_ZN2at4cuda17kernelHistogram1DIaalLi1ELi2ELin1ELNS0_23CUDAHistogramMemoryTypeE0EZNS0_21CUDA_tensor_histogramIaaLb0EEEbNS_6TensorES4_S4_lNS_14AccumulateTypeIT0_Lb1EE4typeES8_NS0_13TensorArgTypeES9_S9_EUllE_EEvNS0_6detail10TensorInfoIT_T1_EESF_NSC_IKS6_SE_EElS8_S8_SE_T6_
; %bb.0:
	s_clause 0x2
	s_load_b128 s[12:15], s[0:1], 0x0
	s_load_b64 s[16:17], s[0:1], 0x500
	s_load_b256 s[4:11], s[0:1], 0x4e0
	v_mov_b32_e32 v1, 0
	s_add_nc_u64 s[28:29], s[0:1], 0x6a0
	s_mov_b32 s3, exec_lo
                                        ; implicit-def: $sgpr18
	s_wait_kmcnt 0x0
	s_delay_alu instid0(VALU_DEP_1)
	v_cmp_gt_i64_e64 s2, s[14:15], v[0:1]
	v_cmpx_le_i64_e64 s[14:15], v[0:1]
	s_xor_b32 s3, exec_lo, s3
; %bb.1:
	s_load_b32 s18, s[28:29], 0xc
; %bb.2:
	s_or_saveexec_b32 s3, s3
	s_wait_kmcnt 0x0
	v_mov_b32_e32 v4, s18
	s_xor_b32 exec_lo, exec_lo, s3
	s_cbranch_execz .LBB64_12
; %bb.3:
	v_dual_mov_b32 v3, 0 :: v_dual_add_nc_u32 v2, 1, v0
	s_load_b32 s20, s[28:29], 0xc
	s_mov_b32 s22, -1
	s_delay_alu instid0(VALU_DEP_1) | instskip(SKIP_2) | instid1(SALU_CYCLE_1)
	v_max_i64 v[2:3], s[14:15], v[2:3]
	s_wait_kmcnt 0x0
	s_and_b32 s18, s20, 0xffff
	s_cmp_eq_u32 s18, 1
	s_cselect_b32 s19, -1, 0
	s_delay_alu instid0(VALU_DEP_1) | instskip(SKIP_1) | instid1(VALU_DEP_2)
	v_sub_nc_u64_e32 v[4:5], v[2:3], v[0:1]
	v_mov_b64_e32 v[2:3], v[0:1]
	v_cmp_lt_u64_e32 vcc_lo, 7, v[4:5]
	s_and_b32 s21, vcc_lo, s19
	s_delay_alu instid0(SALU_CYCLE_1)
	s_and_saveexec_b32 s19, s21
	s_cbranch_execz .LBB64_7
; %bb.4:
	v_dual_mov_b32 v3, v5 :: v_dual_bitop2_b32 v2, -8, v4 bitop3:0x40
	v_mov_b64_e32 v[6:7], 0
	v_add_nc_u32_e32 v10, 0, v0
	s_mov_b32 s21, 0
	s_delay_alu instid0(VALU_DEP_3)
	v_mov_b64_e32 v[8:9], v[2:3]
.LBB64_5:                               ; =>This Inner Loop Header: Depth=1
	s_delay_alu instid0(VALU_DEP_1) | instskip(SKIP_4) | instid1(SALU_CYCLE_1)
	v_add_nc_u64_e32 v[8:9], -8, v[8:9]
	ds_store_b64 v10, v[6:7]
	v_add_nc_u32_e32 v10, 8, v10
	v_cmp_eq_u64_e32 vcc_lo, 0, v[8:9]
	s_or_b32 s21, vcc_lo, s21
	s_and_not1_b32 exec_lo, exec_lo, s21
	s_cbranch_execnz .LBB64_5
; %bb.6:
	s_or_b32 exec_lo, exec_lo, s21
	v_cmp_ne_u64_e32 vcc_lo, v[4:5], v[2:3]
	v_add_nc_u64_e32 v[2:3], v[2:3], v[0:1]
	s_or_not1_b32 s22, vcc_lo, exec_lo
.LBB64_7:
	s_or_b32 exec_lo, exec_lo, s19
	v_mov_b32_e32 v4, 1
	s_and_saveexec_b32 s21, s22
	s_cbranch_execz .LBB64_11
; %bb.8:
	s_delay_alu instid0(VALU_DEP_2) | instskip(SKIP_1) | instid1(SALU_CYCLE_1)
	v_dual_mov_b32 v5, 0 :: v_dual_add_nc_u32 v4, 0, v2
	s_mov_b32 s19, 0
	s_mov_b32 s22, s19
.LBB64_9:                               ; =>This Inner Loop Header: Depth=1
	v_add_nc_u64_e32 v[2:3], s[18:19], v[2:3]
	ds_store_b8 v4, v5
	v_add_nc_u32_e32 v4, s18, v4
	v_cmp_le_i64_e32 vcc_lo, s[14:15], v[2:3]
	s_or_b32 s22, vcc_lo, s22
	s_delay_alu instid0(SALU_CYCLE_1)
	s_and_not1_b32 exec_lo, exec_lo, s22
	s_cbranch_execnz .LBB64_9
; %bb.10:
	s_or_b32 exec_lo, exec_lo, s22
	v_mov_b32_e32 v4, s20
.LBB64_11:
	s_or_b32 exec_lo, exec_lo, s21
.LBB64_12:
	s_delay_alu instid0(SALU_CYCLE_1)
	s_or_b32 exec_lo, exec_lo, s3
	s_bfe_u32 s3, ttmp6, 0x4000c
	s_and_b32 s18, ttmp6, 15
	s_add_co_i32 s3, s3, 1
	s_getreg_b32 s19, hwreg(HW_REG_IB_STS2, 6, 4)
	s_mul_i32 s3, ttmp9, s3
	v_and_b32_e32 v2, 0xffff, v4
	s_add_co_i32 s3, s18, s3
	s_cmp_eq_u32 s19, 0
	s_load_b64 s[18:19], s[0:1], 0xd0
	s_cselect_b32 s3, ttmp9, s3
	v_mov_b32_e32 v6, 0
	v_mad_u32 v4, s3, v2, v0
	s_mov_b32 s21, 0
	s_mov_b32 s3, exec_lo
	s_wait_dscnt 0x0
	v_mov_b32_e32 v5, v6
	s_barrier_signal -1
	s_barrier_wait -1
	s_delay_alu instid0(VALU_DEP_1)
	v_cmpx_gt_i64_e64 s[10:11], v[4:5]
	s_cbranch_execz .LBB64_29
; %bb.13:
	s_load_b32 s33, s[0:1], 0x4d8
	s_load_b32 s20, s[28:29], 0x0
	s_clause 0x2
	s_load_b64 s[22:23], s[0:1], 0x5d0
	s_load_b64 s[24:25], s[0:1], 0x410
	;; [unrolled: 1-line block ×3, first 2 shown]
	s_add_nc_u64 s[34:35], s[0:1], 0x340
	v_mov_b32_e32 v9, v6
	s_wait_xcnt 0x0
	s_sub_nc_u64 s[28:29], s[8:9], s[6:7]
	s_mov_b64 s[30:31], 0xffffffff
	s_mov_b32 s46, 0
	s_wait_kmcnt 0x0
	s_cmp_gt_i32 s33, 1
	v_mul_lo_u32 v8, s20, v2
	s_cselect_b32 s1, -1, 0
	s_add_co_i32 s20, s33, -1
	s_add_co_i32 s33, s33, 1
	s_lshl_b64 s[36:37], s[20:21], 3
	s_delay_alu instid0(SALU_CYCLE_1)
	s_add_nc_u64 s[34:35], s[34:35], s[36:37]
	s_ashr_i32 s36, s29, 31
	s_add_nc_u64 s[34:35], s[34:35], 8
	s_branch .LBB64_15
.LBB64_14:                              ;   in Loop: Header=BB64_15 Depth=1
	s_or_b32 exec_lo, exec_lo, s40
	v_add_nc_u64_e32 v[4:5], v[4:5], v[8:9]
	s_delay_alu instid0(VALU_DEP_1) | instskip(SKIP_1) | instid1(SALU_CYCLE_1)
	v_cmp_le_i64_e32 vcc_lo, s[10:11], v[4:5]
	s_or_b32 s46, vcc_lo, s46
	s_and_not1_b32 exec_lo, exec_lo, s46
	s_cbranch_execz .LBB64_29
.LBB64_15:                              ; =>This Loop Header: Depth=1
                                        ;     Child Loop BB64_16 Depth 2
                                        ;     Child Loop BB64_28 Depth 2
	v_mov_b64_e32 v[10:11], 0
	v_mov_b64_e32 v[12:13], v[4:5]
	;; [unrolled: 1-line block ×3, first 2 shown]
	s_and_not1_b32 vcc_lo, exec_lo, s1
	s_mov_b64 s[38:39], s[34:35]
	s_mov_b32 s37, s33
	s_cbranch_vccnz .LBB64_22
.LBB64_16:                              ;   Parent Loop BB64_15 Depth=1
                                        ; =>  This Inner Loop Header: Depth=2
	s_load_b64 s[40:41], s[38:39], 0x0
                                        ; implicit-def: $vgpr14_vgpr15
	s_mov_b32 s0, exec_lo
	s_wait_kmcnt 0x0
	s_delay_alu instid0(VALU_DEP_1) | instskip(NEXT) | instid1(VALU_DEP_1)
	v_or_b32_e32 v7, s41, v13
	v_cmpx_ne_u64_e32 0, v[6:7]
	s_xor_b32 s47, exec_lo, s0
	s_cbranch_execz .LBB64_18
; %bb.17:                               ;   in Loop: Header=BB64_16 Depth=2
	s_ashr_i32 s42, s41, 31
	v_dual_mov_b32 v19, v6 :: v_dual_ashrrev_i32 v14, 31, v13
	s_mov_b32 s43, s42
	v_mov_b32_e32 v27, v6
	s_add_nc_u64 s[44:45], s[40:41], s[42:43]
	s_delay_alu instid0(VALU_DEP_2) | instskip(SKIP_1) | instid1(SALU_CYCLE_1)
	v_mov_b32_e32 v15, v14
	s_xor_b64 s[44:45], s[44:45], s[42:43]
	s_cvt_f32_u32 s0, s44
	s_cvt_f32_u32 s20, s45
	s_sub_nc_u64 s[50:51], 0, s[44:45]
	v_add_nc_u64_e32 v[16:17], v[12:13], v[14:15]
	v_mov_b32_e32 v23, v6
	s_fmamk_f32 s0, s20, 0x4f800000, s0
	s_delay_alu instid0(SALU_CYCLE_3) | instskip(NEXT) | instid1(VALU_DEP_2)
	v_s_rcp_f32 s0, s0
	v_xor_b32_e32 v18, v16, v14
	s_delay_alu instid0(VALU_DEP_3) | instskip(SKIP_1) | instid1(TRANS32_DEP_1)
	v_xor_b32_e32 v22, v17, v14
	v_xor_b32_e32 v14, s42, v14
	s_mul_f32 s0, s0, 0x5f7ffffc
	s_delay_alu instid0(SALU_CYCLE_3) | instskip(NEXT) | instid1(SALU_CYCLE_3)
	s_mul_f32 s20, s0, 0x2f800000
	s_trunc_f32 s20, s20
	s_delay_alu instid0(SALU_CYCLE_3) | instskip(SKIP_1) | instid1(SALU_CYCLE_2)
	s_fmamk_f32 s0, s20, 0xcf800000, s0
	s_cvt_u32_f32 s49, s20
	s_cvt_u32_f32 s48, s0
	s_delay_alu instid0(SALU_CYCLE_3) | instskip(NEXT) | instid1(SALU_CYCLE_1)
	s_mul_u64 s[52:53], s[50:51], s[48:49]
	s_mul_hi_u32 s55, s48, s53
	s_mul_i32 s54, s48, s53
	s_mul_hi_u32 s20, s48, s52
	s_mul_i32 s43, s49, s52
	s_add_nc_u64 s[54:55], s[20:21], s[54:55]
	s_mul_hi_u32 s0, s49, s52
	s_mul_hi_u32 s56, s49, s53
	s_add_co_u32 s20, s54, s43
	s_add_co_ci_u32 s20, s55, s0
	s_mul_i32 s52, s49, s53
	s_add_co_ci_u32 s53, s56, 0
	s_delay_alu instid0(SALU_CYCLE_1) | instskip(NEXT) | instid1(SALU_CYCLE_1)
	s_add_nc_u64 s[52:53], s[20:21], s[52:53]
	s_add_co_u32 s48, s48, s52
	s_cselect_b32 s0, -1, 0
	s_delay_alu instid0(SALU_CYCLE_1) | instskip(SKIP_1) | instid1(SALU_CYCLE_1)
	s_cmp_lg_u32 s0, 0
	s_add_co_ci_u32 s49, s49, s53
	s_mul_u64 s[50:51], s[50:51], s[48:49]
	s_delay_alu instid0(SALU_CYCLE_1)
	s_mul_hi_u32 s53, s48, s51
	s_mul_i32 s52, s48, s51
	s_mul_hi_u32 s20, s48, s50
	s_mul_i32 s43, s49, s50
	s_add_nc_u64 s[52:53], s[20:21], s[52:53]
	s_mul_hi_u32 s0, s49, s50
	s_mul_hi_u32 s54, s49, s51
	s_add_co_u32 s20, s52, s43
	s_add_co_ci_u32 s20, s53, s0
	s_mul_i32 s50, s49, s51
	s_add_co_ci_u32 s51, s54, 0
	s_delay_alu instid0(SALU_CYCLE_1) | instskip(NEXT) | instid1(SALU_CYCLE_1)
	s_add_nc_u64 s[50:51], s[20:21], s[50:51]
	s_add_co_u32 s0, s48, s50
	s_cselect_b32 s20, -1, 0
	v_mul_hi_u32 v26, v18, s0
	s_cmp_lg_u32 s20, 0
	s_add_co_ci_u32 s20, s49, s51
	s_and_b64 s[48:49], s[0:1], s[30:31]
	v_mul_u64_e32 v[20:21], s[20:21], v[18:19]
	v_mul_u64_e32 v[16:17], s[48:49], v[22:23]
	;; [unrolled: 1-line block ×3, first 2 shown]
	s_delay_alu instid0(VALU_DEP_3) | instskip(NEXT) | instid1(VALU_DEP_1)
	v_add_nc_u64_e32 v[20:21], v[26:27], v[20:21]
	v_add_co_u32 v3, vcc_lo, v20, v16
	s_delay_alu instid0(VALU_DEP_2) | instskip(NEXT) | instid1(VALU_DEP_4)
	v_add_co_ci_u32_e32 v26, vcc_lo, v21, v17, vcc_lo
	v_add_co_ci_u32_e32 v25, vcc_lo, 0, v25, vcc_lo
	s_delay_alu instid0(VALU_DEP_1) | instskip(NEXT) | instid1(VALU_DEP_1)
	v_add_nc_u64_e32 v[16:17], v[26:27], v[24:25]
	v_mul_u64_e32 v[20:21], s[44:45], v[16:17]
	s_delay_alu instid0(VALU_DEP_1) | instskip(NEXT) | instid1(VALU_DEP_2)
	v_sub_nc_u32_e32 v3, v22, v21
	v_sub_co_u32 v7, vcc_lo, v18, v20
	s_delay_alu instid0(VALU_DEP_1) | instskip(NEXT) | instid1(VALU_DEP_3)
	v_sub_co_ci_u32_e64 v22, null, v22, v21, vcc_lo
	v_subrev_co_ci_u32_e64 v3, null, s45, v3, vcc_lo
	s_delay_alu instid0(VALU_DEP_3) | instskip(SKIP_1) | instid1(VALU_DEP_3)
	v_sub_co_u32 v15, s0, v7, s44
	v_add_nc_u64_e32 v[20:21], 1, v[16:17]
	v_subrev_co_ci_u32_e64 v3, null, 0, v3, s0
	s_delay_alu instid0(VALU_DEP_3) | instskip(SKIP_1) | instid1(VALU_DEP_3)
	v_cmp_le_u32_e32 vcc_lo, s44, v15
	v_cndmask_b32_e64 v15, 0, -1, vcc_lo
	v_cmp_le_u32_e32 vcc_lo, s45, v3
	v_cndmask_b32_e64 v18, 0, -1, vcc_lo
	;; [unrolled: 2-line block ×4, first 2 shown]
	v_cmp_eq_u32_e32 vcc_lo, s45, v3
	v_cndmask_b32_e32 v3, v18, v15, vcc_lo
	v_cmp_eq_u32_e32 vcc_lo, s45, v22
	v_add_nc_u64_e32 v[18:19], 2, v[16:17]
	v_dual_mov_b32 v15, v14 :: v_dual_cndmask_b32 v7, v23, v7, vcc_lo
	s_delay_alu instid0(VALU_DEP_4) | instskip(NEXT) | instid1(VALU_DEP_2)
	v_cmp_ne_u32_e32 vcc_lo, 0, v3
	v_cmp_ne_u32_e64 s0, 0, v7
	s_delay_alu instid0(VALU_DEP_4) | instskip(NEXT) | instid1(VALU_DEP_1)
	v_dual_cndmask_b32 v3, v21, v19, vcc_lo :: v_dual_cndmask_b32 v7, v20, v18, vcc_lo
	v_cndmask_b32_e64 v7, v16, v7, s0
	s_delay_alu instid0(VALU_DEP_1) | instskip(NEXT) | instid1(VALU_DEP_1)
	v_dual_cndmask_b32 v3, v17, v3, s0 :: v_dual_bitop2_b32 v16, v7, v14 bitop3:0x14
	v_xor_b32_e32 v17, v3, v14
	s_delay_alu instid0(VALU_DEP_1)
	v_sub_nc_u64_e32 v[14:15], v[16:17], v[14:15]
.LBB64_18:                              ;   in Loop: Header=BB64_16 Depth=2
	s_and_not1_saveexec_b32 s0, s47
	s_cbranch_execz .LBB64_20
; %bb.19:                               ;   in Loop: Header=BB64_16 Depth=2
	v_cvt_f32_u32_e32 v3, s40
	s_sub_co_i32 s20, 0, s40
	s_delay_alu instid0(VALU_DEP_1) | instskip(SKIP_1) | instid1(TRANS32_DEP_1)
	v_rcp_iflag_f32_e32 v3, v3
	v_nop
	v_mul_f32_e32 v3, 0x4f7ffffe, v3
	s_delay_alu instid0(VALU_DEP_1) | instskip(NEXT) | instid1(VALU_DEP_1)
	v_cvt_u32_f32_e32 v3, v3
	v_mul_lo_u32 v7, s20, v3
	s_delay_alu instid0(VALU_DEP_1) | instskip(NEXT) | instid1(VALU_DEP_1)
	v_mul_hi_u32 v7, v3, v7
	v_add_nc_u32_e32 v3, v3, v7
	s_delay_alu instid0(VALU_DEP_1) | instskip(NEXT) | instid1(VALU_DEP_1)
	v_mul_hi_u32 v3, v12, v3
	v_mul_lo_u32 v7, v3, s40
	v_add_nc_u32_e32 v14, 1, v3
	s_delay_alu instid0(VALU_DEP_2) | instskip(NEXT) | instid1(VALU_DEP_1)
	v_sub_nc_u32_e32 v7, v12, v7
	v_subrev_nc_u32_e32 v15, s40, v7
	v_cmp_le_u32_e32 vcc_lo, s40, v7
	s_delay_alu instid0(VALU_DEP_2) | instskip(SKIP_1) | instid1(VALU_DEP_2)
	v_dual_cndmask_b32 v7, v7, v15, vcc_lo :: v_dual_mov_b32 v15, v6
	v_cndmask_b32_e32 v3, v3, v14, vcc_lo
	v_cmp_le_u32_e32 vcc_lo, s40, v7
	s_delay_alu instid0(VALU_DEP_2) | instskip(NEXT) | instid1(VALU_DEP_1)
	v_add_nc_u32_e32 v14, 1, v3
	v_cndmask_b32_e32 v14, v3, v14, vcc_lo
.LBB64_20:                              ;   in Loop: Header=BB64_16 Depth=2
	s_or_b32 exec_lo, exec_lo, s0
	s_delay_alu instid0(VALU_DEP_1)
	v_mul_u64_e32 v[16:17], s[40:41], v[14:15]
	s_load_b64 s[40:41], s[38:39], 0xc8
	s_add_co_i32 s37, s37, -1
	s_wait_xcnt 0x0
	s_add_nc_u64 s[38:39], s[38:39], -8
	s_cmp_gt_u32 s37, 2
	s_delay_alu instid0(VALU_DEP_1) | instskip(SKIP_1) | instid1(VALU_DEP_1)
	v_sub_nc_u64_e32 v[12:13], v[12:13], v[16:17]
	s_wait_kmcnt 0x0
	v_mad_nc_u64_u32 v[10:11], s40, v12, v[10:11]
	s_delay_alu instid0(VALU_DEP_1) | instskip(NEXT) | instid1(VALU_DEP_1)
	v_mad_u32 v3, s41, v12, v11
	v_mad_u32 v11, s40, v13, v3
	s_cbranch_scc0 .LBB64_22
; %bb.21:                               ;   in Loop: Header=BB64_16 Depth=2
	v_mov_b64_e32 v[12:13], v[14:15]
	s_branch .LBB64_16
.LBB64_22:                              ;   in Loop: Header=BB64_15 Depth=1
	s_delay_alu instid0(VALU_DEP_1) | instskip(NEXT) | instid1(VALU_DEP_1)
	v_mad_nc_u64_u32 v[12:13], s24, v14, s[26:27]
	v_mad_u32 v3, s25, v14, v13
	s_delay_alu instid0(VALU_DEP_1) | instskip(NEXT) | instid1(VALU_DEP_1)
	v_mad_u32 v13, s24, v15, v3
	v_add_nc_u64_e32 v[10:11], v[12:13], v[10:11]
	global_load_i8 v3, v[10:11], off
	s_wait_loadcnt 0x0
	v_bfe_i32 v10, v3, 0, 16
	s_delay_alu instid0(VALU_DEP_1) | instskip(NEXT) | instid1(VALU_DEP_1)
	v_ashrrev_i32_e32 v11, 31, v10
	v_cmp_le_i64_e32 vcc_lo, s[6:7], v[10:11]
	v_cmp_ge_i64_e64 s0, s[8:9], v[10:11]
	s_and_b32 s0, vcc_lo, s0
	s_delay_alu instid0(SALU_CYCLE_1)
	s_and_saveexec_b32 s40, s0
	s_cbranch_execz .LBB64_14
; %bb.23:                               ;   in Loop: Header=BB64_15 Depth=1
	v_sub_nc_u64_e64 v[10:11], v[10:11], s[6:7]
                                        ; implicit-def: $vgpr12_vgpr13
	s_mov_b32 s0, exec_lo
	s_delay_alu instid0(VALU_DEP_1) | instskip(NEXT) | instid1(VALU_DEP_1)
	v_mul_u64_e32 v[10:11], s[4:5], v[10:11]
	v_or_b32_e32 v7, s29, v11
	s_delay_alu instid0(VALU_DEP_1)
	v_cmpx_ne_u64_e32 0, v[6:7]
	s_xor_b32 s41, exec_lo, s0
	s_cbranch_execz .LBB64_25
; %bb.24:                               ;   in Loop: Header=BB64_15 Depth=1
	s_mov_b32 s37, s36
	v_dual_mov_b32 v15, v6 :: v_dual_ashrrev_i32 v12, 31, v11
	s_add_nc_u64 s[38:39], s[28:29], s[36:37]
	v_mov_b32_e32 v23, v6
	s_xor_b64 s[38:39], s[38:39], s[36:37]
	s_delay_alu instid0(VALU_DEP_2) | instskip(SKIP_3) | instid1(VALU_DEP_1)
	v_mov_b32_e32 v13, v12
	s_cvt_f32_u32 s0, s38
	s_cvt_f32_u32 s20, s39
	s_sub_nc_u64 s[44:45], 0, s[38:39]
	v_add_nc_u64_e32 v[10:11], v[10:11], v[12:13]
	s_delay_alu instid0(SALU_CYCLE_1) | instskip(SKIP_1) | instid1(SALU_CYCLE_2)
	s_fmamk_f32 s0, s20, 0x4f800000, s0
	v_mov_b32_e32 v19, v6
	v_s_rcp_f32 s0, s0
	s_delay_alu instid0(VALU_DEP_2) | instskip(NEXT) | instid1(VALU_DEP_3)
	v_xor_b32_e32 v14, v10, v12
	v_xor_b32_e32 v18, v11, v12
	;; [unrolled: 1-line block ×3, first 2 shown]
	s_delay_alu instid0(TRANS32_DEP_1) | instskip(NEXT) | instid1(SALU_CYCLE_3)
	s_mul_f32 s0, s0, 0x5f7ffffc
	s_mul_f32 s20, s0, 0x2f800000
	s_delay_alu instid0(SALU_CYCLE_3) | instskip(NEXT) | instid1(SALU_CYCLE_3)
	s_trunc_f32 s20, s20
	s_fmamk_f32 s0, s20, 0xcf800000, s0
	s_cvt_u32_f32 s43, s20
	s_delay_alu instid0(SALU_CYCLE_2) | instskip(NEXT) | instid1(SALU_CYCLE_3)
	s_cvt_u32_f32 s42, s0
	s_mul_u64 s[48:49], s[44:45], s[42:43]
	s_delay_alu instid0(SALU_CYCLE_1)
	s_mul_hi_u32 s51, s42, s49
	s_mul_i32 s50, s42, s49
	s_mul_hi_u32 s20, s42, s48
	s_mul_i32 s37, s43, s48
	s_add_nc_u64 s[50:51], s[20:21], s[50:51]
	s_mul_hi_u32 s0, s43, s48
	s_mul_hi_u32 s47, s43, s49
	s_add_co_u32 s20, s50, s37
	s_add_co_ci_u32 s20, s51, s0
	s_mul_i32 s48, s43, s49
	s_add_co_ci_u32 s49, s47, 0
	s_delay_alu instid0(SALU_CYCLE_1) | instskip(NEXT) | instid1(SALU_CYCLE_1)
	s_add_nc_u64 s[48:49], s[20:21], s[48:49]
	s_add_co_u32 s42, s42, s48
	s_cselect_b32 s0, -1, 0
	s_delay_alu instid0(SALU_CYCLE_1) | instskip(SKIP_1) | instid1(SALU_CYCLE_1)
	s_cmp_lg_u32 s0, 0
	s_add_co_ci_u32 s43, s43, s49
	s_mul_u64 s[44:45], s[44:45], s[42:43]
	s_delay_alu instid0(SALU_CYCLE_1)
	s_mul_hi_u32 s49, s42, s45
	s_mul_i32 s48, s42, s45
	s_mul_hi_u32 s20, s42, s44
	s_mul_i32 s37, s43, s44
	s_add_nc_u64 s[48:49], s[20:21], s[48:49]
	s_mul_hi_u32 s0, s43, s44
	s_mul_hi_u32 s47, s43, s45
	s_add_co_u32 s20, s48, s37
	s_add_co_ci_u32 s20, s49, s0
	s_mul_i32 s44, s43, s45
	s_add_co_ci_u32 s45, s47, 0
	s_delay_alu instid0(SALU_CYCLE_1) | instskip(NEXT) | instid1(SALU_CYCLE_1)
	s_add_nc_u64 s[44:45], s[20:21], s[44:45]
	s_add_co_u32 s0, s42, s44
	s_cselect_b32 s20, -1, 0
	v_mul_hi_u32 v22, v14, s0
	s_cmp_lg_u32 s20, 0
	s_add_co_ci_u32 s20, s43, s45
	s_and_b64 s[42:43], s[0:1], s[30:31]
	v_mul_u64_e32 v[16:17], s[20:21], v[14:15]
	v_mul_u64_e32 v[10:11], s[42:43], v[18:19]
	;; [unrolled: 1-line block ×3, first 2 shown]
	s_delay_alu instid0(VALU_DEP_3) | instskip(NEXT) | instid1(VALU_DEP_1)
	v_add_nc_u64_e32 v[16:17], v[22:23], v[16:17]
	v_add_co_u32 v3, vcc_lo, v16, v10
	s_delay_alu instid0(VALU_DEP_2) | instskip(NEXT) | instid1(VALU_DEP_4)
	v_add_co_ci_u32_e32 v22, vcc_lo, v17, v11, vcc_lo
	v_add_co_ci_u32_e32 v21, vcc_lo, 0, v21, vcc_lo
	s_delay_alu instid0(VALU_DEP_1) | instskip(NEXT) | instid1(VALU_DEP_1)
	v_add_nc_u64_e32 v[10:11], v[22:23], v[20:21]
	v_mul_u64_e32 v[16:17], s[38:39], v[10:11]
	s_delay_alu instid0(VALU_DEP_1) | instskip(NEXT) | instid1(VALU_DEP_2)
	v_sub_nc_u32_e32 v3, v18, v17
	v_sub_co_u32 v7, vcc_lo, v14, v16
	s_delay_alu instid0(VALU_DEP_1) | instskip(NEXT) | instid1(VALU_DEP_3)
	v_sub_co_ci_u32_e64 v18, null, v18, v17, vcc_lo
	v_subrev_co_ci_u32_e64 v3, null, s39, v3, vcc_lo
	s_delay_alu instid0(VALU_DEP_3) | instskip(SKIP_1) | instid1(VALU_DEP_3)
	v_sub_co_u32 v13, s0, v7, s38
	v_add_nc_u64_e32 v[16:17], 1, v[10:11]
	v_subrev_co_ci_u32_e64 v3, null, 0, v3, s0
	s_delay_alu instid0(VALU_DEP_3) | instskip(SKIP_1) | instid1(VALU_DEP_3)
	v_cmp_le_u32_e32 vcc_lo, s38, v13
	v_cndmask_b32_e64 v13, 0, -1, vcc_lo
	v_cmp_le_u32_e32 vcc_lo, s39, v3
	v_cndmask_b32_e64 v14, 0, -1, vcc_lo
	v_cmp_le_u32_e32 vcc_lo, s38, v7
	v_cndmask_b32_e64 v7, 0, -1, vcc_lo
	v_cmp_le_u32_e32 vcc_lo, s39, v18
	v_cndmask_b32_e64 v19, 0, -1, vcc_lo
	v_cmp_eq_u32_e32 vcc_lo, s39, v3
	v_cndmask_b32_e32 v3, v14, v13, vcc_lo
	v_cmp_eq_u32_e32 vcc_lo, s39, v18
	v_add_nc_u64_e32 v[14:15], 2, v[10:11]
	v_dual_mov_b32 v13, v12 :: v_dual_cndmask_b32 v7, v19, v7, vcc_lo
	s_delay_alu instid0(VALU_DEP_4) | instskip(NEXT) | instid1(VALU_DEP_2)
	v_cmp_ne_u32_e32 vcc_lo, 0, v3
	v_cmp_ne_u32_e64 s0, 0, v7
	s_delay_alu instid0(VALU_DEP_4) | instskip(NEXT) | instid1(VALU_DEP_1)
	v_dual_cndmask_b32 v3, v17, v15, vcc_lo :: v_dual_cndmask_b32 v7, v16, v14, vcc_lo
	v_cndmask_b32_e64 v3, v11, v3, s0
	s_delay_alu instid0(VALU_DEP_1) | instskip(NEXT) | instid1(VALU_DEP_1)
	v_dual_cndmask_b32 v7, v10, v7, s0 :: v_dual_bitop2_b32 v11, v3, v12 bitop3:0x14
	v_xor_b32_e32 v10, v7, v12
	s_delay_alu instid0(VALU_DEP_1)
	v_sub_nc_u64_e32 v[12:13], v[10:11], v[12:13]
                                        ; implicit-def: $vgpr10_vgpr11
.LBB64_25:                              ;   in Loop: Header=BB64_15 Depth=1
	s_and_not1_saveexec_b32 s0, s41
	s_cbranch_execz .LBB64_27
; %bb.26:                               ;   in Loop: Header=BB64_15 Depth=1
	v_cvt_f32_u32_e32 v3, s28
	s_sub_co_i32 s20, 0, s28
	s_delay_alu instid0(VALU_DEP_1) | instskip(SKIP_1) | instid1(TRANS32_DEP_1)
	v_rcp_iflag_f32_e32 v3, v3
	v_nop
	v_mul_f32_e32 v3, 0x4f7ffffe, v3
	s_delay_alu instid0(VALU_DEP_1) | instskip(NEXT) | instid1(VALU_DEP_1)
	v_cvt_u32_f32_e32 v3, v3
	v_mul_lo_u32 v7, s20, v3
	s_delay_alu instid0(VALU_DEP_1) | instskip(NEXT) | instid1(VALU_DEP_1)
	v_mul_hi_u32 v7, v3, v7
	v_add_nc_u32_e32 v3, v3, v7
	s_delay_alu instid0(VALU_DEP_1) | instskip(NEXT) | instid1(VALU_DEP_1)
	v_mul_hi_u32 v3, v10, v3
	v_mul_lo_u32 v7, v3, s28
	s_delay_alu instid0(VALU_DEP_1) | instskip(SKIP_1) | instid1(VALU_DEP_2)
	v_sub_nc_u32_e32 v7, v10, v7
	v_add_nc_u32_e32 v10, 1, v3
	v_subrev_nc_u32_e32 v11, s28, v7
	v_cmp_le_u32_e32 vcc_lo, s28, v7
	s_delay_alu instid0(VALU_DEP_2) | instskip(NEXT) | instid1(VALU_DEP_4)
	v_cndmask_b32_e32 v7, v7, v11, vcc_lo
	v_cndmask_b32_e32 v3, v3, v10, vcc_lo
	s_delay_alu instid0(VALU_DEP_2) | instskip(NEXT) | instid1(VALU_DEP_2)
	v_cmp_le_u32_e32 vcc_lo, s28, v7
	v_add_nc_u32_e32 v10, 1, v3
	s_delay_alu instid0(VALU_DEP_1)
	v_cndmask_b32_e32 v12, v3, v10, vcc_lo
.LBB64_27:                              ;   in Loop: Header=BB64_15 Depth=1
	s_or_b32 exec_lo, exec_lo, s0
	v_mad_nc_u64_u32 v[10:11], v4, s22, s[16:17]
	s_delay_alu instid0(VALU_DEP_2) | instskip(SKIP_1) | instid1(VALU_DEP_1)
	v_ashrrev_i32_e32 v13, 31, v12
	s_mov_b32 s0, 0
	v_cmp_eq_u64_e32 vcc_lo, s[4:5], v[12:13]
	s_delay_alu instid0(VALU_DEP_3) | instskip(SKIP_1) | instid1(VALU_DEP_1)
	v_mad_u32 v3, v5, s22, v11
	v_subrev_co_ci_u32_e64 v7, null, 0, v12, vcc_lo
	v_add_nc_u32_e32 v12, 0, v7
	s_delay_alu instid0(VALU_DEP_3) | instskip(SKIP_3) | instid1(VALU_DEP_1)
	v_mad_u32 v11, v4, s23, v3
	global_load_u8 v3, v[10:11], off
	s_wait_xcnt 0x0
	v_and_b32_e32 v11, 3, v12
	v_dual_sub_nc_u32 v14, 0, v11 :: v_dual_bitop2_b32 v7, -4, v12 bitop3:0x40
	ds_load_b32 v10, v7
	v_dual_add_nc_u32 v12, v12, v14 :: v_dual_lshlrev_b32 v7, 3, v11
	s_delay_alu instid0(VALU_DEP_1) | instskip(NEXT) | instid1(VALU_DEP_1)
	v_lshlrev_b32_e64 v13, v7, 0xff
	v_not_b32_e32 v11, v13
.LBB64_28:                              ;   Parent Loop BB64_15 Depth=1
                                        ; =>  This Inner Loop Header: Depth=2
	s_wait_dscnt 0x0
	s_delay_alu instid0(VALU_DEP_1) | instskip(SKIP_1) | instid1(VALU_DEP_1)
	v_dual_lshrrev_b32 v13, v7, v10 :: v_dual_bitop2_b32 v14, v10, v11 bitop3:0x40
	s_wait_loadcnt 0x0
	v_add_nc_u16 v13, v3, v13
	s_delay_alu instid0(VALU_DEP_1) | instskip(NEXT) | instid1(VALU_DEP_1)
	v_and_b32_e32 v13, 0xff, v13
	v_lshl_or_b32 v13, v13, v7, v14
	ds_cmpstore_rtn_b32 v13, v12, v13, v10
	s_wait_dscnt 0x0
	v_cmp_eq_u32_e32 vcc_lo, v10, v13
	v_mov_b32_e32 v10, v13
	s_or_b32 s0, vcc_lo, s0
	s_delay_alu instid0(SALU_CYCLE_1)
	s_and_not1_b32 exec_lo, exec_lo, s0
	s_cbranch_execnz .LBB64_28
	s_branch .LBB64_14
.LBB64_29:
	s_or_b32 exec_lo, exec_lo, s3
; %bb.30:
	s_barrier_signal -1
	s_barrier_wait -1
	s_wait_xcnt 0x0
	s_and_saveexec_b32 s0, s2
	s_cbranch_execz .LBB64_35
; %bb.31:
	v_mov_b32_e32 v5, 0
	s_mov_b32 s0, 0
	s_delay_alu instid0(VALU_DEP_1)
	v_mov_b32_e32 v3, v5
.LBB64_32:                              ; =>This Loop Header: Depth=1
                                        ;     Child Loop BB64_33 Depth 2
	s_wait_kmcnt 0x0
	v_mad_nc_u64_u32 v[6:7], v0, s18, s[12:13]
	s_mov_b32 s1, 0
	s_delay_alu instid0(VALU_DEP_1) | instskip(NEXT) | instid1(VALU_DEP_2)
	v_mad_u32 v7, v1, s18, v7
	v_and_b32_e32 v4, 3, v6
	s_delay_alu instid0(VALU_DEP_1) | instskip(NEXT) | instid1(VALU_DEP_3)
	v_sub_nc_u64_e32 v[8:9], 0, v[4:5]
	v_mad_u32 v7, v0, s19, v7
	s_delay_alu instid0(VALU_DEP_1)
	v_add_nc_u64_e32 v[6:7], v[6:7], v[8:9]
	v_add_nc_u32_e32 v8, 0, v0
	v_lshlrev_b32_e32 v4, 3, v4
	ds_load_u8 v10, v8
	global_load_b32 v9, v[6:7], off
	v_lshlrev_b32_e64 v8, v4, 0xff
	s_delay_alu instid0(VALU_DEP_1)
	v_not_b32_e32 v11, v8
.LBB64_33:                              ;   Parent Loop BB64_32 Depth=1
                                        ; =>  This Inner Loop Header: Depth=2
	s_wait_loadcnt 0x0
	s_delay_alu instid0(VALU_DEP_1) | instskip(SKIP_1) | instid1(VALU_DEP_1)
	v_dual_lshrrev_b32 v8, v4, v9 :: v_dual_bitop2_b32 v12, v9, v11 bitop3:0x40
	s_wait_dscnt 0x0
	v_add_nc_u16 v8, v10, v8
	s_delay_alu instid0(VALU_DEP_1) | instskip(NEXT) | instid1(VALU_DEP_1)
	v_and_b32_e32 v8, 0xff, v8
	v_lshl_or_b32 v8, v8, v4, v12
	global_atomic_cmpswap_b32 v8, v[6:7], v[8:9], off th:TH_ATOMIC_RETURN scope:SCOPE_DEV
	s_wait_loadcnt 0x0
	v_cmp_eq_u32_e32 vcc_lo, v9, v8
	v_mov_b32_e32 v9, v8
	s_or_b32 s1, vcc_lo, s1
	s_delay_alu instid0(SALU_CYCLE_1)
	s_and_not1_b32 exec_lo, exec_lo, s1
	s_cbranch_execnz .LBB64_33
; %bb.34:                               ;   in Loop: Header=BB64_32 Depth=1
	s_or_b32 exec_lo, exec_lo, s1
	v_add_nc_u64_e32 v[0:1], v[0:1], v[2:3]
	s_delay_alu instid0(VALU_DEP_1) | instskip(SKIP_1) | instid1(SALU_CYCLE_1)
	v_cmp_le_i64_e32 vcc_lo, s[14:15], v[0:1]
	s_or_b32 s0, vcc_lo, s0
	s_and_not1_b32 exec_lo, exec_lo, s0
	s_cbranch_execnz .LBB64_32
.LBB64_35:
	s_endpgm
	.section	.rodata,"a",@progbits
	.p2align	6, 0x0
	.amdhsa_kernel _ZN2at4cuda17kernelHistogram1DIaalLi1ELi2ELin1ELNS0_23CUDAHistogramMemoryTypeE0EZNS0_21CUDA_tensor_histogramIaaLb0EEEbNS_6TensorES4_S4_lNS_14AccumulateTypeIT0_Lb1EE4typeES8_NS0_13TensorArgTypeES9_S9_EUllE_EEvNS0_6detail10TensorInfoIT_T1_EESF_NSC_IKS6_SE_EElS8_S8_SE_T6_
		.amdhsa_group_segment_fixed_size 0
		.amdhsa_private_segment_fixed_size 0
		.amdhsa_kernarg_size 1952
		.amdhsa_user_sgpr_count 2
		.amdhsa_user_sgpr_dispatch_ptr 0
		.amdhsa_user_sgpr_queue_ptr 0
		.amdhsa_user_sgpr_kernarg_segment_ptr 1
		.amdhsa_user_sgpr_dispatch_id 0
		.amdhsa_user_sgpr_kernarg_preload_length 0
		.amdhsa_user_sgpr_kernarg_preload_offset 0
		.amdhsa_user_sgpr_private_segment_size 0
		.amdhsa_wavefront_size32 1
		.amdhsa_uses_dynamic_stack 0
		.amdhsa_enable_private_segment 0
		.amdhsa_system_sgpr_workgroup_id_x 1
		.amdhsa_system_sgpr_workgroup_id_y 0
		.amdhsa_system_sgpr_workgroup_id_z 0
		.amdhsa_system_sgpr_workgroup_info 0
		.amdhsa_system_vgpr_workitem_id 0
		.amdhsa_next_free_vgpr 28
		.amdhsa_next_free_sgpr 57
		.amdhsa_named_barrier_count 0
		.amdhsa_reserve_vcc 1
		.amdhsa_float_round_mode_32 0
		.amdhsa_float_round_mode_16_64 0
		.amdhsa_float_denorm_mode_32 3
		.amdhsa_float_denorm_mode_16_64 3
		.amdhsa_fp16_overflow 0
		.amdhsa_memory_ordered 1
		.amdhsa_forward_progress 1
		.amdhsa_inst_pref_size 22
		.amdhsa_round_robin_scheduling 0
		.amdhsa_exception_fp_ieee_invalid_op 0
		.amdhsa_exception_fp_denorm_src 0
		.amdhsa_exception_fp_ieee_div_zero 0
		.amdhsa_exception_fp_ieee_overflow 0
		.amdhsa_exception_fp_ieee_underflow 0
		.amdhsa_exception_fp_ieee_inexact 0
		.amdhsa_exception_int_div_zero 0
	.end_amdhsa_kernel
	.section	.text._ZN2at4cuda17kernelHistogram1DIaalLi1ELi2ELin1ELNS0_23CUDAHistogramMemoryTypeE0EZNS0_21CUDA_tensor_histogramIaaLb0EEEbNS_6TensorES4_S4_lNS_14AccumulateTypeIT0_Lb1EE4typeES8_NS0_13TensorArgTypeES9_S9_EUllE_EEvNS0_6detail10TensorInfoIT_T1_EESF_NSC_IKS6_SE_EElS8_S8_SE_T6_,"axG",@progbits,_ZN2at4cuda17kernelHistogram1DIaalLi1ELi2ELin1ELNS0_23CUDAHistogramMemoryTypeE0EZNS0_21CUDA_tensor_histogramIaaLb0EEEbNS_6TensorES4_S4_lNS_14AccumulateTypeIT0_Lb1EE4typeES8_NS0_13TensorArgTypeES9_S9_EUllE_EEvNS0_6detail10TensorInfoIT_T1_EESF_NSC_IKS6_SE_EElS8_S8_SE_T6_,comdat
.Lfunc_end64:
	.size	_ZN2at4cuda17kernelHistogram1DIaalLi1ELi2ELin1ELNS0_23CUDAHistogramMemoryTypeE0EZNS0_21CUDA_tensor_histogramIaaLb0EEEbNS_6TensorES4_S4_lNS_14AccumulateTypeIT0_Lb1EE4typeES8_NS0_13TensorArgTypeES9_S9_EUllE_EEvNS0_6detail10TensorInfoIT_T1_EESF_NSC_IKS6_SE_EElS8_S8_SE_T6_, .Lfunc_end64-_ZN2at4cuda17kernelHistogram1DIaalLi1ELi2ELin1ELNS0_23CUDAHistogramMemoryTypeE0EZNS0_21CUDA_tensor_histogramIaaLb0EEEbNS_6TensorES4_S4_lNS_14AccumulateTypeIT0_Lb1EE4typeES8_NS0_13TensorArgTypeES9_S9_EUllE_EEvNS0_6detail10TensorInfoIT_T1_EESF_NSC_IKS6_SE_EElS8_S8_SE_T6_
                                        ; -- End function
	.set _ZN2at4cuda17kernelHistogram1DIaalLi1ELi2ELin1ELNS0_23CUDAHistogramMemoryTypeE0EZNS0_21CUDA_tensor_histogramIaaLb0EEEbNS_6TensorES4_S4_lNS_14AccumulateTypeIT0_Lb1EE4typeES8_NS0_13TensorArgTypeES9_S9_EUllE_EEvNS0_6detail10TensorInfoIT_T1_EESF_NSC_IKS6_SE_EElS8_S8_SE_T6_.num_vgpr, 28
	.set _ZN2at4cuda17kernelHistogram1DIaalLi1ELi2ELin1ELNS0_23CUDAHistogramMemoryTypeE0EZNS0_21CUDA_tensor_histogramIaaLb0EEEbNS_6TensorES4_S4_lNS_14AccumulateTypeIT0_Lb1EE4typeES8_NS0_13TensorArgTypeES9_S9_EUllE_EEvNS0_6detail10TensorInfoIT_T1_EESF_NSC_IKS6_SE_EElS8_S8_SE_T6_.num_agpr, 0
	.set _ZN2at4cuda17kernelHistogram1DIaalLi1ELi2ELin1ELNS0_23CUDAHistogramMemoryTypeE0EZNS0_21CUDA_tensor_histogramIaaLb0EEEbNS_6TensorES4_S4_lNS_14AccumulateTypeIT0_Lb1EE4typeES8_NS0_13TensorArgTypeES9_S9_EUllE_EEvNS0_6detail10TensorInfoIT_T1_EESF_NSC_IKS6_SE_EElS8_S8_SE_T6_.numbered_sgpr, 57
	.set _ZN2at4cuda17kernelHistogram1DIaalLi1ELi2ELin1ELNS0_23CUDAHistogramMemoryTypeE0EZNS0_21CUDA_tensor_histogramIaaLb0EEEbNS_6TensorES4_S4_lNS_14AccumulateTypeIT0_Lb1EE4typeES8_NS0_13TensorArgTypeES9_S9_EUllE_EEvNS0_6detail10TensorInfoIT_T1_EESF_NSC_IKS6_SE_EElS8_S8_SE_T6_.num_named_barrier, 0
	.set _ZN2at4cuda17kernelHistogram1DIaalLi1ELi2ELin1ELNS0_23CUDAHistogramMemoryTypeE0EZNS0_21CUDA_tensor_histogramIaaLb0EEEbNS_6TensorES4_S4_lNS_14AccumulateTypeIT0_Lb1EE4typeES8_NS0_13TensorArgTypeES9_S9_EUllE_EEvNS0_6detail10TensorInfoIT_T1_EESF_NSC_IKS6_SE_EElS8_S8_SE_T6_.private_seg_size, 0
	.set _ZN2at4cuda17kernelHistogram1DIaalLi1ELi2ELin1ELNS0_23CUDAHistogramMemoryTypeE0EZNS0_21CUDA_tensor_histogramIaaLb0EEEbNS_6TensorES4_S4_lNS_14AccumulateTypeIT0_Lb1EE4typeES8_NS0_13TensorArgTypeES9_S9_EUllE_EEvNS0_6detail10TensorInfoIT_T1_EESF_NSC_IKS6_SE_EElS8_S8_SE_T6_.uses_vcc, 1
	.set _ZN2at4cuda17kernelHistogram1DIaalLi1ELi2ELin1ELNS0_23CUDAHistogramMemoryTypeE0EZNS0_21CUDA_tensor_histogramIaaLb0EEEbNS_6TensorES4_S4_lNS_14AccumulateTypeIT0_Lb1EE4typeES8_NS0_13TensorArgTypeES9_S9_EUllE_EEvNS0_6detail10TensorInfoIT_T1_EESF_NSC_IKS6_SE_EElS8_S8_SE_T6_.uses_flat_scratch, 0
	.set _ZN2at4cuda17kernelHistogram1DIaalLi1ELi2ELin1ELNS0_23CUDAHistogramMemoryTypeE0EZNS0_21CUDA_tensor_histogramIaaLb0EEEbNS_6TensorES4_S4_lNS_14AccumulateTypeIT0_Lb1EE4typeES8_NS0_13TensorArgTypeES9_S9_EUllE_EEvNS0_6detail10TensorInfoIT_T1_EESF_NSC_IKS6_SE_EElS8_S8_SE_T6_.has_dyn_sized_stack, 0
	.set _ZN2at4cuda17kernelHistogram1DIaalLi1ELi2ELin1ELNS0_23CUDAHistogramMemoryTypeE0EZNS0_21CUDA_tensor_histogramIaaLb0EEEbNS_6TensorES4_S4_lNS_14AccumulateTypeIT0_Lb1EE4typeES8_NS0_13TensorArgTypeES9_S9_EUllE_EEvNS0_6detail10TensorInfoIT_T1_EESF_NSC_IKS6_SE_EElS8_S8_SE_T6_.has_recursion, 0
	.set _ZN2at4cuda17kernelHistogram1DIaalLi1ELi2ELin1ELNS0_23CUDAHistogramMemoryTypeE0EZNS0_21CUDA_tensor_histogramIaaLb0EEEbNS_6TensorES4_S4_lNS_14AccumulateTypeIT0_Lb1EE4typeES8_NS0_13TensorArgTypeES9_S9_EUllE_EEvNS0_6detail10TensorInfoIT_T1_EESF_NSC_IKS6_SE_EElS8_S8_SE_T6_.has_indirect_call, 0
	.section	.AMDGPU.csdata,"",@progbits
; Kernel info:
; codeLenInByte = 2816
; TotalNumSgprs: 59
; NumVgprs: 28
; ScratchSize: 0
; MemoryBound: 0
; FloatMode: 240
; IeeeMode: 1
; LDSByteSize: 0 bytes/workgroup (compile time only)
; SGPRBlocks: 0
; VGPRBlocks: 1
; NumSGPRsForWavesPerEU: 59
; NumVGPRsForWavesPerEU: 28
; NamedBarCnt: 0
; Occupancy: 16
; WaveLimiterHint : 1
; COMPUTE_PGM_RSRC2:SCRATCH_EN: 0
; COMPUTE_PGM_RSRC2:USER_SGPR: 2
; COMPUTE_PGM_RSRC2:TRAP_HANDLER: 0
; COMPUTE_PGM_RSRC2:TGID_X_EN: 1
; COMPUTE_PGM_RSRC2:TGID_Y_EN: 0
; COMPUTE_PGM_RSRC2:TGID_Z_EN: 0
; COMPUTE_PGM_RSRC2:TIDIG_COMP_CNT: 0
	.section	.text._ZN2at4cuda17kernelHistogram1DIaalLi1ELi2ELin1ELNS0_23CUDAHistogramMemoryTypeE1EZNS0_21CUDA_tensor_histogramIaaLb0EEEbNS_6TensorES4_S4_lNS_14AccumulateTypeIT0_Lb1EE4typeES8_NS0_13TensorArgTypeES9_S9_EUllE_EEvNS0_6detail10TensorInfoIT_T1_EESF_NSC_IKS6_SE_EElS8_S8_SE_T6_,"axG",@progbits,_ZN2at4cuda17kernelHistogram1DIaalLi1ELi2ELin1ELNS0_23CUDAHistogramMemoryTypeE1EZNS0_21CUDA_tensor_histogramIaaLb0EEEbNS_6TensorES4_S4_lNS_14AccumulateTypeIT0_Lb1EE4typeES8_NS0_13TensorArgTypeES9_S9_EUllE_EEvNS0_6detail10TensorInfoIT_T1_EESF_NSC_IKS6_SE_EElS8_S8_SE_T6_,comdat
	.protected	_ZN2at4cuda17kernelHistogram1DIaalLi1ELi2ELin1ELNS0_23CUDAHistogramMemoryTypeE1EZNS0_21CUDA_tensor_histogramIaaLb0EEEbNS_6TensorES4_S4_lNS_14AccumulateTypeIT0_Lb1EE4typeES8_NS0_13TensorArgTypeES9_S9_EUllE_EEvNS0_6detail10TensorInfoIT_T1_EESF_NSC_IKS6_SE_EElS8_S8_SE_T6_ ; -- Begin function _ZN2at4cuda17kernelHistogram1DIaalLi1ELi2ELin1ELNS0_23CUDAHistogramMemoryTypeE1EZNS0_21CUDA_tensor_histogramIaaLb0EEEbNS_6TensorES4_S4_lNS_14AccumulateTypeIT0_Lb1EE4typeES8_NS0_13TensorArgTypeES9_S9_EUllE_EEvNS0_6detail10TensorInfoIT_T1_EESF_NSC_IKS6_SE_EElS8_S8_SE_T6_
	.globl	_ZN2at4cuda17kernelHistogram1DIaalLi1ELi2ELin1ELNS0_23CUDAHistogramMemoryTypeE1EZNS0_21CUDA_tensor_histogramIaaLb0EEEbNS_6TensorES4_S4_lNS_14AccumulateTypeIT0_Lb1EE4typeES8_NS0_13TensorArgTypeES9_S9_EUllE_EEvNS0_6detail10TensorInfoIT_T1_EESF_NSC_IKS6_SE_EElS8_S8_SE_T6_
	.p2align	8
	.type	_ZN2at4cuda17kernelHistogram1DIaalLi1ELi2ELin1ELNS0_23CUDAHistogramMemoryTypeE1EZNS0_21CUDA_tensor_histogramIaaLb0EEEbNS_6TensorES4_S4_lNS_14AccumulateTypeIT0_Lb1EE4typeES8_NS0_13TensorArgTypeES9_S9_EUllE_EEvNS0_6detail10TensorInfoIT_T1_EESF_NSC_IKS6_SE_EElS8_S8_SE_T6_,@function
_ZN2at4cuda17kernelHistogram1DIaalLi1ELi2ELin1ELNS0_23CUDAHistogramMemoryTypeE1EZNS0_21CUDA_tensor_histogramIaaLb0EEEbNS_6TensorES4_S4_lNS_14AccumulateTypeIT0_Lb1EE4typeES8_NS0_13TensorArgTypeES9_S9_EUllE_EEvNS0_6detail10TensorInfoIT_T1_EESF_NSC_IKS6_SE_EElS8_S8_SE_T6_: ; @_ZN2at4cuda17kernelHistogram1DIaalLi1ELi2ELin1ELNS0_23CUDAHistogramMemoryTypeE1EZNS0_21CUDA_tensor_histogramIaaLb0EEEbNS_6TensorES4_S4_lNS_14AccumulateTypeIT0_Lb1EE4typeES8_NS0_13TensorArgTypeES9_S9_EUllE_EEvNS0_6detail10TensorInfoIT_T1_EESF_NSC_IKS6_SE_EElS8_S8_SE_T6_
; %bb.0:
	s_load_b32 s2, s[0:1], 0x6ac
	s_bfe_u32 s12, ttmp6, 0x4000c
	s_load_b256 s[4:11], s[0:1], 0x4e0
	s_add_co_i32 s12, s12, 1
	s_and_b32 s3, ttmp6, 15
	s_mul_i32 s12, ttmp9, s12
	s_getreg_b32 s13, hwreg(HW_REG_IB_STS2, 6, 4)
	s_add_co_i32 s3, s3, s12
	v_mov_b32_e32 v2, 0
	s_mov_b32 s12, exec_lo
	s_delay_alu instid0(VALU_DEP_1) | instskip(SKIP_4) | instid1(SALU_CYCLE_1)
	v_mov_b32_e32 v1, v2
	s_wait_kmcnt 0x0
	s_and_b32 s2, s2, 0xffff
	s_cmp_eq_u32 s13, 0
	s_cselect_b32 s3, ttmp9, s3
	v_mad_u32 v0, s3, s2, v0
	s_mov_b32 s3, 0
	s_delay_alu instid0(VALU_DEP_1)
	v_cmpx_gt_i64_e64 s[10:11], v[0:1]
	s_cbranch_execz .LBB65_17
; %bb.1:
	s_clause 0x1
	s_load_b64 s[12:13], s[0:1], 0x5d0
	s_load_b32 s33, s[0:1], 0x4d8
	s_add_nc_u64 s[24:25], s[0:1], 0x6a0
	s_load_b32 s26, s[24:25], 0x0
	s_clause 0x4
	s_load_b64 s[14:15], s[0:1], 0x500
	s_load_b64 s[16:17], s[0:1], 0x0
	;; [unrolled: 1-line block ×5, first 2 shown]
	s_add_nc_u64 s[30:31], s[0:1], 0x340
	s_wait_xcnt 0x0
	s_sub_nc_u64 s[24:25], s[8:9], s[6:7]
	s_mov_b32 s27, s3
	s_mov_b64 s[28:29], 0xffffffff
	s_mov_b32 s44, 0
	s_wait_kmcnt 0x0
	s_mul_i32 s26, s26, s2
	s_cmp_gt_i32 s33, 1
	s_cselect_b32 s1, -1, 0
	s_add_co_i32 s2, s33, -1
	s_add_co_i32 s33, s33, 1
	s_lshl_b64 s[34:35], s[2:3], 3
	s_delay_alu instid0(SALU_CYCLE_1)
	s_add_nc_u64 s[34:35], s[30:31], s[34:35]
	s_ashr_i32 s30, s25, 31
	s_add_nc_u64 s[34:35], s[34:35], 8
	s_branch .LBB65_3
.LBB65_2:                               ;   in Loop: Header=BB65_3 Depth=1
	s_or_b32 exec_lo, exec_lo, s38
	v_add_nc_u64_e32 v[0:1], s[26:27], v[0:1]
	s_delay_alu instid0(VALU_DEP_1) | instskip(SKIP_1) | instid1(SALU_CYCLE_1)
	v_cmp_le_i64_e32 vcc_lo, s[10:11], v[0:1]
	s_or_b32 s44, vcc_lo, s44
	s_and_not1_b32 exec_lo, exec_lo, s44
	s_cbranch_execz .LBB65_17
.LBB65_3:                               ; =>This Loop Header: Depth=1
                                        ;     Child Loop BB65_4 Depth 2
                                        ;     Child Loop BB65_16 Depth 2
	v_mov_b64_e32 v[4:5], 0
	v_mov_b64_e32 v[6:7], v[0:1]
	;; [unrolled: 1-line block ×3, first 2 shown]
	s_and_not1_b32 vcc_lo, exec_lo, s1
	s_mov_b64 s[36:37], s[34:35]
	s_mov_b32 s31, s33
	s_cbranch_vccnz .LBB65_10
.LBB65_4:                               ;   Parent Loop BB65_3 Depth=1
                                        ; =>  This Inner Loop Header: Depth=2
	s_load_b64 s[38:39], s[36:37], 0x0
                                        ; implicit-def: $vgpr8_vgpr9
	s_mov_b32 s0, exec_lo
	s_wait_kmcnt 0x0
	s_delay_alu instid0(VALU_DEP_1) | instskip(NEXT) | instid1(VALU_DEP_1)
	v_or_b32_e32 v3, s39, v7
	v_cmpx_ne_u64_e32 0, v[2:3]
	s_xor_b32 s45, exec_lo, s0
	s_cbranch_execz .LBB65_6
; %bb.5:                                ;   in Loop: Header=BB65_4 Depth=2
	s_ashr_i32 s40, s39, 31
	v_dual_mov_b32 v13, v2 :: v_dual_ashrrev_i32 v8, 31, v7
	s_mov_b32 s41, s40
	s_delay_alu instid0(SALU_CYCLE_1) | instskip(NEXT) | instid1(VALU_DEP_1)
	s_add_nc_u64 s[42:43], s[38:39], s[40:41]
	v_mov_b32_e32 v9, v8
	s_xor_b64 s[42:43], s[42:43], s[40:41]
	s_delay_alu instid0(SALU_CYCLE_1)
	s_cvt_f32_u32 s0, s42
	s_cvt_f32_u32 s2, s43
	s_sub_nc_u64 s[48:49], 0, s[42:43]
	v_add_nc_u64_e32 v[10:11], v[6:7], v[8:9]
	v_mov_b32_e32 v17, v2
	s_fmamk_f32 s0, s2, 0x4f800000, s0
	s_delay_alu instid0(SALU_CYCLE_3) | instskip(NEXT) | instid1(VALU_DEP_2)
	v_s_rcp_f32 s0, s0
	v_xor_b32_e32 v12, v10, v8
	s_delay_alu instid0(VALU_DEP_3) | instskip(SKIP_1) | instid1(TRANS32_DEP_1)
	v_dual_mov_b32 v21, v2 :: v_dual_bitop2_b32 v16, v11, v8 bitop3:0x14
	v_xor_b32_e32 v8, s40, v8
	s_mul_f32 s0, s0, 0x5f7ffffc
	s_delay_alu instid0(SALU_CYCLE_3) | instskip(NEXT) | instid1(SALU_CYCLE_3)
	s_mul_f32 s2, s0, 0x2f800000
	s_trunc_f32 s2, s2
	s_delay_alu instid0(SALU_CYCLE_3) | instskip(SKIP_1) | instid1(SALU_CYCLE_2)
	s_fmamk_f32 s0, s2, 0xcf800000, s0
	s_cvt_u32_f32 s47, s2
	s_cvt_u32_f32 s46, s0
	s_delay_alu instid0(SALU_CYCLE_3) | instskip(NEXT) | instid1(SALU_CYCLE_1)
	s_mul_u64 s[50:51], s[48:49], s[46:47]
	s_mul_hi_u32 s53, s46, s51
	s_mul_i32 s52, s46, s51
	s_mul_hi_u32 s2, s46, s50
	s_mul_i32 s41, s47, s50
	s_add_nc_u64 s[52:53], s[2:3], s[52:53]
	s_mul_hi_u32 s0, s47, s50
	s_mul_hi_u32 s54, s47, s51
	s_add_co_u32 s2, s52, s41
	s_add_co_ci_u32 s2, s53, s0
	s_mul_i32 s50, s47, s51
	s_add_co_ci_u32 s51, s54, 0
	s_delay_alu instid0(SALU_CYCLE_1) | instskip(NEXT) | instid1(SALU_CYCLE_1)
	s_add_nc_u64 s[50:51], s[2:3], s[50:51]
	s_add_co_u32 s46, s46, s50
	s_cselect_b32 s0, -1, 0
	s_delay_alu instid0(SALU_CYCLE_1) | instskip(SKIP_1) | instid1(SALU_CYCLE_1)
	s_cmp_lg_u32 s0, 0
	s_add_co_ci_u32 s47, s47, s51
	s_mul_u64 s[48:49], s[48:49], s[46:47]
	s_delay_alu instid0(SALU_CYCLE_1)
	s_mul_hi_u32 s51, s46, s49
	s_mul_i32 s50, s46, s49
	s_mul_hi_u32 s2, s46, s48
	s_mul_i32 s41, s47, s48
	s_add_nc_u64 s[50:51], s[2:3], s[50:51]
	s_mul_hi_u32 s0, s47, s48
	s_mul_hi_u32 s52, s47, s49
	s_add_co_u32 s2, s50, s41
	s_add_co_ci_u32 s2, s51, s0
	s_mul_i32 s48, s47, s49
	s_add_co_ci_u32 s49, s52, 0
	s_delay_alu instid0(SALU_CYCLE_1) | instskip(NEXT) | instid1(SALU_CYCLE_1)
	s_add_nc_u64 s[48:49], s[2:3], s[48:49]
	s_add_co_u32 s0, s46, s48
	s_cselect_b32 s2, -1, 0
	v_mul_hi_u32 v20, v12, s0
	s_cmp_lg_u32 s2, 0
	s_add_co_ci_u32 s2, s47, s49
	s_and_b64 s[46:47], s[0:1], s[28:29]
	v_mul_u64_e32 v[14:15], s[2:3], v[12:13]
	v_mul_u64_e32 v[10:11], s[46:47], v[16:17]
	;; [unrolled: 1-line block ×3, first 2 shown]
	s_delay_alu instid0(VALU_DEP_3) | instskip(NEXT) | instid1(VALU_DEP_1)
	v_add_nc_u64_e32 v[14:15], v[20:21], v[14:15]
	v_add_co_u32 v3, vcc_lo, v14, v10
	s_delay_alu instid0(VALU_DEP_2) | instskip(NEXT) | instid1(VALU_DEP_4)
	v_add_co_ci_u32_e32 v20, vcc_lo, v15, v11, vcc_lo
	v_add_co_ci_u32_e32 v19, vcc_lo, 0, v19, vcc_lo
	s_delay_alu instid0(VALU_DEP_1) | instskip(NEXT) | instid1(VALU_DEP_1)
	v_add_nc_u64_e32 v[10:11], v[20:21], v[18:19]
	v_mul_u64_e32 v[14:15], s[42:43], v[10:11]
	s_delay_alu instid0(VALU_DEP_1) | instskip(NEXT) | instid1(VALU_DEP_2)
	v_sub_nc_u32_e32 v3, v16, v15
	v_sub_co_u32 v9, vcc_lo, v12, v14
	s_delay_alu instid0(VALU_DEP_1) | instskip(NEXT) | instid1(VALU_DEP_3)
	v_sub_co_ci_u32_e64 v16, null, v16, v15, vcc_lo
	v_subrev_co_ci_u32_e64 v3, null, s43, v3, vcc_lo
	s_delay_alu instid0(VALU_DEP_3) | instskip(SKIP_1) | instid1(VALU_DEP_3)
	v_sub_co_u32 v12, s0, v9, s42
	v_add_nc_u64_e32 v[14:15], 1, v[10:11]
	v_subrev_co_ci_u32_e64 v3, null, 0, v3, s0
	s_delay_alu instid0(VALU_DEP_3) | instskip(SKIP_1) | instid1(VALU_DEP_3)
	v_cmp_le_u32_e32 vcc_lo, s42, v12
	v_cndmask_b32_e64 v12, 0, -1, vcc_lo
	v_cmp_le_u32_e32 vcc_lo, s43, v3
	v_cndmask_b32_e64 v13, 0, -1, vcc_lo
	;; [unrolled: 2-line block ×4, first 2 shown]
	v_cmp_eq_u32_e32 vcc_lo, s43, v3
	v_cndmask_b32_e32 v3, v13, v12, vcc_lo
	v_cmp_eq_u32_e32 vcc_lo, s43, v16
	v_add_nc_u64_e32 v[12:13], 2, v[10:11]
	v_cndmask_b32_e32 v9, v17, v9, vcc_lo
	s_delay_alu instid0(VALU_DEP_4) | instskip(NEXT) | instid1(VALU_DEP_2)
	v_cmp_ne_u32_e32 vcc_lo, 0, v3
	v_cmp_ne_u32_e64 s0, 0, v9
	s_delay_alu instid0(VALU_DEP_4) | instskip(NEXT) | instid1(VALU_DEP_1)
	v_dual_cndmask_b32 v3, v15, v13, vcc_lo :: v_dual_cndmask_b32 v9, v14, v12, vcc_lo
	v_dual_cndmask_b32 v10, v10, v9, s0 :: v_dual_mov_b32 v9, v8
	s_delay_alu instid0(VALU_DEP_1) | instskip(NEXT) | instid1(VALU_DEP_1)
	v_dual_cndmask_b32 v3, v11, v3, s0 :: v_dual_bitop2_b32 v10, v10, v8 bitop3:0x14
	v_xor_b32_e32 v11, v3, v8
	s_delay_alu instid0(VALU_DEP_1)
	v_sub_nc_u64_e32 v[8:9], v[10:11], v[8:9]
.LBB65_6:                               ;   in Loop: Header=BB65_4 Depth=2
	s_and_not1_saveexec_b32 s0, s45
	s_cbranch_execz .LBB65_8
; %bb.7:                                ;   in Loop: Header=BB65_4 Depth=2
	v_cvt_f32_u32_e32 v3, s38
	s_sub_co_i32 s2, 0, s38
	s_delay_alu instid0(VALU_DEP_1) | instskip(SKIP_1) | instid1(TRANS32_DEP_1)
	v_rcp_iflag_f32_e32 v3, v3
	v_nop
	v_mul_f32_e32 v3, 0x4f7ffffe, v3
	s_delay_alu instid0(VALU_DEP_1) | instskip(NEXT) | instid1(VALU_DEP_1)
	v_cvt_u32_f32_e32 v3, v3
	v_mul_lo_u32 v8, s2, v3
	s_delay_alu instid0(VALU_DEP_1) | instskip(NEXT) | instid1(VALU_DEP_1)
	v_mul_hi_u32 v8, v3, v8
	v_add_nc_u32_e32 v3, v3, v8
	s_delay_alu instid0(VALU_DEP_1) | instskip(NEXT) | instid1(VALU_DEP_1)
	v_mul_hi_u32 v3, v6, v3
	v_mul_lo_u32 v8, v3, s38
	s_delay_alu instid0(VALU_DEP_1) | instskip(NEXT) | instid1(VALU_DEP_1)
	v_dual_add_nc_u32 v9, 1, v3 :: v_dual_sub_nc_u32 v8, v6, v8
	v_subrev_nc_u32_e32 v10, s38, v8
	v_cmp_le_u32_e32 vcc_lo, s38, v8
	s_delay_alu instid0(VALU_DEP_2) | instskip(NEXT) | instid1(VALU_DEP_1)
	v_dual_cndmask_b32 v8, v8, v10 :: v_dual_cndmask_b32 v3, v3, v9
	v_cmp_le_u32_e32 vcc_lo, s38, v8
	s_delay_alu instid0(VALU_DEP_2) | instskip(NEXT) | instid1(VALU_DEP_1)
	v_add_nc_u32_e32 v9, 1, v3
	v_dual_cndmask_b32 v8, v3, v9 :: v_dual_mov_b32 v9, v2
.LBB65_8:                               ;   in Loop: Header=BB65_4 Depth=2
	s_or_b32 exec_lo, exec_lo, s0
	s_delay_alu instid0(VALU_DEP_1)
	v_mul_u64_e32 v[10:11], s[38:39], v[8:9]
	s_load_b64 s[38:39], s[36:37], 0xc8
	s_add_co_i32 s31, s31, -1
	s_wait_xcnt 0x0
	s_add_nc_u64 s[36:37], s[36:37], -8
	s_cmp_gt_u32 s31, 2
	s_delay_alu instid0(VALU_DEP_1) | instskip(SKIP_1) | instid1(VALU_DEP_1)
	v_sub_nc_u64_e32 v[6:7], v[6:7], v[10:11]
	s_wait_kmcnt 0x0
	v_mad_nc_u64_u32 v[4:5], s38, v6, v[4:5]
	s_delay_alu instid0(VALU_DEP_1) | instskip(NEXT) | instid1(VALU_DEP_1)
	v_mad_u32 v3, s39, v6, v5
	v_mad_u32 v5, s38, v7, v3
	s_cbranch_scc0 .LBB65_10
; %bb.9:                                ;   in Loop: Header=BB65_4 Depth=2
	v_mov_b64_e32 v[6:7], v[8:9]
	s_branch .LBB65_4
.LBB65_10:                              ;   in Loop: Header=BB65_3 Depth=1
	s_delay_alu instid0(VALU_DEP_1) | instskip(NEXT) | instid1(VALU_DEP_1)
	v_mad_nc_u64_u32 v[6:7], s20, v8, s[22:23]
	v_mad_u32 v3, s21, v8, v7
	s_delay_alu instid0(VALU_DEP_1) | instskip(NEXT) | instid1(VALU_DEP_1)
	v_mad_u32 v7, s20, v9, v3
	v_add_nc_u64_e32 v[4:5], v[6:7], v[4:5]
	global_load_i8 v3, v[4:5], off
	s_wait_loadcnt 0x0
	v_bfe_i32 v4, v3, 0, 16
	s_delay_alu instid0(VALU_DEP_1) | instskip(NEXT) | instid1(VALU_DEP_1)
	v_ashrrev_i32_e32 v5, 31, v4
	v_cmp_le_i64_e32 vcc_lo, s[6:7], v[4:5]
	v_cmp_ge_i64_e64 s0, s[8:9], v[4:5]
	s_and_b32 s0, vcc_lo, s0
	s_delay_alu instid0(SALU_CYCLE_1)
	s_and_saveexec_b32 s38, s0
	s_cbranch_execz .LBB65_2
; %bb.11:                               ;   in Loop: Header=BB65_3 Depth=1
	v_sub_nc_u64_e64 v[4:5], v[4:5], s[6:7]
                                        ; implicit-def: $vgpr6_vgpr7
	s_mov_b32 s0, exec_lo
	s_delay_alu instid0(VALU_DEP_1) | instskip(NEXT) | instid1(VALU_DEP_1)
	v_mul_u64_e32 v[4:5], s[4:5], v[4:5]
	v_or_b32_e32 v3, s25, v5
	s_delay_alu instid0(VALU_DEP_1)
	v_cmpx_ne_u64_e32 0, v[2:3]
	s_xor_b32 s39, exec_lo, s0
	s_cbranch_execz .LBB65_13
; %bb.12:                               ;   in Loop: Header=BB65_3 Depth=1
	s_mov_b32 s31, s30
	v_dual_mov_b32 v9, v2 :: v_dual_ashrrev_i32 v6, 31, v5
	s_add_nc_u64 s[36:37], s[24:25], s[30:31]
	s_delay_alu instid0(SALU_CYCLE_1) | instskip(NEXT) | instid1(VALU_DEP_1)
	s_xor_b64 s[36:37], s[36:37], s[30:31]
	v_mov_b32_e32 v7, v6
	s_cvt_f32_u32 s0, s36
	s_cvt_f32_u32 s2, s37
	s_sub_nc_u64 s[42:43], 0, s[36:37]
	s_delay_alu instid0(VALU_DEP_1) | instskip(NEXT) | instid1(SALU_CYCLE_1)
	v_add_nc_u64_e32 v[4:5], v[4:5], v[6:7]
	s_fmamk_f32 s0, s2, 0x4f800000, s0
	v_mov_b32_e32 v13, v2
	s_delay_alu instid0(SALU_CYCLE_2) | instskip(NEXT) | instid1(VALU_DEP_2)
	v_s_rcp_f32 s0, s0
	v_xor_b32_e32 v8, v4, v6
	s_delay_alu instid0(VALU_DEP_3) | instskip(NEXT) | instid1(TRANS32_DEP_1)
	v_dual_mov_b32 v17, v2 :: v_dual_bitop2_b32 v12, v5, v6 bitop3:0x14
	s_mul_f32 s0, s0, 0x5f7ffffc
	s_delay_alu instid0(SALU_CYCLE_3) | instskip(NEXT) | instid1(SALU_CYCLE_3)
	s_mul_f32 s2, s0, 0x2f800000
	s_trunc_f32 s2, s2
	s_delay_alu instid0(SALU_CYCLE_3) | instskip(SKIP_1) | instid1(SALU_CYCLE_2)
	s_fmamk_f32 s0, s2, 0xcf800000, s0
	s_cvt_u32_f32 s41, s2
	s_cvt_u32_f32 s40, s0
	s_delay_alu instid0(SALU_CYCLE_3) | instskip(NEXT) | instid1(SALU_CYCLE_1)
	s_mul_u64 s[46:47], s[42:43], s[40:41]
	s_mul_hi_u32 s49, s40, s47
	s_mul_i32 s48, s40, s47
	s_mul_hi_u32 s2, s40, s46
	s_mul_i32 s31, s41, s46
	s_add_nc_u64 s[48:49], s[2:3], s[48:49]
	s_mul_hi_u32 s0, s41, s46
	s_mul_hi_u32 s45, s41, s47
	s_add_co_u32 s2, s48, s31
	s_add_co_ci_u32 s2, s49, s0
	s_mul_i32 s46, s41, s47
	s_add_co_ci_u32 s47, s45, 0
	s_delay_alu instid0(SALU_CYCLE_1) | instskip(NEXT) | instid1(SALU_CYCLE_1)
	s_add_nc_u64 s[46:47], s[2:3], s[46:47]
	s_add_co_u32 s40, s40, s46
	s_cselect_b32 s0, -1, 0
	s_delay_alu instid0(SALU_CYCLE_1) | instskip(SKIP_1) | instid1(SALU_CYCLE_1)
	s_cmp_lg_u32 s0, 0
	s_add_co_ci_u32 s41, s41, s47
	s_mul_u64 s[42:43], s[42:43], s[40:41]
	s_delay_alu instid0(SALU_CYCLE_1)
	s_mul_hi_u32 s47, s40, s43
	s_mul_i32 s46, s40, s43
	s_mul_hi_u32 s2, s40, s42
	s_mul_i32 s31, s41, s42
	s_add_nc_u64 s[46:47], s[2:3], s[46:47]
	s_mul_hi_u32 s0, s41, s42
	s_mul_hi_u32 s45, s41, s43
	s_add_co_u32 s2, s46, s31
	s_add_co_ci_u32 s2, s47, s0
	s_mul_i32 s42, s41, s43
	s_add_co_ci_u32 s43, s45, 0
	s_delay_alu instid0(SALU_CYCLE_1) | instskip(NEXT) | instid1(SALU_CYCLE_1)
	s_add_nc_u64 s[42:43], s[2:3], s[42:43]
	s_add_co_u32 s0, s40, s42
	s_cselect_b32 s2, -1, 0
	v_mul_hi_u32 v16, v8, s0
	s_cmp_lg_u32 s2, 0
	s_add_co_ci_u32 s2, s41, s43
	s_and_b64 s[40:41], s[0:1], s[28:29]
	v_mul_u64_e32 v[10:11], s[2:3], v[8:9]
	v_mul_u64_e32 v[4:5], s[40:41], v[12:13]
	v_mul_u64_e32 v[14:15], s[2:3], v[12:13]
	s_delay_alu instid0(VALU_DEP_3) | instskip(NEXT) | instid1(VALU_DEP_1)
	v_add_nc_u64_e32 v[10:11], v[16:17], v[10:11]
	v_add_co_u32 v3, vcc_lo, v10, v4
	s_delay_alu instid0(VALU_DEP_2) | instskip(NEXT) | instid1(VALU_DEP_4)
	v_add_co_ci_u32_e32 v16, vcc_lo, v11, v5, vcc_lo
	v_add_co_ci_u32_e32 v15, vcc_lo, 0, v15, vcc_lo
	s_delay_alu instid0(VALU_DEP_1) | instskip(NEXT) | instid1(VALU_DEP_1)
	v_add_nc_u64_e32 v[4:5], v[16:17], v[14:15]
	v_mul_u64_e32 v[10:11], s[36:37], v[4:5]
	s_delay_alu instid0(VALU_DEP_1) | instskip(NEXT) | instid1(VALU_DEP_2)
	v_sub_nc_u32_e32 v3, v12, v11
	v_sub_co_u32 v7, vcc_lo, v8, v10
	s_delay_alu instid0(VALU_DEP_1) | instskip(NEXT) | instid1(VALU_DEP_3)
	v_sub_co_ci_u32_e64 v12, null, v12, v11, vcc_lo
	v_subrev_co_ci_u32_e64 v3, null, s37, v3, vcc_lo
	s_delay_alu instid0(VALU_DEP_3) | instskip(SKIP_1) | instid1(VALU_DEP_3)
	v_sub_co_u32 v8, s0, v7, s36
	v_add_nc_u64_e32 v[10:11], 1, v[4:5]
	v_subrev_co_ci_u32_e64 v3, null, 0, v3, s0
	s_delay_alu instid0(VALU_DEP_3) | instskip(SKIP_1) | instid1(VALU_DEP_3)
	v_cmp_le_u32_e32 vcc_lo, s36, v8
	v_cndmask_b32_e64 v8, 0, -1, vcc_lo
	v_cmp_le_u32_e32 vcc_lo, s37, v3
	v_cndmask_b32_e64 v9, 0, -1, vcc_lo
	;; [unrolled: 2-line block ×4, first 2 shown]
	v_cmp_eq_u32_e32 vcc_lo, s37, v3
	v_cndmask_b32_e32 v3, v9, v8, vcc_lo
	v_cmp_eq_u32_e32 vcc_lo, s37, v12
	v_add_nc_u64_e32 v[8:9], 2, v[4:5]
	v_cndmask_b32_e32 v7, v13, v7, vcc_lo
	s_delay_alu instid0(VALU_DEP_4) | instskip(NEXT) | instid1(VALU_DEP_3)
	v_cmp_ne_u32_e32 vcc_lo, 0, v3
	v_cndmask_b32_e32 v3, v11, v9, vcc_lo
	s_delay_alu instid0(VALU_DEP_3) | instskip(SKIP_1) | instid1(VALU_DEP_2)
	v_cmp_ne_u32_e64 s0, 0, v7
	v_dual_cndmask_b32 v7, v10, v8, vcc_lo :: v_dual_bitop2_b32 v6, s30, v6 bitop3:0x14
	v_cndmask_b32_e64 v3, v5, v3, s0
	s_delay_alu instid0(VALU_DEP_2) | instskip(NEXT) | instid1(VALU_DEP_2)
	v_dual_cndmask_b32 v4, v4, v7, s0 :: v_dual_mov_b32 v7, v6
	v_xor_b32_e32 v5, v3, v6
	s_delay_alu instid0(VALU_DEP_2) | instskip(NEXT) | instid1(VALU_DEP_1)
	v_xor_b32_e32 v4, v4, v6
	v_sub_nc_u64_e32 v[6:7], v[4:5], v[6:7]
                                        ; implicit-def: $vgpr4_vgpr5
.LBB65_13:                              ;   in Loop: Header=BB65_3 Depth=1
	s_and_not1_saveexec_b32 s0, s39
	s_cbranch_execz .LBB65_15
; %bb.14:                               ;   in Loop: Header=BB65_3 Depth=1
	v_cvt_f32_u32_e32 v3, s24
	s_sub_co_i32 s2, 0, s24
	s_delay_alu instid0(VALU_DEP_1) | instskip(SKIP_1) | instid1(TRANS32_DEP_1)
	v_rcp_iflag_f32_e32 v3, v3
	v_nop
	v_mul_f32_e32 v3, 0x4f7ffffe, v3
	s_delay_alu instid0(VALU_DEP_1) | instskip(NEXT) | instid1(VALU_DEP_1)
	v_cvt_u32_f32_e32 v3, v3
	v_mul_lo_u32 v5, s2, v3
	s_delay_alu instid0(VALU_DEP_1) | instskip(NEXT) | instid1(VALU_DEP_1)
	v_mul_hi_u32 v5, v3, v5
	v_add_nc_u32_e32 v3, v3, v5
	s_delay_alu instid0(VALU_DEP_1) | instskip(NEXT) | instid1(VALU_DEP_1)
	v_mul_hi_u32 v3, v4, v3
	v_mul_lo_u32 v5, v3, s24
	s_delay_alu instid0(VALU_DEP_1) | instskip(NEXT) | instid1(VALU_DEP_1)
	v_dual_sub_nc_u32 v4, v4, v5 :: v_dual_add_nc_u32 v5, 1, v3
	v_subrev_nc_u32_e32 v6, s24, v4
	v_cmp_le_u32_e32 vcc_lo, s24, v4
	s_delay_alu instid0(VALU_DEP_2) | instskip(NEXT) | instid1(VALU_DEP_1)
	v_dual_cndmask_b32 v4, v4, v6 :: v_dual_cndmask_b32 v3, v3, v5
	v_cmp_le_u32_e32 vcc_lo, s24, v4
	s_delay_alu instid0(VALU_DEP_2) | instskip(NEXT) | instid1(VALU_DEP_1)
	v_add_nc_u32_e32 v5, 1, v3
	v_cndmask_b32_e32 v6, v3, v5, vcc_lo
.LBB65_15:                              ;   in Loop: Header=BB65_3 Depth=1
	s_or_b32 exec_lo, exec_lo, s0
	s_delay_alu instid0(VALU_DEP_1) | instskip(SKIP_3) | instid1(VALU_DEP_3)
	v_dual_ashrrev_i32 v7, 31, v6 :: v_dual_mov_b32 v5, s3
	v_mad_nc_u64_u32 v[8:9], v0, s12, s[14:15]
	s_mov_b32 s0, 0
	v_mov_b32_e32 v11, v2
	v_cmp_eq_u64_e32 vcc_lo, s[4:5], v[6:7]
	v_cndmask_b32_e64 v4, 0, 1, vcc_lo
	s_delay_alu instid0(VALU_DEP_4) | instskip(NEXT) | instid1(VALU_DEP_2)
	v_mad_u32 v9, v1, s12, v9
	v_sub_nc_u64_e32 v[4:5], v[6:7], v[4:5]
	s_delay_alu instid0(VALU_DEP_1) | instskip(NEXT) | instid1(VALU_DEP_3)
	v_mad_nc_u64_u32 v[6:7], v4, s18, s[16:17]
	v_mad_u32 v9, v0, s13, v9
	s_delay_alu instid0(VALU_DEP_2) | instskip(NEXT) | instid1(VALU_DEP_3)
	v_mad_u32 v3, v5, s18, v7
	v_and_b32_e32 v10, 3, v6
	s_delay_alu instid0(VALU_DEP_2) | instskip(NEXT) | instid1(VALU_DEP_2)
	v_mad_u32 v7, v4, s19, v3
	v_sub_nc_u64_e32 v[4:5], 0, v[10:11]
	s_delay_alu instid0(VALU_DEP_1) | instskip(SKIP_4) | instid1(VALU_DEP_1)
	v_add_nc_u64_e32 v[4:5], v[6:7], v[4:5]
	global_load_u8 v3, v[8:9], off
	global_load_b32 v7, v[4:5], off
	s_wait_xcnt 0x1
	v_lshlrev_b32_e32 v8, 3, v10
	v_lshlrev_b32_e64 v6, v8, 0xff
	s_delay_alu instid0(VALU_DEP_1)
	v_not_b32_e32 v9, v6
.LBB65_16:                              ;   Parent Loop BB65_3 Depth=1
                                        ; =>  This Inner Loop Header: Depth=2
	s_wait_loadcnt 0x0
	s_delay_alu instid0(VALU_DEP_1) | instskip(NEXT) | instid1(VALU_DEP_1)
	v_dual_lshrrev_b32 v6, v8, v7 :: v_dual_bitop2_b32 v10, v7, v9 bitop3:0x40
	v_add_nc_u16 v6, v3, v6
	s_delay_alu instid0(VALU_DEP_1) | instskip(NEXT) | instid1(VALU_DEP_1)
	v_and_b32_e32 v6, 0xff, v6
	v_lshl_or_b32 v6, v6, v8, v10
	global_atomic_cmpswap_b32 v6, v[4:5], v[6:7], off th:TH_ATOMIC_RETURN scope:SCOPE_DEV
	s_wait_loadcnt 0x0
	v_cmp_eq_u32_e32 vcc_lo, v7, v6
	v_mov_b32_e32 v7, v6
	s_or_b32 s0, vcc_lo, s0
	s_delay_alu instid0(SALU_CYCLE_1)
	s_and_not1_b32 exec_lo, exec_lo, s0
	s_cbranch_execnz .LBB65_16
	s_branch .LBB65_2
.LBB65_17:
	s_endpgm
	.section	.rodata,"a",@progbits
	.p2align	6, 0x0
	.amdhsa_kernel _ZN2at4cuda17kernelHistogram1DIaalLi1ELi2ELin1ELNS0_23CUDAHistogramMemoryTypeE1EZNS0_21CUDA_tensor_histogramIaaLb0EEEbNS_6TensorES4_S4_lNS_14AccumulateTypeIT0_Lb1EE4typeES8_NS0_13TensorArgTypeES9_S9_EUllE_EEvNS0_6detail10TensorInfoIT_T1_EESF_NSC_IKS6_SE_EElS8_S8_SE_T6_
		.amdhsa_group_segment_fixed_size 0
		.amdhsa_private_segment_fixed_size 0
		.amdhsa_kernarg_size 1952
		.amdhsa_user_sgpr_count 2
		.amdhsa_user_sgpr_dispatch_ptr 0
		.amdhsa_user_sgpr_queue_ptr 0
		.amdhsa_user_sgpr_kernarg_segment_ptr 1
		.amdhsa_user_sgpr_dispatch_id 0
		.amdhsa_user_sgpr_kernarg_preload_length 0
		.amdhsa_user_sgpr_kernarg_preload_offset 0
		.amdhsa_user_sgpr_private_segment_size 0
		.amdhsa_wavefront_size32 1
		.amdhsa_uses_dynamic_stack 0
		.amdhsa_enable_private_segment 0
		.amdhsa_system_sgpr_workgroup_id_x 1
		.amdhsa_system_sgpr_workgroup_id_y 0
		.amdhsa_system_sgpr_workgroup_id_z 0
		.amdhsa_system_sgpr_workgroup_info 0
		.amdhsa_system_vgpr_workitem_id 0
		.amdhsa_next_free_vgpr 22
		.amdhsa_next_free_sgpr 55
		.amdhsa_named_barrier_count 0
		.amdhsa_reserve_vcc 1
		.amdhsa_float_round_mode_32 0
		.amdhsa_float_round_mode_16_64 0
		.amdhsa_float_denorm_mode_32 3
		.amdhsa_float_denorm_mode_16_64 3
		.amdhsa_fp16_overflow 0
		.amdhsa_memory_ordered 1
		.amdhsa_forward_progress 1
		.amdhsa_inst_pref_size 18
		.amdhsa_round_robin_scheduling 0
		.amdhsa_exception_fp_ieee_invalid_op 0
		.amdhsa_exception_fp_denorm_src 0
		.amdhsa_exception_fp_ieee_div_zero 0
		.amdhsa_exception_fp_ieee_overflow 0
		.amdhsa_exception_fp_ieee_underflow 0
		.amdhsa_exception_fp_ieee_inexact 0
		.amdhsa_exception_int_div_zero 0
	.end_amdhsa_kernel
	.section	.text._ZN2at4cuda17kernelHistogram1DIaalLi1ELi2ELin1ELNS0_23CUDAHistogramMemoryTypeE1EZNS0_21CUDA_tensor_histogramIaaLb0EEEbNS_6TensorES4_S4_lNS_14AccumulateTypeIT0_Lb1EE4typeES8_NS0_13TensorArgTypeES9_S9_EUllE_EEvNS0_6detail10TensorInfoIT_T1_EESF_NSC_IKS6_SE_EElS8_S8_SE_T6_,"axG",@progbits,_ZN2at4cuda17kernelHistogram1DIaalLi1ELi2ELin1ELNS0_23CUDAHistogramMemoryTypeE1EZNS0_21CUDA_tensor_histogramIaaLb0EEEbNS_6TensorES4_S4_lNS_14AccumulateTypeIT0_Lb1EE4typeES8_NS0_13TensorArgTypeES9_S9_EUllE_EEvNS0_6detail10TensorInfoIT_T1_EESF_NSC_IKS6_SE_EElS8_S8_SE_T6_,comdat
.Lfunc_end65:
	.size	_ZN2at4cuda17kernelHistogram1DIaalLi1ELi2ELin1ELNS0_23CUDAHistogramMemoryTypeE1EZNS0_21CUDA_tensor_histogramIaaLb0EEEbNS_6TensorES4_S4_lNS_14AccumulateTypeIT0_Lb1EE4typeES8_NS0_13TensorArgTypeES9_S9_EUllE_EEvNS0_6detail10TensorInfoIT_T1_EESF_NSC_IKS6_SE_EElS8_S8_SE_T6_, .Lfunc_end65-_ZN2at4cuda17kernelHistogram1DIaalLi1ELi2ELin1ELNS0_23CUDAHistogramMemoryTypeE1EZNS0_21CUDA_tensor_histogramIaaLb0EEEbNS_6TensorES4_S4_lNS_14AccumulateTypeIT0_Lb1EE4typeES8_NS0_13TensorArgTypeES9_S9_EUllE_EEvNS0_6detail10TensorInfoIT_T1_EESF_NSC_IKS6_SE_EElS8_S8_SE_T6_
                                        ; -- End function
	.set _ZN2at4cuda17kernelHistogram1DIaalLi1ELi2ELin1ELNS0_23CUDAHistogramMemoryTypeE1EZNS0_21CUDA_tensor_histogramIaaLb0EEEbNS_6TensorES4_S4_lNS_14AccumulateTypeIT0_Lb1EE4typeES8_NS0_13TensorArgTypeES9_S9_EUllE_EEvNS0_6detail10TensorInfoIT_T1_EESF_NSC_IKS6_SE_EElS8_S8_SE_T6_.num_vgpr, 22
	.set _ZN2at4cuda17kernelHistogram1DIaalLi1ELi2ELin1ELNS0_23CUDAHistogramMemoryTypeE1EZNS0_21CUDA_tensor_histogramIaaLb0EEEbNS_6TensorES4_S4_lNS_14AccumulateTypeIT0_Lb1EE4typeES8_NS0_13TensorArgTypeES9_S9_EUllE_EEvNS0_6detail10TensorInfoIT_T1_EESF_NSC_IKS6_SE_EElS8_S8_SE_T6_.num_agpr, 0
	.set _ZN2at4cuda17kernelHistogram1DIaalLi1ELi2ELin1ELNS0_23CUDAHistogramMemoryTypeE1EZNS0_21CUDA_tensor_histogramIaaLb0EEEbNS_6TensorES4_S4_lNS_14AccumulateTypeIT0_Lb1EE4typeES8_NS0_13TensorArgTypeES9_S9_EUllE_EEvNS0_6detail10TensorInfoIT_T1_EESF_NSC_IKS6_SE_EElS8_S8_SE_T6_.numbered_sgpr, 55
	.set _ZN2at4cuda17kernelHistogram1DIaalLi1ELi2ELin1ELNS0_23CUDAHistogramMemoryTypeE1EZNS0_21CUDA_tensor_histogramIaaLb0EEEbNS_6TensorES4_S4_lNS_14AccumulateTypeIT0_Lb1EE4typeES8_NS0_13TensorArgTypeES9_S9_EUllE_EEvNS0_6detail10TensorInfoIT_T1_EESF_NSC_IKS6_SE_EElS8_S8_SE_T6_.num_named_barrier, 0
	.set _ZN2at4cuda17kernelHistogram1DIaalLi1ELi2ELin1ELNS0_23CUDAHistogramMemoryTypeE1EZNS0_21CUDA_tensor_histogramIaaLb0EEEbNS_6TensorES4_S4_lNS_14AccumulateTypeIT0_Lb1EE4typeES8_NS0_13TensorArgTypeES9_S9_EUllE_EEvNS0_6detail10TensorInfoIT_T1_EESF_NSC_IKS6_SE_EElS8_S8_SE_T6_.private_seg_size, 0
	.set _ZN2at4cuda17kernelHistogram1DIaalLi1ELi2ELin1ELNS0_23CUDAHistogramMemoryTypeE1EZNS0_21CUDA_tensor_histogramIaaLb0EEEbNS_6TensorES4_S4_lNS_14AccumulateTypeIT0_Lb1EE4typeES8_NS0_13TensorArgTypeES9_S9_EUllE_EEvNS0_6detail10TensorInfoIT_T1_EESF_NSC_IKS6_SE_EElS8_S8_SE_T6_.uses_vcc, 1
	.set _ZN2at4cuda17kernelHistogram1DIaalLi1ELi2ELin1ELNS0_23CUDAHistogramMemoryTypeE1EZNS0_21CUDA_tensor_histogramIaaLb0EEEbNS_6TensorES4_S4_lNS_14AccumulateTypeIT0_Lb1EE4typeES8_NS0_13TensorArgTypeES9_S9_EUllE_EEvNS0_6detail10TensorInfoIT_T1_EESF_NSC_IKS6_SE_EElS8_S8_SE_T6_.uses_flat_scratch, 0
	.set _ZN2at4cuda17kernelHistogram1DIaalLi1ELi2ELin1ELNS0_23CUDAHistogramMemoryTypeE1EZNS0_21CUDA_tensor_histogramIaaLb0EEEbNS_6TensorES4_S4_lNS_14AccumulateTypeIT0_Lb1EE4typeES8_NS0_13TensorArgTypeES9_S9_EUllE_EEvNS0_6detail10TensorInfoIT_T1_EESF_NSC_IKS6_SE_EElS8_S8_SE_T6_.has_dyn_sized_stack, 0
	.set _ZN2at4cuda17kernelHistogram1DIaalLi1ELi2ELin1ELNS0_23CUDAHistogramMemoryTypeE1EZNS0_21CUDA_tensor_histogramIaaLb0EEEbNS_6TensorES4_S4_lNS_14AccumulateTypeIT0_Lb1EE4typeES8_NS0_13TensorArgTypeES9_S9_EUllE_EEvNS0_6detail10TensorInfoIT_T1_EESF_NSC_IKS6_SE_EElS8_S8_SE_T6_.has_recursion, 0
	.set _ZN2at4cuda17kernelHistogram1DIaalLi1ELi2ELin1ELNS0_23CUDAHistogramMemoryTypeE1EZNS0_21CUDA_tensor_histogramIaaLb0EEEbNS_6TensorES4_S4_lNS_14AccumulateTypeIT0_Lb1EE4typeES8_NS0_13TensorArgTypeES9_S9_EUllE_EEvNS0_6detail10TensorInfoIT_T1_EESF_NSC_IKS6_SE_EElS8_S8_SE_T6_.has_indirect_call, 0
	.section	.AMDGPU.csdata,"",@progbits
; Kernel info:
; codeLenInByte = 2272
; TotalNumSgprs: 57
; NumVgprs: 22
; ScratchSize: 0
; MemoryBound: 0
; FloatMode: 240
; IeeeMode: 1
; LDSByteSize: 0 bytes/workgroup (compile time only)
; SGPRBlocks: 0
; VGPRBlocks: 1
; NumSGPRsForWavesPerEU: 57
; NumVGPRsForWavesPerEU: 22
; NamedBarCnt: 0
; Occupancy: 16
; WaveLimiterHint : 1
; COMPUTE_PGM_RSRC2:SCRATCH_EN: 0
; COMPUTE_PGM_RSRC2:USER_SGPR: 2
; COMPUTE_PGM_RSRC2:TRAP_HANDLER: 0
; COMPUTE_PGM_RSRC2:TGID_X_EN: 1
; COMPUTE_PGM_RSRC2:TGID_Y_EN: 0
; COMPUTE_PGM_RSRC2:TGID_Z_EN: 0
; COMPUTE_PGM_RSRC2:TIDIG_COMP_CNT: 0
	.section	.text._ZN2at4cuda17kernelHistogram1DIaalLi1ELi2ELin1ELNS0_23CUDAHistogramMemoryTypeE0EZNS0_21CUDA_tensor_histogramIaaLb0EEEbNS_6TensorES4_S4_lNS_14AccumulateTypeIT0_Lb1EE4typeES8_NS0_13TensorArgTypeES9_S9_EUllE0_EEvNS0_6detail10TensorInfoIT_T1_EESF_NSC_IKS6_SE_EElS8_S8_SE_T6_,"axG",@progbits,_ZN2at4cuda17kernelHistogram1DIaalLi1ELi2ELin1ELNS0_23CUDAHistogramMemoryTypeE0EZNS0_21CUDA_tensor_histogramIaaLb0EEEbNS_6TensorES4_S4_lNS_14AccumulateTypeIT0_Lb1EE4typeES8_NS0_13TensorArgTypeES9_S9_EUllE0_EEvNS0_6detail10TensorInfoIT_T1_EESF_NSC_IKS6_SE_EElS8_S8_SE_T6_,comdat
	.protected	_ZN2at4cuda17kernelHistogram1DIaalLi1ELi2ELin1ELNS0_23CUDAHistogramMemoryTypeE0EZNS0_21CUDA_tensor_histogramIaaLb0EEEbNS_6TensorES4_S4_lNS_14AccumulateTypeIT0_Lb1EE4typeES8_NS0_13TensorArgTypeES9_S9_EUllE0_EEvNS0_6detail10TensorInfoIT_T1_EESF_NSC_IKS6_SE_EElS8_S8_SE_T6_ ; -- Begin function _ZN2at4cuda17kernelHistogram1DIaalLi1ELi2ELin1ELNS0_23CUDAHistogramMemoryTypeE0EZNS0_21CUDA_tensor_histogramIaaLb0EEEbNS_6TensorES4_S4_lNS_14AccumulateTypeIT0_Lb1EE4typeES8_NS0_13TensorArgTypeES9_S9_EUllE0_EEvNS0_6detail10TensorInfoIT_T1_EESF_NSC_IKS6_SE_EElS8_S8_SE_T6_
	.globl	_ZN2at4cuda17kernelHistogram1DIaalLi1ELi2ELin1ELNS0_23CUDAHistogramMemoryTypeE0EZNS0_21CUDA_tensor_histogramIaaLb0EEEbNS_6TensorES4_S4_lNS_14AccumulateTypeIT0_Lb1EE4typeES8_NS0_13TensorArgTypeES9_S9_EUllE0_EEvNS0_6detail10TensorInfoIT_T1_EESF_NSC_IKS6_SE_EElS8_S8_SE_T6_
	.p2align	8
	.type	_ZN2at4cuda17kernelHistogram1DIaalLi1ELi2ELin1ELNS0_23CUDAHistogramMemoryTypeE0EZNS0_21CUDA_tensor_histogramIaaLb0EEEbNS_6TensorES4_S4_lNS_14AccumulateTypeIT0_Lb1EE4typeES8_NS0_13TensorArgTypeES9_S9_EUllE0_EEvNS0_6detail10TensorInfoIT_T1_EESF_NSC_IKS6_SE_EElS8_S8_SE_T6_,@function
_ZN2at4cuda17kernelHistogram1DIaalLi1ELi2ELin1ELNS0_23CUDAHistogramMemoryTypeE0EZNS0_21CUDA_tensor_histogramIaaLb0EEEbNS_6TensorES4_S4_lNS_14AccumulateTypeIT0_Lb1EE4typeES8_NS0_13TensorArgTypeES9_S9_EUllE0_EEvNS0_6detail10TensorInfoIT_T1_EESF_NSC_IKS6_SE_EElS8_S8_SE_T6_: ; @_ZN2at4cuda17kernelHistogram1DIaalLi1ELi2ELin1ELNS0_23CUDAHistogramMemoryTypeE0EZNS0_21CUDA_tensor_histogramIaaLb0EEEbNS_6TensorES4_S4_lNS_14AccumulateTypeIT0_Lb1EE4typeES8_NS0_13TensorArgTypeES9_S9_EUllE0_EEvNS0_6detail10TensorInfoIT_T1_EESF_NSC_IKS6_SE_EElS8_S8_SE_T6_
; %bb.0:
	s_load_b128 s[12:15], s[0:1], 0x0
	v_mov_b32_e32 v1, 0
	s_add_nc_u64 s[24:25], s[0:1], 0x508
	s_mov_b32 s3, exec_lo
                                        ; implicit-def: $sgpr4
	s_wait_kmcnt 0x0
	s_delay_alu instid0(VALU_DEP_1)
	v_cmp_gt_i64_e64 s2, s[14:15], v[0:1]
	v_cmpx_le_i64_e64 s[14:15], v[0:1]
	s_xor_b32 s3, exec_lo, s3
; %bb.1:
	s_load_b32 s4, s[24:25], 0xc
; %bb.2:
	s_or_saveexec_b32 s3, s3
	s_wait_kmcnt 0x0
	v_mov_b32_e32 v4, s4
	s_xor_b32 exec_lo, exec_lo, s3
	s_cbranch_execz .LBB66_12
; %bb.3:
	v_dual_mov_b32 v3, 0 :: v_dual_add_nc_u32 v2, 1, v0
	s_load_b32 s6, s[24:25], 0xc
	s_mov_b32 s8, -1
	s_delay_alu instid0(VALU_DEP_1) | instskip(SKIP_2) | instid1(SALU_CYCLE_1)
	v_max_i64 v[2:3], s[14:15], v[2:3]
	s_wait_kmcnt 0x0
	s_and_b32 s4, s6, 0xffff
	s_cmp_eq_u32 s4, 1
	s_cselect_b32 s5, -1, 0
	s_delay_alu instid0(VALU_DEP_1) | instskip(SKIP_1) | instid1(VALU_DEP_2)
	v_sub_nc_u64_e32 v[4:5], v[2:3], v[0:1]
	v_mov_b64_e32 v[2:3], v[0:1]
	v_cmp_lt_u64_e32 vcc_lo, 7, v[4:5]
	s_and_b32 s7, vcc_lo, s5
	s_delay_alu instid0(SALU_CYCLE_1)
	s_and_saveexec_b32 s5, s7
	s_cbranch_execz .LBB66_7
; %bb.4:
	v_dual_mov_b32 v3, v5 :: v_dual_bitop2_b32 v2, -8, v4 bitop3:0x40
	v_mov_b64_e32 v[6:7], 0
	v_add_nc_u32_e32 v10, 0, v0
	s_mov_b32 s7, 0
	s_delay_alu instid0(VALU_DEP_3)
	v_mov_b64_e32 v[8:9], v[2:3]
.LBB66_5:                               ; =>This Inner Loop Header: Depth=1
	s_delay_alu instid0(VALU_DEP_1) | instskip(SKIP_4) | instid1(SALU_CYCLE_1)
	v_add_nc_u64_e32 v[8:9], -8, v[8:9]
	ds_store_b64 v10, v[6:7]
	v_add_nc_u32_e32 v10, 8, v10
	v_cmp_eq_u64_e32 vcc_lo, 0, v[8:9]
	s_or_b32 s7, vcc_lo, s7
	s_and_not1_b32 exec_lo, exec_lo, s7
	s_cbranch_execnz .LBB66_5
; %bb.6:
	s_or_b32 exec_lo, exec_lo, s7
	v_cmp_ne_u64_e32 vcc_lo, v[4:5], v[2:3]
	v_add_nc_u64_e32 v[2:3], v[2:3], v[0:1]
	s_or_not1_b32 s8, vcc_lo, exec_lo
.LBB66_7:
	s_or_b32 exec_lo, exec_lo, s5
	v_mov_b32_e32 v4, 1
	s_and_saveexec_b32 s7, s8
	s_cbranch_execz .LBB66_11
; %bb.8:
	s_delay_alu instid0(VALU_DEP_2) | instskip(SKIP_1) | instid1(SALU_CYCLE_1)
	v_dual_mov_b32 v5, 0 :: v_dual_add_nc_u32 v4, 0, v2
	s_mov_b32 s5, 0
	s_mov_b32 s8, s5
.LBB66_9:                               ; =>This Inner Loop Header: Depth=1
	v_add_nc_u64_e32 v[2:3], s[4:5], v[2:3]
	ds_store_b8 v4, v5
	v_add_nc_u32_e32 v4, s4, v4
	v_cmp_le_i64_e32 vcc_lo, s[14:15], v[2:3]
	s_or_b32 s8, vcc_lo, s8
	s_delay_alu instid0(SALU_CYCLE_1)
	s_and_not1_b32 exec_lo, exec_lo, s8
	s_cbranch_execnz .LBB66_9
; %bb.10:
	s_or_b32 exec_lo, exec_lo, s8
	v_mov_b32_e32 v4, s6
.LBB66_11:
	s_or_b32 exec_lo, exec_lo, s7
.LBB66_12:
	s_delay_alu instid0(SALU_CYCLE_1)
	s_or_b32 exec_lo, exec_lo, s3
	s_bfe_u32 s3, ttmp6, 0x4000c
	s_and_b32 s16, ttmp6, 15
	s_add_co_i32 s3, s3, 1
	s_getreg_b32 s17, hwreg(HW_REG_IB_STS2, 6, 4)
	s_mul_i32 s3, ttmp9, s3
	s_load_b256 s[4:11], s[0:1], 0x4e0
	s_add_co_i32 s3, s16, s3
	s_cmp_eq_u32 s17, 0
	s_load_b64 s[16:17], s[0:1], 0xd0
	v_and_b32_e32 v2, 0xffff, v4
	s_cselect_b32 s3, ttmp9, s3
	v_mov_b32_e32 v6, 0
	s_mov_b32 s19, 0
	s_wait_dscnt 0x0
	v_mad_u32 v4, s3, v2, v0
	s_mov_b32 s3, exec_lo
	v_mov_b32_e32 v5, v6
	s_barrier_signal -1
	s_barrier_wait -1
	s_wait_kmcnt 0x0
	s_delay_alu instid0(VALU_DEP_1)
	v_cmpx_gt_i64_e64 s[10:11], v[4:5]
	s_cbranch_execz .LBB66_29
; %bb.13:
	s_load_b32 s33, s[0:1], 0x4d8
	s_load_b32 s18, s[24:25], 0x0
	s_clause 0x1
	s_load_b64 s[20:21], s[0:1], 0x410
	s_load_b64 s[22:23], s[0:1], 0x340
	s_add_nc_u64 s[28:29], s[0:1], 0x340
	v_mov_b32_e32 v9, v6
	s_wait_xcnt 0x0
	s_sub_nc_u64 s[24:25], s[8:9], s[6:7]
	s_mov_b64 s[26:27], 0xffffffff
	s_mov_b32 s42, 0
	s_wait_kmcnt 0x0
	s_cmp_gt_i32 s33, 1
	v_mul_lo_u32 v8, s18, v2
	s_cselect_b32 s1, -1, 0
	s_add_co_i32 s18, s33, -1
	s_add_co_i32 s33, s33, 1
	s_lshl_b64 s[30:31], s[18:19], 3
	s_delay_alu instid0(SALU_CYCLE_1)
	s_add_nc_u64 s[28:29], s[28:29], s[30:31]
	s_ashr_i32 s30, s25, 31
	s_add_nc_u64 s[28:29], s[28:29], 8
	s_branch .LBB66_15
.LBB66_14:                              ;   in Loop: Header=BB66_15 Depth=1
	s_or_b32 exec_lo, exec_lo, s36
	v_add_nc_u64_e32 v[4:5], v[4:5], v[8:9]
	s_delay_alu instid0(VALU_DEP_1) | instskip(SKIP_1) | instid1(SALU_CYCLE_1)
	v_cmp_le_i64_e32 vcc_lo, s[10:11], v[4:5]
	s_or_b32 s42, vcc_lo, s42
	s_and_not1_b32 exec_lo, exec_lo, s42
	s_cbranch_execz .LBB66_29
.LBB66_15:                              ; =>This Loop Header: Depth=1
                                        ;     Child Loop BB66_16 Depth 2
                                        ;     Child Loop BB66_28 Depth 2
	v_mov_b64_e32 v[10:11], 0
	v_mov_b64_e32 v[12:13], v[4:5]
	;; [unrolled: 1-line block ×3, first 2 shown]
	s_and_not1_b32 vcc_lo, exec_lo, s1
	s_mov_b64 s[34:35], s[28:29]
	s_mov_b32 s31, s33
	s_cbranch_vccnz .LBB66_22
.LBB66_16:                              ;   Parent Loop BB66_15 Depth=1
                                        ; =>  This Inner Loop Header: Depth=2
	s_load_b64 s[36:37], s[34:35], 0x0
                                        ; implicit-def: $vgpr14_vgpr15
	s_mov_b32 s0, exec_lo
	s_wait_kmcnt 0x0
	s_delay_alu instid0(VALU_DEP_1) | instskip(NEXT) | instid1(VALU_DEP_1)
	v_or_b32_e32 v7, s37, v13
	v_cmpx_ne_u64_e32 0, v[6:7]
	s_xor_b32 s43, exec_lo, s0
	s_cbranch_execz .LBB66_18
; %bb.17:                               ;   in Loop: Header=BB66_16 Depth=2
	s_ashr_i32 s38, s37, 31
	v_dual_mov_b32 v19, v6 :: v_dual_ashrrev_i32 v14, 31, v13
	s_mov_b32 s39, s38
	v_mov_b32_e32 v27, v6
	s_add_nc_u64 s[40:41], s[36:37], s[38:39]
	s_delay_alu instid0(VALU_DEP_2) | instskip(SKIP_1) | instid1(SALU_CYCLE_1)
	v_mov_b32_e32 v15, v14
	s_xor_b64 s[40:41], s[40:41], s[38:39]
	s_cvt_f32_u32 s0, s40
	s_cvt_f32_u32 s18, s41
	s_sub_nc_u64 s[46:47], 0, s[40:41]
	v_add_nc_u64_e32 v[16:17], v[12:13], v[14:15]
	v_mov_b32_e32 v23, v6
	s_fmamk_f32 s0, s18, 0x4f800000, s0
	s_delay_alu instid0(SALU_CYCLE_3) | instskip(NEXT) | instid1(VALU_DEP_2)
	v_s_rcp_f32 s0, s0
	v_xor_b32_e32 v18, v16, v14
	s_delay_alu instid0(VALU_DEP_3) | instskip(SKIP_1) | instid1(TRANS32_DEP_1)
	v_xor_b32_e32 v22, v17, v14
	v_xor_b32_e32 v14, s38, v14
	s_mul_f32 s0, s0, 0x5f7ffffc
	s_delay_alu instid0(SALU_CYCLE_3) | instskip(NEXT) | instid1(SALU_CYCLE_3)
	s_mul_f32 s18, s0, 0x2f800000
	s_trunc_f32 s18, s18
	s_delay_alu instid0(SALU_CYCLE_3) | instskip(SKIP_1) | instid1(SALU_CYCLE_2)
	s_fmamk_f32 s0, s18, 0xcf800000, s0
	s_cvt_u32_f32 s45, s18
	s_cvt_u32_f32 s44, s0
	s_delay_alu instid0(SALU_CYCLE_3) | instskip(NEXT) | instid1(SALU_CYCLE_1)
	s_mul_u64 s[48:49], s[46:47], s[44:45]
	s_mul_hi_u32 s51, s44, s49
	s_mul_i32 s50, s44, s49
	s_mul_hi_u32 s18, s44, s48
	s_mul_i32 s39, s45, s48
	s_add_nc_u64 s[50:51], s[18:19], s[50:51]
	s_mul_hi_u32 s0, s45, s48
	s_mul_hi_u32 s52, s45, s49
	s_add_co_u32 s18, s50, s39
	s_add_co_ci_u32 s18, s51, s0
	s_mul_i32 s48, s45, s49
	s_add_co_ci_u32 s49, s52, 0
	s_delay_alu instid0(SALU_CYCLE_1) | instskip(NEXT) | instid1(SALU_CYCLE_1)
	s_add_nc_u64 s[48:49], s[18:19], s[48:49]
	s_add_co_u32 s44, s44, s48
	s_cselect_b32 s0, -1, 0
	s_delay_alu instid0(SALU_CYCLE_1) | instskip(SKIP_1) | instid1(SALU_CYCLE_1)
	s_cmp_lg_u32 s0, 0
	s_add_co_ci_u32 s45, s45, s49
	s_mul_u64 s[46:47], s[46:47], s[44:45]
	s_delay_alu instid0(SALU_CYCLE_1)
	s_mul_hi_u32 s49, s44, s47
	s_mul_i32 s48, s44, s47
	s_mul_hi_u32 s18, s44, s46
	s_mul_i32 s39, s45, s46
	s_add_nc_u64 s[48:49], s[18:19], s[48:49]
	s_mul_hi_u32 s0, s45, s46
	s_mul_hi_u32 s50, s45, s47
	s_add_co_u32 s18, s48, s39
	s_add_co_ci_u32 s18, s49, s0
	s_mul_i32 s46, s45, s47
	s_add_co_ci_u32 s47, s50, 0
	s_delay_alu instid0(SALU_CYCLE_1) | instskip(NEXT) | instid1(SALU_CYCLE_1)
	s_add_nc_u64 s[46:47], s[18:19], s[46:47]
	s_add_co_u32 s0, s44, s46
	s_cselect_b32 s18, -1, 0
	v_mul_hi_u32 v26, v18, s0
	s_cmp_lg_u32 s18, 0
	s_add_co_ci_u32 s18, s45, s47
	s_and_b64 s[44:45], s[0:1], s[26:27]
	v_mul_u64_e32 v[20:21], s[18:19], v[18:19]
	v_mul_u64_e32 v[16:17], s[44:45], v[22:23]
	;; [unrolled: 1-line block ×3, first 2 shown]
	s_delay_alu instid0(VALU_DEP_3) | instskip(NEXT) | instid1(VALU_DEP_1)
	v_add_nc_u64_e32 v[20:21], v[26:27], v[20:21]
	v_add_co_u32 v3, vcc_lo, v20, v16
	s_delay_alu instid0(VALU_DEP_2) | instskip(NEXT) | instid1(VALU_DEP_4)
	v_add_co_ci_u32_e32 v26, vcc_lo, v21, v17, vcc_lo
	v_add_co_ci_u32_e32 v25, vcc_lo, 0, v25, vcc_lo
	s_delay_alu instid0(VALU_DEP_1) | instskip(NEXT) | instid1(VALU_DEP_1)
	v_add_nc_u64_e32 v[16:17], v[26:27], v[24:25]
	v_mul_u64_e32 v[20:21], s[40:41], v[16:17]
	s_delay_alu instid0(VALU_DEP_1) | instskip(NEXT) | instid1(VALU_DEP_2)
	v_sub_nc_u32_e32 v3, v22, v21
	v_sub_co_u32 v7, vcc_lo, v18, v20
	s_delay_alu instid0(VALU_DEP_1) | instskip(NEXT) | instid1(VALU_DEP_3)
	v_sub_co_ci_u32_e64 v22, null, v22, v21, vcc_lo
	v_subrev_co_ci_u32_e64 v3, null, s41, v3, vcc_lo
	s_delay_alu instid0(VALU_DEP_3) | instskip(SKIP_1) | instid1(VALU_DEP_3)
	v_sub_co_u32 v15, s0, v7, s40
	v_add_nc_u64_e32 v[20:21], 1, v[16:17]
	v_subrev_co_ci_u32_e64 v3, null, 0, v3, s0
	s_delay_alu instid0(VALU_DEP_3) | instskip(SKIP_1) | instid1(VALU_DEP_3)
	v_cmp_le_u32_e32 vcc_lo, s40, v15
	v_cndmask_b32_e64 v15, 0, -1, vcc_lo
	v_cmp_le_u32_e32 vcc_lo, s41, v3
	v_cndmask_b32_e64 v18, 0, -1, vcc_lo
	;; [unrolled: 2-line block ×4, first 2 shown]
	v_cmp_eq_u32_e32 vcc_lo, s41, v3
	v_cndmask_b32_e32 v3, v18, v15, vcc_lo
	v_cmp_eq_u32_e32 vcc_lo, s41, v22
	v_add_nc_u64_e32 v[18:19], 2, v[16:17]
	v_dual_mov_b32 v15, v14 :: v_dual_cndmask_b32 v7, v23, v7, vcc_lo
	s_delay_alu instid0(VALU_DEP_4) | instskip(NEXT) | instid1(VALU_DEP_2)
	v_cmp_ne_u32_e32 vcc_lo, 0, v3
	v_cmp_ne_u32_e64 s0, 0, v7
	s_delay_alu instid0(VALU_DEP_4) | instskip(NEXT) | instid1(VALU_DEP_1)
	v_dual_cndmask_b32 v3, v21, v19, vcc_lo :: v_dual_cndmask_b32 v7, v20, v18, vcc_lo
	v_cndmask_b32_e64 v7, v16, v7, s0
	s_delay_alu instid0(VALU_DEP_1) | instskip(NEXT) | instid1(VALU_DEP_1)
	v_dual_cndmask_b32 v3, v17, v3, s0 :: v_dual_bitop2_b32 v16, v7, v14 bitop3:0x14
	v_xor_b32_e32 v17, v3, v14
	s_delay_alu instid0(VALU_DEP_1)
	v_sub_nc_u64_e32 v[14:15], v[16:17], v[14:15]
.LBB66_18:                              ;   in Loop: Header=BB66_16 Depth=2
	s_and_not1_saveexec_b32 s0, s43
	s_cbranch_execz .LBB66_20
; %bb.19:                               ;   in Loop: Header=BB66_16 Depth=2
	v_cvt_f32_u32_e32 v3, s36
	s_sub_co_i32 s18, 0, s36
	s_delay_alu instid0(VALU_DEP_1) | instskip(SKIP_1) | instid1(TRANS32_DEP_1)
	v_rcp_iflag_f32_e32 v3, v3
	v_nop
	v_mul_f32_e32 v3, 0x4f7ffffe, v3
	s_delay_alu instid0(VALU_DEP_1) | instskip(NEXT) | instid1(VALU_DEP_1)
	v_cvt_u32_f32_e32 v3, v3
	v_mul_lo_u32 v7, s18, v3
	s_delay_alu instid0(VALU_DEP_1) | instskip(NEXT) | instid1(VALU_DEP_1)
	v_mul_hi_u32 v7, v3, v7
	v_add_nc_u32_e32 v3, v3, v7
	s_delay_alu instid0(VALU_DEP_1) | instskip(NEXT) | instid1(VALU_DEP_1)
	v_mul_hi_u32 v3, v12, v3
	v_mul_lo_u32 v7, v3, s36
	v_add_nc_u32_e32 v14, 1, v3
	s_delay_alu instid0(VALU_DEP_2) | instskip(NEXT) | instid1(VALU_DEP_1)
	v_sub_nc_u32_e32 v7, v12, v7
	v_subrev_nc_u32_e32 v15, s36, v7
	v_cmp_le_u32_e32 vcc_lo, s36, v7
	s_delay_alu instid0(VALU_DEP_2) | instskip(SKIP_1) | instid1(VALU_DEP_2)
	v_dual_cndmask_b32 v7, v7, v15, vcc_lo :: v_dual_mov_b32 v15, v6
	v_cndmask_b32_e32 v3, v3, v14, vcc_lo
	v_cmp_le_u32_e32 vcc_lo, s36, v7
	s_delay_alu instid0(VALU_DEP_2) | instskip(NEXT) | instid1(VALU_DEP_1)
	v_add_nc_u32_e32 v14, 1, v3
	v_cndmask_b32_e32 v14, v3, v14, vcc_lo
.LBB66_20:                              ;   in Loop: Header=BB66_16 Depth=2
	s_or_b32 exec_lo, exec_lo, s0
	s_delay_alu instid0(VALU_DEP_1)
	v_mul_u64_e32 v[16:17], s[36:37], v[14:15]
	s_load_b64 s[36:37], s[34:35], 0xc8
	s_add_co_i32 s31, s31, -1
	s_wait_xcnt 0x0
	s_add_nc_u64 s[34:35], s[34:35], -8
	s_cmp_gt_u32 s31, 2
	s_delay_alu instid0(VALU_DEP_1) | instskip(SKIP_1) | instid1(VALU_DEP_1)
	v_sub_nc_u64_e32 v[12:13], v[12:13], v[16:17]
	s_wait_kmcnt 0x0
	v_mad_nc_u64_u32 v[10:11], s36, v12, v[10:11]
	s_delay_alu instid0(VALU_DEP_1) | instskip(NEXT) | instid1(VALU_DEP_1)
	v_mad_u32 v3, s37, v12, v11
	v_mad_u32 v11, s36, v13, v3
	s_cbranch_scc0 .LBB66_22
; %bb.21:                               ;   in Loop: Header=BB66_16 Depth=2
	v_mov_b64_e32 v[12:13], v[14:15]
	s_branch .LBB66_16
.LBB66_22:                              ;   in Loop: Header=BB66_15 Depth=1
	s_delay_alu instid0(VALU_DEP_1) | instskip(NEXT) | instid1(VALU_DEP_1)
	v_mad_nc_u64_u32 v[12:13], s20, v14, s[22:23]
	v_mad_u32 v3, s21, v14, v13
	s_delay_alu instid0(VALU_DEP_1) | instskip(NEXT) | instid1(VALU_DEP_1)
	v_mad_u32 v13, s20, v15, v3
	v_add_nc_u64_e32 v[10:11], v[12:13], v[10:11]
	global_load_i8 v3, v[10:11], off
	s_wait_loadcnt 0x0
	v_bfe_i32 v10, v3, 0, 16
	s_delay_alu instid0(VALU_DEP_1) | instskip(NEXT) | instid1(VALU_DEP_1)
	v_ashrrev_i32_e32 v11, 31, v10
	v_cmp_le_i64_e32 vcc_lo, s[6:7], v[10:11]
	v_cmp_ge_i64_e64 s0, s[8:9], v[10:11]
	s_and_b32 s0, vcc_lo, s0
	s_delay_alu instid0(SALU_CYCLE_1)
	s_and_saveexec_b32 s36, s0
	s_cbranch_execz .LBB66_14
; %bb.23:                               ;   in Loop: Header=BB66_15 Depth=1
	v_sub_nc_u64_e64 v[10:11], v[10:11], s[6:7]
                                        ; implicit-def: $vgpr12_vgpr13
	s_mov_b32 s0, exec_lo
	s_delay_alu instid0(VALU_DEP_1) | instskip(NEXT) | instid1(VALU_DEP_1)
	v_mul_u64_e32 v[10:11], s[4:5], v[10:11]
	v_or_b32_e32 v7, s25, v11
	s_delay_alu instid0(VALU_DEP_1)
	v_cmpx_ne_u64_e32 0, v[6:7]
	s_xor_b32 s37, exec_lo, s0
	s_cbranch_execz .LBB66_25
; %bb.24:                               ;   in Loop: Header=BB66_15 Depth=1
	s_mov_b32 s31, s30
	v_dual_mov_b32 v15, v6 :: v_dual_ashrrev_i32 v12, 31, v11
	s_add_nc_u64 s[34:35], s[24:25], s[30:31]
	v_mov_b32_e32 v23, v6
	s_xor_b64 s[34:35], s[34:35], s[30:31]
	s_delay_alu instid0(VALU_DEP_2) | instskip(SKIP_3) | instid1(VALU_DEP_1)
	v_mov_b32_e32 v13, v12
	s_cvt_f32_u32 s0, s34
	s_cvt_f32_u32 s18, s35
	s_sub_nc_u64 s[40:41], 0, s[34:35]
	v_add_nc_u64_e32 v[10:11], v[10:11], v[12:13]
	s_delay_alu instid0(SALU_CYCLE_1) | instskip(SKIP_1) | instid1(SALU_CYCLE_2)
	s_fmamk_f32 s0, s18, 0x4f800000, s0
	v_mov_b32_e32 v19, v6
	v_s_rcp_f32 s0, s0
	s_delay_alu instid0(VALU_DEP_2) | instskip(NEXT) | instid1(VALU_DEP_3)
	v_xor_b32_e32 v14, v10, v12
	v_xor_b32_e32 v18, v11, v12
	;; [unrolled: 1-line block ×3, first 2 shown]
	s_delay_alu instid0(TRANS32_DEP_1) | instskip(NEXT) | instid1(SALU_CYCLE_3)
	s_mul_f32 s0, s0, 0x5f7ffffc
	s_mul_f32 s18, s0, 0x2f800000
	s_delay_alu instid0(SALU_CYCLE_3) | instskip(NEXT) | instid1(SALU_CYCLE_3)
	s_trunc_f32 s18, s18
	s_fmamk_f32 s0, s18, 0xcf800000, s0
	s_cvt_u32_f32 s39, s18
	s_delay_alu instid0(SALU_CYCLE_2) | instskip(NEXT) | instid1(SALU_CYCLE_3)
	s_cvt_u32_f32 s38, s0
	s_mul_u64 s[44:45], s[40:41], s[38:39]
	s_delay_alu instid0(SALU_CYCLE_1)
	s_mul_hi_u32 s47, s38, s45
	s_mul_i32 s46, s38, s45
	s_mul_hi_u32 s18, s38, s44
	s_mul_i32 s31, s39, s44
	s_add_nc_u64 s[46:47], s[18:19], s[46:47]
	s_mul_hi_u32 s0, s39, s44
	s_mul_hi_u32 s43, s39, s45
	s_add_co_u32 s18, s46, s31
	s_add_co_ci_u32 s18, s47, s0
	s_mul_i32 s44, s39, s45
	s_add_co_ci_u32 s45, s43, 0
	s_delay_alu instid0(SALU_CYCLE_1) | instskip(NEXT) | instid1(SALU_CYCLE_1)
	s_add_nc_u64 s[44:45], s[18:19], s[44:45]
	s_add_co_u32 s38, s38, s44
	s_cselect_b32 s0, -1, 0
	s_delay_alu instid0(SALU_CYCLE_1) | instskip(SKIP_1) | instid1(SALU_CYCLE_1)
	s_cmp_lg_u32 s0, 0
	s_add_co_ci_u32 s39, s39, s45
	s_mul_u64 s[40:41], s[40:41], s[38:39]
	s_delay_alu instid0(SALU_CYCLE_1)
	s_mul_hi_u32 s45, s38, s41
	s_mul_i32 s44, s38, s41
	s_mul_hi_u32 s18, s38, s40
	s_mul_i32 s31, s39, s40
	s_add_nc_u64 s[44:45], s[18:19], s[44:45]
	s_mul_hi_u32 s0, s39, s40
	s_mul_hi_u32 s43, s39, s41
	s_add_co_u32 s18, s44, s31
	s_add_co_ci_u32 s18, s45, s0
	s_mul_i32 s40, s39, s41
	s_add_co_ci_u32 s41, s43, 0
	s_delay_alu instid0(SALU_CYCLE_1) | instskip(NEXT) | instid1(SALU_CYCLE_1)
	s_add_nc_u64 s[40:41], s[18:19], s[40:41]
	s_add_co_u32 s0, s38, s40
	s_cselect_b32 s18, -1, 0
	v_mul_hi_u32 v22, v14, s0
	s_cmp_lg_u32 s18, 0
	s_add_co_ci_u32 s18, s39, s41
	s_and_b64 s[38:39], s[0:1], s[26:27]
	v_mul_u64_e32 v[16:17], s[18:19], v[14:15]
	v_mul_u64_e32 v[10:11], s[38:39], v[18:19]
	;; [unrolled: 1-line block ×3, first 2 shown]
	s_delay_alu instid0(VALU_DEP_3) | instskip(NEXT) | instid1(VALU_DEP_1)
	v_add_nc_u64_e32 v[16:17], v[22:23], v[16:17]
	v_add_co_u32 v3, vcc_lo, v16, v10
	s_delay_alu instid0(VALU_DEP_2) | instskip(NEXT) | instid1(VALU_DEP_4)
	v_add_co_ci_u32_e32 v22, vcc_lo, v17, v11, vcc_lo
	v_add_co_ci_u32_e32 v21, vcc_lo, 0, v21, vcc_lo
	s_delay_alu instid0(VALU_DEP_1) | instskip(NEXT) | instid1(VALU_DEP_1)
	v_add_nc_u64_e32 v[10:11], v[22:23], v[20:21]
	v_mul_u64_e32 v[16:17], s[34:35], v[10:11]
	s_delay_alu instid0(VALU_DEP_1) | instskip(NEXT) | instid1(VALU_DEP_2)
	v_sub_nc_u32_e32 v3, v18, v17
	v_sub_co_u32 v7, vcc_lo, v14, v16
	s_delay_alu instid0(VALU_DEP_1) | instskip(NEXT) | instid1(VALU_DEP_3)
	v_sub_co_ci_u32_e64 v18, null, v18, v17, vcc_lo
	v_subrev_co_ci_u32_e64 v3, null, s35, v3, vcc_lo
	s_delay_alu instid0(VALU_DEP_3) | instskip(SKIP_1) | instid1(VALU_DEP_3)
	v_sub_co_u32 v13, s0, v7, s34
	v_add_nc_u64_e32 v[16:17], 1, v[10:11]
	v_subrev_co_ci_u32_e64 v3, null, 0, v3, s0
	s_delay_alu instid0(VALU_DEP_3) | instskip(SKIP_1) | instid1(VALU_DEP_3)
	v_cmp_le_u32_e32 vcc_lo, s34, v13
	v_cndmask_b32_e64 v13, 0, -1, vcc_lo
	v_cmp_le_u32_e32 vcc_lo, s35, v3
	v_cndmask_b32_e64 v14, 0, -1, vcc_lo
	;; [unrolled: 2-line block ×4, first 2 shown]
	v_cmp_eq_u32_e32 vcc_lo, s35, v3
	v_cndmask_b32_e32 v3, v14, v13, vcc_lo
	v_cmp_eq_u32_e32 vcc_lo, s35, v18
	v_add_nc_u64_e32 v[14:15], 2, v[10:11]
	v_dual_mov_b32 v13, v12 :: v_dual_cndmask_b32 v7, v19, v7, vcc_lo
	s_delay_alu instid0(VALU_DEP_4) | instskip(NEXT) | instid1(VALU_DEP_2)
	v_cmp_ne_u32_e32 vcc_lo, 0, v3
	v_cmp_ne_u32_e64 s0, 0, v7
	s_delay_alu instid0(VALU_DEP_4) | instskip(NEXT) | instid1(VALU_DEP_1)
	v_dual_cndmask_b32 v3, v17, v15, vcc_lo :: v_dual_cndmask_b32 v7, v16, v14, vcc_lo
	v_cndmask_b32_e64 v3, v11, v3, s0
	s_delay_alu instid0(VALU_DEP_1) | instskip(NEXT) | instid1(VALU_DEP_1)
	v_dual_cndmask_b32 v7, v10, v7, s0 :: v_dual_bitop2_b32 v11, v3, v12 bitop3:0x14
	v_xor_b32_e32 v10, v7, v12
	s_delay_alu instid0(VALU_DEP_1)
	v_sub_nc_u64_e32 v[12:13], v[10:11], v[12:13]
                                        ; implicit-def: $vgpr10_vgpr11
.LBB66_25:                              ;   in Loop: Header=BB66_15 Depth=1
	s_and_not1_saveexec_b32 s0, s37
	s_cbranch_execz .LBB66_27
; %bb.26:                               ;   in Loop: Header=BB66_15 Depth=1
	v_cvt_f32_u32_e32 v3, s24
	s_sub_co_i32 s18, 0, s24
	s_delay_alu instid0(VALU_DEP_1) | instskip(SKIP_1) | instid1(TRANS32_DEP_1)
	v_rcp_iflag_f32_e32 v3, v3
	v_nop
	v_mul_f32_e32 v3, 0x4f7ffffe, v3
	s_delay_alu instid0(VALU_DEP_1) | instskip(NEXT) | instid1(VALU_DEP_1)
	v_cvt_u32_f32_e32 v3, v3
	v_mul_lo_u32 v7, s18, v3
	s_delay_alu instid0(VALU_DEP_1) | instskip(NEXT) | instid1(VALU_DEP_1)
	v_mul_hi_u32 v7, v3, v7
	v_add_nc_u32_e32 v3, v3, v7
	s_delay_alu instid0(VALU_DEP_1) | instskip(NEXT) | instid1(VALU_DEP_1)
	v_mul_hi_u32 v3, v10, v3
	v_mul_lo_u32 v7, v3, s24
	s_delay_alu instid0(VALU_DEP_1) | instskip(SKIP_1) | instid1(VALU_DEP_2)
	v_sub_nc_u32_e32 v7, v10, v7
	v_add_nc_u32_e32 v10, 1, v3
	v_subrev_nc_u32_e32 v11, s24, v7
	v_cmp_le_u32_e32 vcc_lo, s24, v7
	s_delay_alu instid0(VALU_DEP_2) | instskip(NEXT) | instid1(VALU_DEP_4)
	v_cndmask_b32_e32 v7, v7, v11, vcc_lo
	v_cndmask_b32_e32 v3, v3, v10, vcc_lo
	s_delay_alu instid0(VALU_DEP_2) | instskip(NEXT) | instid1(VALU_DEP_2)
	v_cmp_le_u32_e32 vcc_lo, s24, v7
	v_add_nc_u32_e32 v10, 1, v3
	s_delay_alu instid0(VALU_DEP_1)
	v_cndmask_b32_e32 v12, v3, v10, vcc_lo
.LBB66_27:                              ;   in Loop: Header=BB66_15 Depth=1
	s_or_b32 exec_lo, exec_lo, s0
	s_delay_alu instid0(VALU_DEP_1) | instskip(SKIP_1) | instid1(VALU_DEP_1)
	v_ashrrev_i32_e32 v13, 31, v12
	s_mov_b32 s0, 0
	v_cmp_eq_u64_e32 vcc_lo, s[4:5], v[12:13]
	v_subrev_co_ci_u32_e64 v3, null, 0, v12, vcc_lo
	s_delay_alu instid0(VALU_DEP_1) | instskip(NEXT) | instid1(VALU_DEP_1)
	v_add_nc_u32_e32 v11, 0, v3
	v_and_b32_e32 v10, 3, v11
	s_delay_alu instid0(VALU_DEP_1) | instskip(SKIP_2) | instid1(VALU_DEP_1)
	v_dual_sub_nc_u32 v13, 0, v10 :: v_dual_bitop2_b32 v3, -4, v11 bitop3:0x40
	ds_load_b32 v7, v3
	v_dual_add_nc_u32 v11, v11, v13 :: v_dual_lshlrev_b32 v3, 3, v10
	v_lshlrev_b32_e64 v12, v3, 0xff
	s_delay_alu instid0(VALU_DEP_1)
	v_not_b32_e32 v10, v12
.LBB66_28:                              ;   Parent Loop BB66_15 Depth=1
                                        ; =>  This Inner Loop Header: Depth=2
	s_wait_dscnt 0x0
	v_lshrrev_b32_e32 v12, v3, v7
	s_delay_alu instid0(VALU_DEP_1) | instskip(NEXT) | instid1(VALU_DEP_1)
	v_dual_add_nc_u32 v12, 1, v12 :: v_dual_bitop2_b32 v13, v7, v10 bitop3:0x40
	v_and_b32_e32 v12, 0xff, v12
	s_delay_alu instid0(VALU_DEP_1)
	v_lshl_or_b32 v12, v12, v3, v13
	ds_cmpstore_rtn_b32 v12, v11, v12, v7
	s_wait_dscnt 0x0
	v_cmp_eq_u32_e32 vcc_lo, v7, v12
	v_mov_b32_e32 v7, v12
	s_or_b32 s0, vcc_lo, s0
	s_delay_alu instid0(SALU_CYCLE_1)
	s_and_not1_b32 exec_lo, exec_lo, s0
	s_cbranch_execnz .LBB66_28
	s_branch .LBB66_14
.LBB66_29:
	s_or_b32 exec_lo, exec_lo, s3
; %bb.30:
	s_barrier_signal -1
	s_barrier_wait -1
	s_and_saveexec_b32 s0, s2
	s_cbranch_execz .LBB66_35
; %bb.31:
	v_mov_b32_e32 v5, 0
	s_mov_b32 s0, 0
	s_delay_alu instid0(VALU_DEP_1)
	v_mov_b32_e32 v3, v5
.LBB66_32:                              ; =>This Loop Header: Depth=1
                                        ;     Child Loop BB66_33 Depth 2
	v_mad_nc_u64_u32 v[6:7], v0, s16, s[12:13]
	s_mov_b32 s1, 0
	s_delay_alu instid0(VALU_DEP_1) | instskip(NEXT) | instid1(VALU_DEP_2)
	v_mad_u32 v7, v1, s16, v7
	v_and_b32_e32 v4, 3, v6
	s_delay_alu instid0(VALU_DEP_1) | instskip(NEXT) | instid1(VALU_DEP_3)
	v_sub_nc_u64_e32 v[8:9], 0, v[4:5]
	v_mad_u32 v7, v0, s17, v7
	s_delay_alu instid0(VALU_DEP_1)
	v_add_nc_u64_e32 v[6:7], v[6:7], v[8:9]
	v_add_nc_u32_e32 v8, 0, v0
	v_lshlrev_b32_e32 v4, 3, v4
	ds_load_u8 v10, v8
	global_load_b32 v9, v[6:7], off
	v_lshlrev_b32_e64 v8, v4, 0xff
	s_delay_alu instid0(VALU_DEP_1)
	v_not_b32_e32 v11, v8
.LBB66_33:                              ;   Parent Loop BB66_32 Depth=1
                                        ; =>  This Inner Loop Header: Depth=2
	s_wait_loadcnt 0x0
	s_delay_alu instid0(VALU_DEP_1) | instskip(SKIP_1) | instid1(VALU_DEP_1)
	v_dual_lshrrev_b32 v8, v4, v9 :: v_dual_bitop2_b32 v12, v9, v11 bitop3:0x40
	s_wait_dscnt 0x0
	v_add_nc_u16 v8, v10, v8
	s_delay_alu instid0(VALU_DEP_1) | instskip(NEXT) | instid1(VALU_DEP_1)
	v_and_b32_e32 v8, 0xff, v8
	v_lshl_or_b32 v8, v8, v4, v12
	global_atomic_cmpswap_b32 v8, v[6:7], v[8:9], off th:TH_ATOMIC_RETURN scope:SCOPE_DEV
	s_wait_loadcnt 0x0
	v_cmp_eq_u32_e32 vcc_lo, v9, v8
	v_mov_b32_e32 v9, v8
	s_or_b32 s1, vcc_lo, s1
	s_delay_alu instid0(SALU_CYCLE_1)
	s_and_not1_b32 exec_lo, exec_lo, s1
	s_cbranch_execnz .LBB66_33
; %bb.34:                               ;   in Loop: Header=BB66_32 Depth=1
	s_or_b32 exec_lo, exec_lo, s1
	v_add_nc_u64_e32 v[0:1], v[0:1], v[2:3]
	s_delay_alu instid0(VALU_DEP_1) | instskip(SKIP_1) | instid1(SALU_CYCLE_1)
	v_cmp_le_i64_e32 vcc_lo, s[14:15], v[0:1]
	s_or_b32 s0, vcc_lo, s0
	s_and_not1_b32 exec_lo, exec_lo, s0
	s_cbranch_execnz .LBB66_32
.LBB66_35:
	s_endpgm
	.section	.rodata,"a",@progbits
	.p2align	6, 0x0
	.amdhsa_kernel _ZN2at4cuda17kernelHistogram1DIaalLi1ELi2ELin1ELNS0_23CUDAHistogramMemoryTypeE0EZNS0_21CUDA_tensor_histogramIaaLb0EEEbNS_6TensorES4_S4_lNS_14AccumulateTypeIT0_Lb1EE4typeES8_NS0_13TensorArgTypeES9_S9_EUllE0_EEvNS0_6detail10TensorInfoIT_T1_EESF_NSC_IKS6_SE_EElS8_S8_SE_T6_
		.amdhsa_group_segment_fixed_size 0
		.amdhsa_private_segment_fixed_size 0
		.amdhsa_kernarg_size 1544
		.amdhsa_user_sgpr_count 2
		.amdhsa_user_sgpr_dispatch_ptr 0
		.amdhsa_user_sgpr_queue_ptr 0
		.amdhsa_user_sgpr_kernarg_segment_ptr 1
		.amdhsa_user_sgpr_dispatch_id 0
		.amdhsa_user_sgpr_kernarg_preload_length 0
		.amdhsa_user_sgpr_kernarg_preload_offset 0
		.amdhsa_user_sgpr_private_segment_size 0
		.amdhsa_wavefront_size32 1
		.amdhsa_uses_dynamic_stack 0
		.amdhsa_enable_private_segment 0
		.amdhsa_system_sgpr_workgroup_id_x 1
		.amdhsa_system_sgpr_workgroup_id_y 0
		.amdhsa_system_sgpr_workgroup_id_z 0
		.amdhsa_system_sgpr_workgroup_info 0
		.amdhsa_system_vgpr_workitem_id 0
		.amdhsa_next_free_vgpr 28
		.amdhsa_next_free_sgpr 53
		.amdhsa_named_barrier_count 0
		.amdhsa_reserve_vcc 1
		.amdhsa_float_round_mode_32 0
		.amdhsa_float_round_mode_16_64 0
		.amdhsa_float_denorm_mode_32 3
		.amdhsa_float_denorm_mode_16_64 3
		.amdhsa_fp16_overflow 0
		.amdhsa_memory_ordered 1
		.amdhsa_forward_progress 1
		.amdhsa_inst_pref_size 22
		.amdhsa_round_robin_scheduling 0
		.amdhsa_exception_fp_ieee_invalid_op 0
		.amdhsa_exception_fp_denorm_src 0
		.amdhsa_exception_fp_ieee_div_zero 0
		.amdhsa_exception_fp_ieee_overflow 0
		.amdhsa_exception_fp_ieee_underflow 0
		.amdhsa_exception_fp_ieee_inexact 0
		.amdhsa_exception_int_div_zero 0
	.end_amdhsa_kernel
	.section	.text._ZN2at4cuda17kernelHistogram1DIaalLi1ELi2ELin1ELNS0_23CUDAHistogramMemoryTypeE0EZNS0_21CUDA_tensor_histogramIaaLb0EEEbNS_6TensorES4_S4_lNS_14AccumulateTypeIT0_Lb1EE4typeES8_NS0_13TensorArgTypeES9_S9_EUllE0_EEvNS0_6detail10TensorInfoIT_T1_EESF_NSC_IKS6_SE_EElS8_S8_SE_T6_,"axG",@progbits,_ZN2at4cuda17kernelHistogram1DIaalLi1ELi2ELin1ELNS0_23CUDAHistogramMemoryTypeE0EZNS0_21CUDA_tensor_histogramIaaLb0EEEbNS_6TensorES4_S4_lNS_14AccumulateTypeIT0_Lb1EE4typeES8_NS0_13TensorArgTypeES9_S9_EUllE0_EEvNS0_6detail10TensorInfoIT_T1_EESF_NSC_IKS6_SE_EElS8_S8_SE_T6_,comdat
.Lfunc_end66:
	.size	_ZN2at4cuda17kernelHistogram1DIaalLi1ELi2ELin1ELNS0_23CUDAHistogramMemoryTypeE0EZNS0_21CUDA_tensor_histogramIaaLb0EEEbNS_6TensorES4_S4_lNS_14AccumulateTypeIT0_Lb1EE4typeES8_NS0_13TensorArgTypeES9_S9_EUllE0_EEvNS0_6detail10TensorInfoIT_T1_EESF_NSC_IKS6_SE_EElS8_S8_SE_T6_, .Lfunc_end66-_ZN2at4cuda17kernelHistogram1DIaalLi1ELi2ELin1ELNS0_23CUDAHistogramMemoryTypeE0EZNS0_21CUDA_tensor_histogramIaaLb0EEEbNS_6TensorES4_S4_lNS_14AccumulateTypeIT0_Lb1EE4typeES8_NS0_13TensorArgTypeES9_S9_EUllE0_EEvNS0_6detail10TensorInfoIT_T1_EESF_NSC_IKS6_SE_EElS8_S8_SE_T6_
                                        ; -- End function
	.set _ZN2at4cuda17kernelHistogram1DIaalLi1ELi2ELin1ELNS0_23CUDAHistogramMemoryTypeE0EZNS0_21CUDA_tensor_histogramIaaLb0EEEbNS_6TensorES4_S4_lNS_14AccumulateTypeIT0_Lb1EE4typeES8_NS0_13TensorArgTypeES9_S9_EUllE0_EEvNS0_6detail10TensorInfoIT_T1_EESF_NSC_IKS6_SE_EElS8_S8_SE_T6_.num_vgpr, 28
	.set _ZN2at4cuda17kernelHistogram1DIaalLi1ELi2ELin1ELNS0_23CUDAHistogramMemoryTypeE0EZNS0_21CUDA_tensor_histogramIaaLb0EEEbNS_6TensorES4_S4_lNS_14AccumulateTypeIT0_Lb1EE4typeES8_NS0_13TensorArgTypeES9_S9_EUllE0_EEvNS0_6detail10TensorInfoIT_T1_EESF_NSC_IKS6_SE_EElS8_S8_SE_T6_.num_agpr, 0
	.set _ZN2at4cuda17kernelHistogram1DIaalLi1ELi2ELin1ELNS0_23CUDAHistogramMemoryTypeE0EZNS0_21CUDA_tensor_histogramIaaLb0EEEbNS_6TensorES4_S4_lNS_14AccumulateTypeIT0_Lb1EE4typeES8_NS0_13TensorArgTypeES9_S9_EUllE0_EEvNS0_6detail10TensorInfoIT_T1_EESF_NSC_IKS6_SE_EElS8_S8_SE_T6_.numbered_sgpr, 53
	.set _ZN2at4cuda17kernelHistogram1DIaalLi1ELi2ELin1ELNS0_23CUDAHistogramMemoryTypeE0EZNS0_21CUDA_tensor_histogramIaaLb0EEEbNS_6TensorES4_S4_lNS_14AccumulateTypeIT0_Lb1EE4typeES8_NS0_13TensorArgTypeES9_S9_EUllE0_EEvNS0_6detail10TensorInfoIT_T1_EESF_NSC_IKS6_SE_EElS8_S8_SE_T6_.num_named_barrier, 0
	.set _ZN2at4cuda17kernelHistogram1DIaalLi1ELi2ELin1ELNS0_23CUDAHistogramMemoryTypeE0EZNS0_21CUDA_tensor_histogramIaaLb0EEEbNS_6TensorES4_S4_lNS_14AccumulateTypeIT0_Lb1EE4typeES8_NS0_13TensorArgTypeES9_S9_EUllE0_EEvNS0_6detail10TensorInfoIT_T1_EESF_NSC_IKS6_SE_EElS8_S8_SE_T6_.private_seg_size, 0
	.set _ZN2at4cuda17kernelHistogram1DIaalLi1ELi2ELin1ELNS0_23CUDAHistogramMemoryTypeE0EZNS0_21CUDA_tensor_histogramIaaLb0EEEbNS_6TensorES4_S4_lNS_14AccumulateTypeIT0_Lb1EE4typeES8_NS0_13TensorArgTypeES9_S9_EUllE0_EEvNS0_6detail10TensorInfoIT_T1_EESF_NSC_IKS6_SE_EElS8_S8_SE_T6_.uses_vcc, 1
	.set _ZN2at4cuda17kernelHistogram1DIaalLi1ELi2ELin1ELNS0_23CUDAHistogramMemoryTypeE0EZNS0_21CUDA_tensor_histogramIaaLb0EEEbNS_6TensorES4_S4_lNS_14AccumulateTypeIT0_Lb1EE4typeES8_NS0_13TensorArgTypeES9_S9_EUllE0_EEvNS0_6detail10TensorInfoIT_T1_EESF_NSC_IKS6_SE_EElS8_S8_SE_T6_.uses_flat_scratch, 0
	.set _ZN2at4cuda17kernelHistogram1DIaalLi1ELi2ELin1ELNS0_23CUDAHistogramMemoryTypeE0EZNS0_21CUDA_tensor_histogramIaaLb0EEEbNS_6TensorES4_S4_lNS_14AccumulateTypeIT0_Lb1EE4typeES8_NS0_13TensorArgTypeES9_S9_EUllE0_EEvNS0_6detail10TensorInfoIT_T1_EESF_NSC_IKS6_SE_EElS8_S8_SE_T6_.has_dyn_sized_stack, 0
	.set _ZN2at4cuda17kernelHistogram1DIaalLi1ELi2ELin1ELNS0_23CUDAHistogramMemoryTypeE0EZNS0_21CUDA_tensor_histogramIaaLb0EEEbNS_6TensorES4_S4_lNS_14AccumulateTypeIT0_Lb1EE4typeES8_NS0_13TensorArgTypeES9_S9_EUllE0_EEvNS0_6detail10TensorInfoIT_T1_EESF_NSC_IKS6_SE_EElS8_S8_SE_T6_.has_recursion, 0
	.set _ZN2at4cuda17kernelHistogram1DIaalLi1ELi2ELin1ELNS0_23CUDAHistogramMemoryTypeE0EZNS0_21CUDA_tensor_histogramIaaLb0EEEbNS_6TensorES4_S4_lNS_14AccumulateTypeIT0_Lb1EE4typeES8_NS0_13TensorArgTypeES9_S9_EUllE0_EEvNS0_6detail10TensorInfoIT_T1_EESF_NSC_IKS6_SE_EElS8_S8_SE_T6_.has_indirect_call, 0
	.section	.AMDGPU.csdata,"",@progbits
; Kernel info:
; codeLenInByte = 2744
; TotalNumSgprs: 55
; NumVgprs: 28
; ScratchSize: 0
; MemoryBound: 0
; FloatMode: 240
; IeeeMode: 1
; LDSByteSize: 0 bytes/workgroup (compile time only)
; SGPRBlocks: 0
; VGPRBlocks: 1
; NumSGPRsForWavesPerEU: 55
; NumVGPRsForWavesPerEU: 28
; NamedBarCnt: 0
; Occupancy: 16
; WaveLimiterHint : 1
; COMPUTE_PGM_RSRC2:SCRATCH_EN: 0
; COMPUTE_PGM_RSRC2:USER_SGPR: 2
; COMPUTE_PGM_RSRC2:TRAP_HANDLER: 0
; COMPUTE_PGM_RSRC2:TGID_X_EN: 1
; COMPUTE_PGM_RSRC2:TGID_Y_EN: 0
; COMPUTE_PGM_RSRC2:TGID_Z_EN: 0
; COMPUTE_PGM_RSRC2:TIDIG_COMP_CNT: 0
	.section	.text._ZN2at4cuda17kernelHistogram1DIaalLi1ELi2ELin1ELNS0_23CUDAHistogramMemoryTypeE1EZNS0_21CUDA_tensor_histogramIaaLb0EEEbNS_6TensorES4_S4_lNS_14AccumulateTypeIT0_Lb1EE4typeES8_NS0_13TensorArgTypeES9_S9_EUllE0_EEvNS0_6detail10TensorInfoIT_T1_EESF_NSC_IKS6_SE_EElS8_S8_SE_T6_,"axG",@progbits,_ZN2at4cuda17kernelHistogram1DIaalLi1ELi2ELin1ELNS0_23CUDAHistogramMemoryTypeE1EZNS0_21CUDA_tensor_histogramIaaLb0EEEbNS_6TensorES4_S4_lNS_14AccumulateTypeIT0_Lb1EE4typeES8_NS0_13TensorArgTypeES9_S9_EUllE0_EEvNS0_6detail10TensorInfoIT_T1_EESF_NSC_IKS6_SE_EElS8_S8_SE_T6_,comdat
	.protected	_ZN2at4cuda17kernelHistogram1DIaalLi1ELi2ELin1ELNS0_23CUDAHistogramMemoryTypeE1EZNS0_21CUDA_tensor_histogramIaaLb0EEEbNS_6TensorES4_S4_lNS_14AccumulateTypeIT0_Lb1EE4typeES8_NS0_13TensorArgTypeES9_S9_EUllE0_EEvNS0_6detail10TensorInfoIT_T1_EESF_NSC_IKS6_SE_EElS8_S8_SE_T6_ ; -- Begin function _ZN2at4cuda17kernelHistogram1DIaalLi1ELi2ELin1ELNS0_23CUDAHistogramMemoryTypeE1EZNS0_21CUDA_tensor_histogramIaaLb0EEEbNS_6TensorES4_S4_lNS_14AccumulateTypeIT0_Lb1EE4typeES8_NS0_13TensorArgTypeES9_S9_EUllE0_EEvNS0_6detail10TensorInfoIT_T1_EESF_NSC_IKS6_SE_EElS8_S8_SE_T6_
	.globl	_ZN2at4cuda17kernelHistogram1DIaalLi1ELi2ELin1ELNS0_23CUDAHistogramMemoryTypeE1EZNS0_21CUDA_tensor_histogramIaaLb0EEEbNS_6TensorES4_S4_lNS_14AccumulateTypeIT0_Lb1EE4typeES8_NS0_13TensorArgTypeES9_S9_EUllE0_EEvNS0_6detail10TensorInfoIT_T1_EESF_NSC_IKS6_SE_EElS8_S8_SE_T6_
	.p2align	8
	.type	_ZN2at4cuda17kernelHistogram1DIaalLi1ELi2ELin1ELNS0_23CUDAHistogramMemoryTypeE1EZNS0_21CUDA_tensor_histogramIaaLb0EEEbNS_6TensorES4_S4_lNS_14AccumulateTypeIT0_Lb1EE4typeES8_NS0_13TensorArgTypeES9_S9_EUllE0_EEvNS0_6detail10TensorInfoIT_T1_EESF_NSC_IKS6_SE_EElS8_S8_SE_T6_,@function
_ZN2at4cuda17kernelHistogram1DIaalLi1ELi2ELin1ELNS0_23CUDAHistogramMemoryTypeE1EZNS0_21CUDA_tensor_histogramIaaLb0EEEbNS_6TensorES4_S4_lNS_14AccumulateTypeIT0_Lb1EE4typeES8_NS0_13TensorArgTypeES9_S9_EUllE0_EEvNS0_6detail10TensorInfoIT_T1_EESF_NSC_IKS6_SE_EElS8_S8_SE_T6_: ; @_ZN2at4cuda17kernelHistogram1DIaalLi1ELi2ELin1ELNS0_23CUDAHistogramMemoryTypeE1EZNS0_21CUDA_tensor_histogramIaaLb0EEEbNS_6TensorES4_S4_lNS_14AccumulateTypeIT0_Lb1EE4typeES8_NS0_13TensorArgTypeES9_S9_EUllE0_EEvNS0_6detail10TensorInfoIT_T1_EESF_NSC_IKS6_SE_EElS8_S8_SE_T6_
; %bb.0:
	s_load_b32 s2, s[0:1], 0x514
	s_bfe_u32 s12, ttmp6, 0x4000c
	s_load_b256 s[4:11], s[0:1], 0x4e0
	s_add_co_i32 s12, s12, 1
	s_and_b32 s3, ttmp6, 15
	s_mul_i32 s12, ttmp9, s12
	s_getreg_b32 s13, hwreg(HW_REG_IB_STS2, 6, 4)
	s_add_co_i32 s3, s3, s12
	v_mov_b32_e32 v2, 0
	s_mov_b32 s12, exec_lo
	s_delay_alu instid0(VALU_DEP_1) | instskip(SKIP_4) | instid1(SALU_CYCLE_1)
	v_mov_b32_e32 v1, v2
	s_wait_kmcnt 0x0
	s_and_b32 s2, s2, 0xffff
	s_cmp_eq_u32 s13, 0
	s_cselect_b32 s3, ttmp9, s3
	v_mad_u32 v0, s3, s2, v0
	s_mov_b32 s3, 0
	s_delay_alu instid0(VALU_DEP_1)
	v_cmpx_gt_i64_e64 s[10:11], v[0:1]
	s_cbranch_execz .LBB67_17
; %bb.1:
	s_load_b32 s28, s[0:1], 0x4d8
	s_add_nc_u64 s[20:21], s[0:1], 0x508
	s_load_b32 s22, s[20:21], 0x0
	s_clause 0x3
	s_load_b64 s[12:13], s[0:1], 0x0
	s_load_b64 s[14:15], s[0:1], 0xd0
	;; [unrolled: 1-line block ×4, first 2 shown]
	s_add_nc_u64 s[26:27], s[0:1], 0x340
	s_wait_xcnt 0x0
	s_sub_nc_u64 s[20:21], s[8:9], s[6:7]
	s_mov_b32 s23, s3
	s_mov_b64 s[24:25], 0xffffffff
	s_mov_b32 s40, 0
	s_wait_kmcnt 0x0
	s_mul_i32 s22, s22, s2
	s_cmp_gt_i32 s28, 1
	s_cselect_b32 s1, -1, 0
	s_add_co_i32 s2, s28, -1
	s_add_co_i32 s33, s28, 1
	s_lshl_b64 s[28:29], s[2:3], 3
	s_delay_alu instid0(SALU_CYCLE_1)
	s_add_nc_u64 s[28:29], s[26:27], s[28:29]
	s_ashr_i32 s26, s21, 31
	s_add_nc_u64 s[28:29], s[28:29], 8
	s_branch .LBB67_3
.LBB67_2:                               ;   in Loop: Header=BB67_3 Depth=1
	s_or_b32 exec_lo, exec_lo, s34
	v_add_nc_u64_e32 v[0:1], s[22:23], v[0:1]
	s_delay_alu instid0(VALU_DEP_1) | instskip(SKIP_1) | instid1(SALU_CYCLE_1)
	v_cmp_le_i64_e32 vcc_lo, s[10:11], v[0:1]
	s_or_b32 s40, vcc_lo, s40
	s_and_not1_b32 exec_lo, exec_lo, s40
	s_cbranch_execz .LBB67_17
.LBB67_3:                               ; =>This Loop Header: Depth=1
                                        ;     Child Loop BB67_4 Depth 2
                                        ;     Child Loop BB67_16 Depth 2
	v_mov_b64_e32 v[4:5], 0
	v_mov_b64_e32 v[6:7], v[0:1]
	v_mov_b64_e32 v[8:9], v[0:1]
	s_and_not1_b32 vcc_lo, exec_lo, s1
	s_mov_b64 s[30:31], s[28:29]
	s_mov_b32 s27, s33
	s_cbranch_vccnz .LBB67_10
.LBB67_4:                               ;   Parent Loop BB67_3 Depth=1
                                        ; =>  This Inner Loop Header: Depth=2
	s_load_b64 s[34:35], s[30:31], 0x0
                                        ; implicit-def: $vgpr8_vgpr9
	s_mov_b32 s0, exec_lo
	s_wait_kmcnt 0x0
	s_delay_alu instid0(VALU_DEP_1) | instskip(NEXT) | instid1(VALU_DEP_1)
	v_or_b32_e32 v3, s35, v7
	v_cmpx_ne_u64_e32 0, v[2:3]
	s_xor_b32 s41, exec_lo, s0
	s_cbranch_execz .LBB67_6
; %bb.5:                                ;   in Loop: Header=BB67_4 Depth=2
	s_ashr_i32 s36, s35, 31
	v_dual_mov_b32 v13, v2 :: v_dual_ashrrev_i32 v8, 31, v7
	s_mov_b32 s37, s36
	s_delay_alu instid0(SALU_CYCLE_1) | instskip(NEXT) | instid1(VALU_DEP_1)
	s_add_nc_u64 s[38:39], s[34:35], s[36:37]
	v_mov_b32_e32 v9, v8
	s_xor_b64 s[38:39], s[38:39], s[36:37]
	s_delay_alu instid0(SALU_CYCLE_1)
	s_cvt_f32_u32 s0, s38
	s_cvt_f32_u32 s2, s39
	s_sub_nc_u64 s[44:45], 0, s[38:39]
	v_add_nc_u64_e32 v[10:11], v[6:7], v[8:9]
	v_mov_b32_e32 v17, v2
	s_fmamk_f32 s0, s2, 0x4f800000, s0
	s_delay_alu instid0(SALU_CYCLE_3) | instskip(NEXT) | instid1(VALU_DEP_2)
	v_s_rcp_f32 s0, s0
	v_xor_b32_e32 v12, v10, v8
	s_delay_alu instid0(VALU_DEP_3) | instskip(SKIP_1) | instid1(TRANS32_DEP_1)
	v_dual_mov_b32 v21, v2 :: v_dual_bitop2_b32 v16, v11, v8 bitop3:0x14
	v_xor_b32_e32 v8, s36, v8
	s_mul_f32 s0, s0, 0x5f7ffffc
	s_delay_alu instid0(SALU_CYCLE_3) | instskip(NEXT) | instid1(SALU_CYCLE_3)
	s_mul_f32 s2, s0, 0x2f800000
	s_trunc_f32 s2, s2
	s_delay_alu instid0(SALU_CYCLE_3) | instskip(SKIP_1) | instid1(SALU_CYCLE_2)
	s_fmamk_f32 s0, s2, 0xcf800000, s0
	s_cvt_u32_f32 s43, s2
	s_cvt_u32_f32 s42, s0
	s_delay_alu instid0(SALU_CYCLE_3) | instskip(NEXT) | instid1(SALU_CYCLE_1)
	s_mul_u64 s[46:47], s[44:45], s[42:43]
	s_mul_hi_u32 s49, s42, s47
	s_mul_i32 s48, s42, s47
	s_mul_hi_u32 s2, s42, s46
	s_mul_i32 s37, s43, s46
	s_add_nc_u64 s[48:49], s[2:3], s[48:49]
	s_mul_hi_u32 s0, s43, s46
	s_mul_hi_u32 s50, s43, s47
	s_add_co_u32 s2, s48, s37
	s_add_co_ci_u32 s2, s49, s0
	s_mul_i32 s46, s43, s47
	s_add_co_ci_u32 s47, s50, 0
	s_delay_alu instid0(SALU_CYCLE_1) | instskip(NEXT) | instid1(SALU_CYCLE_1)
	s_add_nc_u64 s[46:47], s[2:3], s[46:47]
	s_add_co_u32 s42, s42, s46
	s_cselect_b32 s0, -1, 0
	s_delay_alu instid0(SALU_CYCLE_1) | instskip(SKIP_1) | instid1(SALU_CYCLE_1)
	s_cmp_lg_u32 s0, 0
	s_add_co_ci_u32 s43, s43, s47
	s_mul_u64 s[44:45], s[44:45], s[42:43]
	s_delay_alu instid0(SALU_CYCLE_1)
	s_mul_hi_u32 s47, s42, s45
	s_mul_i32 s46, s42, s45
	s_mul_hi_u32 s2, s42, s44
	s_mul_i32 s37, s43, s44
	s_add_nc_u64 s[46:47], s[2:3], s[46:47]
	s_mul_hi_u32 s0, s43, s44
	s_mul_hi_u32 s48, s43, s45
	s_add_co_u32 s2, s46, s37
	s_add_co_ci_u32 s2, s47, s0
	s_mul_i32 s44, s43, s45
	s_add_co_ci_u32 s45, s48, 0
	s_delay_alu instid0(SALU_CYCLE_1) | instskip(NEXT) | instid1(SALU_CYCLE_1)
	s_add_nc_u64 s[44:45], s[2:3], s[44:45]
	s_add_co_u32 s0, s42, s44
	s_cselect_b32 s2, -1, 0
	v_mul_hi_u32 v20, v12, s0
	s_cmp_lg_u32 s2, 0
	s_add_co_ci_u32 s2, s43, s45
	s_and_b64 s[42:43], s[0:1], s[24:25]
	v_mul_u64_e32 v[14:15], s[2:3], v[12:13]
	v_mul_u64_e32 v[10:11], s[42:43], v[16:17]
	;; [unrolled: 1-line block ×3, first 2 shown]
	s_delay_alu instid0(VALU_DEP_3) | instskip(NEXT) | instid1(VALU_DEP_1)
	v_add_nc_u64_e32 v[14:15], v[20:21], v[14:15]
	v_add_co_u32 v3, vcc_lo, v14, v10
	s_delay_alu instid0(VALU_DEP_2) | instskip(NEXT) | instid1(VALU_DEP_4)
	v_add_co_ci_u32_e32 v20, vcc_lo, v15, v11, vcc_lo
	v_add_co_ci_u32_e32 v19, vcc_lo, 0, v19, vcc_lo
	s_delay_alu instid0(VALU_DEP_1) | instskip(NEXT) | instid1(VALU_DEP_1)
	v_add_nc_u64_e32 v[10:11], v[20:21], v[18:19]
	v_mul_u64_e32 v[14:15], s[38:39], v[10:11]
	s_delay_alu instid0(VALU_DEP_1) | instskip(NEXT) | instid1(VALU_DEP_2)
	v_sub_nc_u32_e32 v3, v16, v15
	v_sub_co_u32 v9, vcc_lo, v12, v14
	s_delay_alu instid0(VALU_DEP_1) | instskip(NEXT) | instid1(VALU_DEP_3)
	v_sub_co_ci_u32_e64 v16, null, v16, v15, vcc_lo
	v_subrev_co_ci_u32_e64 v3, null, s39, v3, vcc_lo
	s_delay_alu instid0(VALU_DEP_3) | instskip(SKIP_1) | instid1(VALU_DEP_3)
	v_sub_co_u32 v12, s0, v9, s38
	v_add_nc_u64_e32 v[14:15], 1, v[10:11]
	v_subrev_co_ci_u32_e64 v3, null, 0, v3, s0
	s_delay_alu instid0(VALU_DEP_3) | instskip(SKIP_1) | instid1(VALU_DEP_3)
	v_cmp_le_u32_e32 vcc_lo, s38, v12
	v_cndmask_b32_e64 v12, 0, -1, vcc_lo
	v_cmp_le_u32_e32 vcc_lo, s39, v3
	v_cndmask_b32_e64 v13, 0, -1, vcc_lo
	;; [unrolled: 2-line block ×4, first 2 shown]
	v_cmp_eq_u32_e32 vcc_lo, s39, v3
	v_cndmask_b32_e32 v3, v13, v12, vcc_lo
	v_cmp_eq_u32_e32 vcc_lo, s39, v16
	v_add_nc_u64_e32 v[12:13], 2, v[10:11]
	v_cndmask_b32_e32 v9, v17, v9, vcc_lo
	s_delay_alu instid0(VALU_DEP_4) | instskip(NEXT) | instid1(VALU_DEP_2)
	v_cmp_ne_u32_e32 vcc_lo, 0, v3
	v_cmp_ne_u32_e64 s0, 0, v9
	s_delay_alu instid0(VALU_DEP_4) | instskip(NEXT) | instid1(VALU_DEP_1)
	v_dual_cndmask_b32 v3, v15, v13, vcc_lo :: v_dual_cndmask_b32 v9, v14, v12, vcc_lo
	v_dual_cndmask_b32 v10, v10, v9, s0 :: v_dual_mov_b32 v9, v8
	s_delay_alu instid0(VALU_DEP_1) | instskip(NEXT) | instid1(VALU_DEP_1)
	v_dual_cndmask_b32 v3, v11, v3, s0 :: v_dual_bitop2_b32 v10, v10, v8 bitop3:0x14
	v_xor_b32_e32 v11, v3, v8
	s_delay_alu instid0(VALU_DEP_1)
	v_sub_nc_u64_e32 v[8:9], v[10:11], v[8:9]
.LBB67_6:                               ;   in Loop: Header=BB67_4 Depth=2
	s_and_not1_saveexec_b32 s0, s41
	s_cbranch_execz .LBB67_8
; %bb.7:                                ;   in Loop: Header=BB67_4 Depth=2
	v_cvt_f32_u32_e32 v3, s34
	s_sub_co_i32 s2, 0, s34
	s_delay_alu instid0(VALU_DEP_1) | instskip(SKIP_1) | instid1(TRANS32_DEP_1)
	v_rcp_iflag_f32_e32 v3, v3
	v_nop
	v_mul_f32_e32 v3, 0x4f7ffffe, v3
	s_delay_alu instid0(VALU_DEP_1) | instskip(NEXT) | instid1(VALU_DEP_1)
	v_cvt_u32_f32_e32 v3, v3
	v_mul_lo_u32 v8, s2, v3
	s_delay_alu instid0(VALU_DEP_1) | instskip(NEXT) | instid1(VALU_DEP_1)
	v_mul_hi_u32 v8, v3, v8
	v_add_nc_u32_e32 v3, v3, v8
	s_delay_alu instid0(VALU_DEP_1) | instskip(NEXT) | instid1(VALU_DEP_1)
	v_mul_hi_u32 v3, v6, v3
	v_mul_lo_u32 v8, v3, s34
	s_delay_alu instid0(VALU_DEP_1) | instskip(NEXT) | instid1(VALU_DEP_1)
	v_dual_add_nc_u32 v9, 1, v3 :: v_dual_sub_nc_u32 v8, v6, v8
	v_subrev_nc_u32_e32 v10, s34, v8
	v_cmp_le_u32_e32 vcc_lo, s34, v8
	s_delay_alu instid0(VALU_DEP_2) | instskip(NEXT) | instid1(VALU_DEP_1)
	v_dual_cndmask_b32 v8, v8, v10 :: v_dual_cndmask_b32 v3, v3, v9
	v_cmp_le_u32_e32 vcc_lo, s34, v8
	s_delay_alu instid0(VALU_DEP_2) | instskip(NEXT) | instid1(VALU_DEP_1)
	v_add_nc_u32_e32 v9, 1, v3
	v_dual_cndmask_b32 v8, v3, v9 :: v_dual_mov_b32 v9, v2
.LBB67_8:                               ;   in Loop: Header=BB67_4 Depth=2
	s_or_b32 exec_lo, exec_lo, s0
	s_delay_alu instid0(VALU_DEP_1)
	v_mul_u64_e32 v[10:11], s[34:35], v[8:9]
	s_load_b64 s[34:35], s[30:31], 0xc8
	s_add_co_i32 s27, s27, -1
	s_wait_xcnt 0x0
	s_add_nc_u64 s[30:31], s[30:31], -8
	s_cmp_gt_u32 s27, 2
	s_delay_alu instid0(VALU_DEP_1) | instskip(SKIP_1) | instid1(VALU_DEP_1)
	v_sub_nc_u64_e32 v[6:7], v[6:7], v[10:11]
	s_wait_kmcnt 0x0
	v_mad_nc_u64_u32 v[4:5], s34, v6, v[4:5]
	s_delay_alu instid0(VALU_DEP_1) | instskip(NEXT) | instid1(VALU_DEP_1)
	v_mad_u32 v3, s35, v6, v5
	v_mad_u32 v5, s34, v7, v3
	s_cbranch_scc0 .LBB67_10
; %bb.9:                                ;   in Loop: Header=BB67_4 Depth=2
	v_mov_b64_e32 v[6:7], v[8:9]
	s_branch .LBB67_4
.LBB67_10:                              ;   in Loop: Header=BB67_3 Depth=1
	s_delay_alu instid0(VALU_DEP_1) | instskip(NEXT) | instid1(VALU_DEP_1)
	v_mad_nc_u64_u32 v[6:7], s16, v8, s[18:19]
	v_mad_u32 v3, s17, v8, v7
	s_delay_alu instid0(VALU_DEP_1) | instskip(NEXT) | instid1(VALU_DEP_1)
	v_mad_u32 v7, s16, v9, v3
	v_add_nc_u64_e32 v[4:5], v[6:7], v[4:5]
	global_load_i8 v3, v[4:5], off
	s_wait_loadcnt 0x0
	v_bfe_i32 v4, v3, 0, 16
	s_delay_alu instid0(VALU_DEP_1) | instskip(NEXT) | instid1(VALU_DEP_1)
	v_ashrrev_i32_e32 v5, 31, v4
	v_cmp_le_i64_e32 vcc_lo, s[6:7], v[4:5]
	v_cmp_ge_i64_e64 s0, s[8:9], v[4:5]
	s_and_b32 s0, vcc_lo, s0
	s_delay_alu instid0(SALU_CYCLE_1)
	s_and_saveexec_b32 s34, s0
	s_cbranch_execz .LBB67_2
; %bb.11:                               ;   in Loop: Header=BB67_3 Depth=1
	v_sub_nc_u64_e64 v[4:5], v[4:5], s[6:7]
                                        ; implicit-def: $vgpr6_vgpr7
	s_mov_b32 s0, exec_lo
	s_delay_alu instid0(VALU_DEP_1) | instskip(NEXT) | instid1(VALU_DEP_1)
	v_mul_u64_e32 v[4:5], s[4:5], v[4:5]
	v_or_b32_e32 v3, s21, v5
	s_delay_alu instid0(VALU_DEP_1)
	v_cmpx_ne_u64_e32 0, v[2:3]
	s_xor_b32 s35, exec_lo, s0
	s_cbranch_execz .LBB67_13
; %bb.12:                               ;   in Loop: Header=BB67_3 Depth=1
	s_mov_b32 s27, s26
	v_dual_mov_b32 v9, v2 :: v_dual_ashrrev_i32 v6, 31, v5
	s_add_nc_u64 s[30:31], s[20:21], s[26:27]
	s_delay_alu instid0(SALU_CYCLE_1) | instskip(NEXT) | instid1(VALU_DEP_1)
	s_xor_b64 s[30:31], s[30:31], s[26:27]
	v_mov_b32_e32 v7, v6
	s_cvt_f32_u32 s0, s30
	s_cvt_f32_u32 s2, s31
	s_sub_nc_u64 s[38:39], 0, s[30:31]
	s_delay_alu instid0(VALU_DEP_1) | instskip(NEXT) | instid1(SALU_CYCLE_1)
	v_add_nc_u64_e32 v[4:5], v[4:5], v[6:7]
	s_fmamk_f32 s0, s2, 0x4f800000, s0
	v_mov_b32_e32 v13, v2
	s_delay_alu instid0(SALU_CYCLE_2) | instskip(NEXT) | instid1(VALU_DEP_2)
	v_s_rcp_f32 s0, s0
	v_xor_b32_e32 v8, v4, v6
	s_delay_alu instid0(VALU_DEP_3) | instskip(NEXT) | instid1(TRANS32_DEP_1)
	v_dual_mov_b32 v17, v2 :: v_dual_bitop2_b32 v12, v5, v6 bitop3:0x14
	s_mul_f32 s0, s0, 0x5f7ffffc
	s_delay_alu instid0(SALU_CYCLE_3) | instskip(NEXT) | instid1(SALU_CYCLE_3)
	s_mul_f32 s2, s0, 0x2f800000
	s_trunc_f32 s2, s2
	s_delay_alu instid0(SALU_CYCLE_3) | instskip(SKIP_1) | instid1(SALU_CYCLE_2)
	s_fmamk_f32 s0, s2, 0xcf800000, s0
	s_cvt_u32_f32 s37, s2
	s_cvt_u32_f32 s36, s0
	s_delay_alu instid0(SALU_CYCLE_3) | instskip(NEXT) | instid1(SALU_CYCLE_1)
	s_mul_u64 s[42:43], s[38:39], s[36:37]
	s_mul_hi_u32 s45, s36, s43
	s_mul_i32 s44, s36, s43
	s_mul_hi_u32 s2, s36, s42
	s_mul_i32 s27, s37, s42
	s_add_nc_u64 s[44:45], s[2:3], s[44:45]
	s_mul_hi_u32 s0, s37, s42
	s_mul_hi_u32 s41, s37, s43
	s_add_co_u32 s2, s44, s27
	s_add_co_ci_u32 s2, s45, s0
	s_mul_i32 s42, s37, s43
	s_add_co_ci_u32 s43, s41, 0
	s_delay_alu instid0(SALU_CYCLE_1) | instskip(NEXT) | instid1(SALU_CYCLE_1)
	s_add_nc_u64 s[42:43], s[2:3], s[42:43]
	s_add_co_u32 s36, s36, s42
	s_cselect_b32 s0, -1, 0
	s_delay_alu instid0(SALU_CYCLE_1) | instskip(SKIP_1) | instid1(SALU_CYCLE_1)
	s_cmp_lg_u32 s0, 0
	s_add_co_ci_u32 s37, s37, s43
	s_mul_u64 s[38:39], s[38:39], s[36:37]
	s_delay_alu instid0(SALU_CYCLE_1)
	s_mul_hi_u32 s43, s36, s39
	s_mul_i32 s42, s36, s39
	s_mul_hi_u32 s2, s36, s38
	s_mul_i32 s27, s37, s38
	s_add_nc_u64 s[42:43], s[2:3], s[42:43]
	s_mul_hi_u32 s0, s37, s38
	s_mul_hi_u32 s41, s37, s39
	s_add_co_u32 s2, s42, s27
	s_add_co_ci_u32 s2, s43, s0
	s_mul_i32 s38, s37, s39
	s_add_co_ci_u32 s39, s41, 0
	s_delay_alu instid0(SALU_CYCLE_1) | instskip(NEXT) | instid1(SALU_CYCLE_1)
	s_add_nc_u64 s[38:39], s[2:3], s[38:39]
	s_add_co_u32 s0, s36, s38
	s_cselect_b32 s2, -1, 0
	v_mul_hi_u32 v16, v8, s0
	s_cmp_lg_u32 s2, 0
	s_add_co_ci_u32 s2, s37, s39
	s_and_b64 s[36:37], s[0:1], s[24:25]
	v_mul_u64_e32 v[10:11], s[2:3], v[8:9]
	v_mul_u64_e32 v[4:5], s[36:37], v[12:13]
	;; [unrolled: 1-line block ×3, first 2 shown]
	s_delay_alu instid0(VALU_DEP_3) | instskip(NEXT) | instid1(VALU_DEP_1)
	v_add_nc_u64_e32 v[10:11], v[16:17], v[10:11]
	v_add_co_u32 v3, vcc_lo, v10, v4
	s_delay_alu instid0(VALU_DEP_2) | instskip(NEXT) | instid1(VALU_DEP_4)
	v_add_co_ci_u32_e32 v16, vcc_lo, v11, v5, vcc_lo
	v_add_co_ci_u32_e32 v15, vcc_lo, 0, v15, vcc_lo
	s_delay_alu instid0(VALU_DEP_1) | instskip(NEXT) | instid1(VALU_DEP_1)
	v_add_nc_u64_e32 v[4:5], v[16:17], v[14:15]
	v_mul_u64_e32 v[10:11], s[30:31], v[4:5]
	s_delay_alu instid0(VALU_DEP_1) | instskip(NEXT) | instid1(VALU_DEP_2)
	v_sub_nc_u32_e32 v3, v12, v11
	v_sub_co_u32 v7, vcc_lo, v8, v10
	s_delay_alu instid0(VALU_DEP_1) | instskip(NEXT) | instid1(VALU_DEP_3)
	v_sub_co_ci_u32_e64 v12, null, v12, v11, vcc_lo
	v_subrev_co_ci_u32_e64 v3, null, s31, v3, vcc_lo
	s_delay_alu instid0(VALU_DEP_3) | instskip(SKIP_1) | instid1(VALU_DEP_3)
	v_sub_co_u32 v8, s0, v7, s30
	v_add_nc_u64_e32 v[10:11], 1, v[4:5]
	v_subrev_co_ci_u32_e64 v3, null, 0, v3, s0
	s_delay_alu instid0(VALU_DEP_3) | instskip(SKIP_1) | instid1(VALU_DEP_3)
	v_cmp_le_u32_e32 vcc_lo, s30, v8
	v_cndmask_b32_e64 v8, 0, -1, vcc_lo
	v_cmp_le_u32_e32 vcc_lo, s31, v3
	v_cndmask_b32_e64 v9, 0, -1, vcc_lo
	;; [unrolled: 2-line block ×4, first 2 shown]
	v_cmp_eq_u32_e32 vcc_lo, s31, v3
	v_cndmask_b32_e32 v3, v9, v8, vcc_lo
	v_cmp_eq_u32_e32 vcc_lo, s31, v12
	v_add_nc_u64_e32 v[8:9], 2, v[4:5]
	v_cndmask_b32_e32 v7, v13, v7, vcc_lo
	s_delay_alu instid0(VALU_DEP_4) | instskip(NEXT) | instid1(VALU_DEP_3)
	v_cmp_ne_u32_e32 vcc_lo, 0, v3
	v_cndmask_b32_e32 v3, v11, v9, vcc_lo
	s_delay_alu instid0(VALU_DEP_3) | instskip(SKIP_1) | instid1(VALU_DEP_2)
	v_cmp_ne_u32_e64 s0, 0, v7
	v_dual_cndmask_b32 v7, v10, v8, vcc_lo :: v_dual_bitop2_b32 v6, s26, v6 bitop3:0x14
	v_cndmask_b32_e64 v3, v5, v3, s0
	s_delay_alu instid0(VALU_DEP_2) | instskip(NEXT) | instid1(VALU_DEP_2)
	v_dual_cndmask_b32 v4, v4, v7, s0 :: v_dual_mov_b32 v7, v6
	v_xor_b32_e32 v5, v3, v6
	s_delay_alu instid0(VALU_DEP_2) | instskip(NEXT) | instid1(VALU_DEP_1)
	v_xor_b32_e32 v4, v4, v6
	v_sub_nc_u64_e32 v[6:7], v[4:5], v[6:7]
                                        ; implicit-def: $vgpr4_vgpr5
.LBB67_13:                              ;   in Loop: Header=BB67_3 Depth=1
	s_and_not1_saveexec_b32 s0, s35
	s_cbranch_execz .LBB67_15
; %bb.14:                               ;   in Loop: Header=BB67_3 Depth=1
	v_cvt_f32_u32_e32 v3, s20
	s_sub_co_i32 s2, 0, s20
	s_delay_alu instid0(VALU_DEP_1) | instskip(SKIP_1) | instid1(TRANS32_DEP_1)
	v_rcp_iflag_f32_e32 v3, v3
	v_nop
	v_mul_f32_e32 v3, 0x4f7ffffe, v3
	s_delay_alu instid0(VALU_DEP_1) | instskip(NEXT) | instid1(VALU_DEP_1)
	v_cvt_u32_f32_e32 v3, v3
	v_mul_lo_u32 v5, s2, v3
	s_delay_alu instid0(VALU_DEP_1) | instskip(NEXT) | instid1(VALU_DEP_1)
	v_mul_hi_u32 v5, v3, v5
	v_add_nc_u32_e32 v3, v3, v5
	s_delay_alu instid0(VALU_DEP_1) | instskip(NEXT) | instid1(VALU_DEP_1)
	v_mul_hi_u32 v3, v4, v3
	v_mul_lo_u32 v5, v3, s20
	s_delay_alu instid0(VALU_DEP_1) | instskip(NEXT) | instid1(VALU_DEP_1)
	v_dual_sub_nc_u32 v4, v4, v5 :: v_dual_add_nc_u32 v5, 1, v3
	v_subrev_nc_u32_e32 v6, s20, v4
	v_cmp_le_u32_e32 vcc_lo, s20, v4
	s_delay_alu instid0(VALU_DEP_2) | instskip(NEXT) | instid1(VALU_DEP_1)
	v_dual_cndmask_b32 v4, v4, v6 :: v_dual_cndmask_b32 v3, v3, v5
	v_cmp_le_u32_e32 vcc_lo, s20, v4
	s_delay_alu instid0(VALU_DEP_2) | instskip(NEXT) | instid1(VALU_DEP_1)
	v_add_nc_u32_e32 v5, 1, v3
	v_cndmask_b32_e32 v6, v3, v5, vcc_lo
.LBB67_15:                              ;   in Loop: Header=BB67_3 Depth=1
	s_or_b32 exec_lo, exec_lo, s0
	s_delay_alu instid0(VALU_DEP_1) | instskip(SKIP_2) | instid1(VALU_DEP_2)
	v_dual_ashrrev_i32 v7, 31, v6 :: v_dual_mov_b32 v5, s3
	s_mov_b32 s0, 0
	v_mov_b32_e32 v9, v2
	v_cmp_eq_u64_e32 vcc_lo, s[4:5], v[6:7]
	v_cndmask_b32_e64 v4, 0, 1, vcc_lo
	s_delay_alu instid0(VALU_DEP_1) | instskip(NEXT) | instid1(VALU_DEP_1)
	v_sub_nc_u64_e32 v[4:5], v[6:7], v[4:5]
	v_mad_nc_u64_u32 v[6:7], v4, s14, s[12:13]
	s_delay_alu instid0(VALU_DEP_1) | instskip(NEXT) | instid1(VALU_DEP_2)
	v_mad_u32 v3, v5, s14, v7
	v_and_b32_e32 v8, 3, v6
	s_delay_alu instid0(VALU_DEP_2) | instskip(NEXT) | instid1(VALU_DEP_2)
	v_mad_u32 v7, v4, s15, v3
	v_sub_nc_u64_e32 v[4:5], 0, v[8:9]
	v_lshlrev_b32_e32 v3, 3, v8
	s_delay_alu instid0(VALU_DEP_2) | instskip(NEXT) | instid1(VALU_DEP_2)
	v_add_nc_u64_e32 v[4:5], v[6:7], v[4:5]
	v_lshlrev_b32_e64 v6, v3, 0xff
	s_delay_alu instid0(VALU_DEP_1)
	v_not_b32_e32 v8, v6
	global_load_b32 v7, v[4:5], off
.LBB67_16:                              ;   Parent Loop BB67_3 Depth=1
                                        ; =>  This Inner Loop Header: Depth=2
	s_wait_loadcnt 0x0
	v_lshrrev_b32_e32 v6, v3, v7
	s_delay_alu instid0(VALU_DEP_1) | instskip(NEXT) | instid1(VALU_DEP_1)
	v_dual_add_nc_u32 v6, 1, v6 :: v_dual_bitop2_b32 v9, v7, v8 bitop3:0x40
	v_and_b32_e32 v6, 0xff, v6
	s_delay_alu instid0(VALU_DEP_1)
	v_lshl_or_b32 v6, v6, v3, v9
	global_atomic_cmpswap_b32 v6, v[4:5], v[6:7], off th:TH_ATOMIC_RETURN scope:SCOPE_DEV
	s_wait_loadcnt 0x0
	v_cmp_eq_u32_e32 vcc_lo, v7, v6
	v_mov_b32_e32 v7, v6
	s_or_b32 s0, vcc_lo, s0
	s_delay_alu instid0(SALU_CYCLE_1)
	s_and_not1_b32 exec_lo, exec_lo, s0
	s_cbranch_execnz .LBB67_16
	s_branch .LBB67_2
.LBB67_17:
	s_endpgm
	.section	.rodata,"a",@progbits
	.p2align	6, 0x0
	.amdhsa_kernel _ZN2at4cuda17kernelHistogram1DIaalLi1ELi2ELin1ELNS0_23CUDAHistogramMemoryTypeE1EZNS0_21CUDA_tensor_histogramIaaLb0EEEbNS_6TensorES4_S4_lNS_14AccumulateTypeIT0_Lb1EE4typeES8_NS0_13TensorArgTypeES9_S9_EUllE0_EEvNS0_6detail10TensorInfoIT_T1_EESF_NSC_IKS6_SE_EElS8_S8_SE_T6_
		.amdhsa_group_segment_fixed_size 0
		.amdhsa_private_segment_fixed_size 0
		.amdhsa_kernarg_size 1544
		.amdhsa_user_sgpr_count 2
		.amdhsa_user_sgpr_dispatch_ptr 0
		.amdhsa_user_sgpr_queue_ptr 0
		.amdhsa_user_sgpr_kernarg_segment_ptr 1
		.amdhsa_user_sgpr_dispatch_id 0
		.amdhsa_user_sgpr_kernarg_preload_length 0
		.amdhsa_user_sgpr_kernarg_preload_offset 0
		.amdhsa_user_sgpr_private_segment_size 0
		.amdhsa_wavefront_size32 1
		.amdhsa_uses_dynamic_stack 0
		.amdhsa_enable_private_segment 0
		.amdhsa_system_sgpr_workgroup_id_x 1
		.amdhsa_system_sgpr_workgroup_id_y 0
		.amdhsa_system_sgpr_workgroup_id_z 0
		.amdhsa_system_sgpr_workgroup_info 0
		.amdhsa_system_vgpr_workitem_id 0
		.amdhsa_next_free_vgpr 22
		.amdhsa_next_free_sgpr 51
		.amdhsa_named_barrier_count 0
		.amdhsa_reserve_vcc 1
		.amdhsa_float_round_mode_32 0
		.amdhsa_float_round_mode_16_64 0
		.amdhsa_float_denorm_mode_32 3
		.amdhsa_float_denorm_mode_16_64 3
		.amdhsa_fp16_overflow 0
		.amdhsa_memory_ordered 1
		.amdhsa_forward_progress 1
		.amdhsa_inst_pref_size 18
		.amdhsa_round_robin_scheduling 0
		.amdhsa_exception_fp_ieee_invalid_op 0
		.amdhsa_exception_fp_denorm_src 0
		.amdhsa_exception_fp_ieee_div_zero 0
		.amdhsa_exception_fp_ieee_overflow 0
		.amdhsa_exception_fp_ieee_underflow 0
		.amdhsa_exception_fp_ieee_inexact 0
		.amdhsa_exception_int_div_zero 0
	.end_amdhsa_kernel
	.section	.text._ZN2at4cuda17kernelHistogram1DIaalLi1ELi2ELin1ELNS0_23CUDAHistogramMemoryTypeE1EZNS0_21CUDA_tensor_histogramIaaLb0EEEbNS_6TensorES4_S4_lNS_14AccumulateTypeIT0_Lb1EE4typeES8_NS0_13TensorArgTypeES9_S9_EUllE0_EEvNS0_6detail10TensorInfoIT_T1_EESF_NSC_IKS6_SE_EElS8_S8_SE_T6_,"axG",@progbits,_ZN2at4cuda17kernelHistogram1DIaalLi1ELi2ELin1ELNS0_23CUDAHistogramMemoryTypeE1EZNS0_21CUDA_tensor_histogramIaaLb0EEEbNS_6TensorES4_S4_lNS_14AccumulateTypeIT0_Lb1EE4typeES8_NS0_13TensorArgTypeES9_S9_EUllE0_EEvNS0_6detail10TensorInfoIT_T1_EESF_NSC_IKS6_SE_EElS8_S8_SE_T6_,comdat
.Lfunc_end67:
	.size	_ZN2at4cuda17kernelHistogram1DIaalLi1ELi2ELin1ELNS0_23CUDAHistogramMemoryTypeE1EZNS0_21CUDA_tensor_histogramIaaLb0EEEbNS_6TensorES4_S4_lNS_14AccumulateTypeIT0_Lb1EE4typeES8_NS0_13TensorArgTypeES9_S9_EUllE0_EEvNS0_6detail10TensorInfoIT_T1_EESF_NSC_IKS6_SE_EElS8_S8_SE_T6_, .Lfunc_end67-_ZN2at4cuda17kernelHistogram1DIaalLi1ELi2ELin1ELNS0_23CUDAHistogramMemoryTypeE1EZNS0_21CUDA_tensor_histogramIaaLb0EEEbNS_6TensorES4_S4_lNS_14AccumulateTypeIT0_Lb1EE4typeES8_NS0_13TensorArgTypeES9_S9_EUllE0_EEvNS0_6detail10TensorInfoIT_T1_EESF_NSC_IKS6_SE_EElS8_S8_SE_T6_
                                        ; -- End function
	.set _ZN2at4cuda17kernelHistogram1DIaalLi1ELi2ELin1ELNS0_23CUDAHistogramMemoryTypeE1EZNS0_21CUDA_tensor_histogramIaaLb0EEEbNS_6TensorES4_S4_lNS_14AccumulateTypeIT0_Lb1EE4typeES8_NS0_13TensorArgTypeES9_S9_EUllE0_EEvNS0_6detail10TensorInfoIT_T1_EESF_NSC_IKS6_SE_EElS8_S8_SE_T6_.num_vgpr, 22
	.set _ZN2at4cuda17kernelHistogram1DIaalLi1ELi2ELin1ELNS0_23CUDAHistogramMemoryTypeE1EZNS0_21CUDA_tensor_histogramIaaLb0EEEbNS_6TensorES4_S4_lNS_14AccumulateTypeIT0_Lb1EE4typeES8_NS0_13TensorArgTypeES9_S9_EUllE0_EEvNS0_6detail10TensorInfoIT_T1_EESF_NSC_IKS6_SE_EElS8_S8_SE_T6_.num_agpr, 0
	.set _ZN2at4cuda17kernelHistogram1DIaalLi1ELi2ELin1ELNS0_23CUDAHistogramMemoryTypeE1EZNS0_21CUDA_tensor_histogramIaaLb0EEEbNS_6TensorES4_S4_lNS_14AccumulateTypeIT0_Lb1EE4typeES8_NS0_13TensorArgTypeES9_S9_EUllE0_EEvNS0_6detail10TensorInfoIT_T1_EESF_NSC_IKS6_SE_EElS8_S8_SE_T6_.numbered_sgpr, 51
	.set _ZN2at4cuda17kernelHistogram1DIaalLi1ELi2ELin1ELNS0_23CUDAHistogramMemoryTypeE1EZNS0_21CUDA_tensor_histogramIaaLb0EEEbNS_6TensorES4_S4_lNS_14AccumulateTypeIT0_Lb1EE4typeES8_NS0_13TensorArgTypeES9_S9_EUllE0_EEvNS0_6detail10TensorInfoIT_T1_EESF_NSC_IKS6_SE_EElS8_S8_SE_T6_.num_named_barrier, 0
	.set _ZN2at4cuda17kernelHistogram1DIaalLi1ELi2ELin1ELNS0_23CUDAHistogramMemoryTypeE1EZNS0_21CUDA_tensor_histogramIaaLb0EEEbNS_6TensorES4_S4_lNS_14AccumulateTypeIT0_Lb1EE4typeES8_NS0_13TensorArgTypeES9_S9_EUllE0_EEvNS0_6detail10TensorInfoIT_T1_EESF_NSC_IKS6_SE_EElS8_S8_SE_T6_.private_seg_size, 0
	.set _ZN2at4cuda17kernelHistogram1DIaalLi1ELi2ELin1ELNS0_23CUDAHistogramMemoryTypeE1EZNS0_21CUDA_tensor_histogramIaaLb0EEEbNS_6TensorES4_S4_lNS_14AccumulateTypeIT0_Lb1EE4typeES8_NS0_13TensorArgTypeES9_S9_EUllE0_EEvNS0_6detail10TensorInfoIT_T1_EESF_NSC_IKS6_SE_EElS8_S8_SE_T6_.uses_vcc, 1
	.set _ZN2at4cuda17kernelHistogram1DIaalLi1ELi2ELin1ELNS0_23CUDAHistogramMemoryTypeE1EZNS0_21CUDA_tensor_histogramIaaLb0EEEbNS_6TensorES4_S4_lNS_14AccumulateTypeIT0_Lb1EE4typeES8_NS0_13TensorArgTypeES9_S9_EUllE0_EEvNS0_6detail10TensorInfoIT_T1_EESF_NSC_IKS6_SE_EElS8_S8_SE_T6_.uses_flat_scratch, 0
	.set _ZN2at4cuda17kernelHistogram1DIaalLi1ELi2ELin1ELNS0_23CUDAHistogramMemoryTypeE1EZNS0_21CUDA_tensor_histogramIaaLb0EEEbNS_6TensorES4_S4_lNS_14AccumulateTypeIT0_Lb1EE4typeES8_NS0_13TensorArgTypeES9_S9_EUllE0_EEvNS0_6detail10TensorInfoIT_T1_EESF_NSC_IKS6_SE_EElS8_S8_SE_T6_.has_dyn_sized_stack, 0
	.set _ZN2at4cuda17kernelHistogram1DIaalLi1ELi2ELin1ELNS0_23CUDAHistogramMemoryTypeE1EZNS0_21CUDA_tensor_histogramIaaLb0EEEbNS_6TensorES4_S4_lNS_14AccumulateTypeIT0_Lb1EE4typeES8_NS0_13TensorArgTypeES9_S9_EUllE0_EEvNS0_6detail10TensorInfoIT_T1_EESF_NSC_IKS6_SE_EElS8_S8_SE_T6_.has_recursion, 0
	.set _ZN2at4cuda17kernelHistogram1DIaalLi1ELi2ELin1ELNS0_23CUDAHistogramMemoryTypeE1EZNS0_21CUDA_tensor_histogramIaaLb0EEEbNS_6TensorES4_S4_lNS_14AccumulateTypeIT0_Lb1EE4typeES8_NS0_13TensorArgTypeES9_S9_EUllE0_EEvNS0_6detail10TensorInfoIT_T1_EESF_NSC_IKS6_SE_EElS8_S8_SE_T6_.has_indirect_call, 0
	.section	.AMDGPU.csdata,"",@progbits
; Kernel info:
; codeLenInByte = 2204
; TotalNumSgprs: 53
; NumVgprs: 22
; ScratchSize: 0
; MemoryBound: 0
; FloatMode: 240
; IeeeMode: 1
; LDSByteSize: 0 bytes/workgroup (compile time only)
; SGPRBlocks: 0
; VGPRBlocks: 1
; NumSGPRsForWavesPerEU: 53
; NumVGPRsForWavesPerEU: 22
; NamedBarCnt: 0
; Occupancy: 16
; WaveLimiterHint : 1
; COMPUTE_PGM_RSRC2:SCRATCH_EN: 0
; COMPUTE_PGM_RSRC2:USER_SGPR: 2
; COMPUTE_PGM_RSRC2:TRAP_HANDLER: 0
; COMPUTE_PGM_RSRC2:TGID_X_EN: 1
; COMPUTE_PGM_RSRC2:TGID_Y_EN: 0
; COMPUTE_PGM_RSRC2:TGID_Z_EN: 0
; COMPUTE_PGM_RSRC2:TIDIG_COMP_CNT: 0
	.section	.text._ZN2at4cuda17kernelHistogram1DIiilLi1ELi2ELin1ELNS0_23CUDAHistogramMemoryTypeE0EZNS0_21CUDA_tensor_histogramIiiLb0EEEbNS_6TensorES4_S4_lNS_14AccumulateTypeIT0_Lb1EE4typeES8_NS0_13TensorArgTypeES9_S9_EUllE_EEvNS0_6detail10TensorInfoIT_T1_EESF_NSC_IKS6_SE_EElS8_S8_SE_T6_,"axG",@progbits,_ZN2at4cuda17kernelHistogram1DIiilLi1ELi2ELin1ELNS0_23CUDAHistogramMemoryTypeE0EZNS0_21CUDA_tensor_histogramIiiLb0EEEbNS_6TensorES4_S4_lNS_14AccumulateTypeIT0_Lb1EE4typeES8_NS0_13TensorArgTypeES9_S9_EUllE_EEvNS0_6detail10TensorInfoIT_T1_EESF_NSC_IKS6_SE_EElS8_S8_SE_T6_,comdat
	.protected	_ZN2at4cuda17kernelHistogram1DIiilLi1ELi2ELin1ELNS0_23CUDAHistogramMemoryTypeE0EZNS0_21CUDA_tensor_histogramIiiLb0EEEbNS_6TensorES4_S4_lNS_14AccumulateTypeIT0_Lb1EE4typeES8_NS0_13TensorArgTypeES9_S9_EUllE_EEvNS0_6detail10TensorInfoIT_T1_EESF_NSC_IKS6_SE_EElS8_S8_SE_T6_ ; -- Begin function _ZN2at4cuda17kernelHistogram1DIiilLi1ELi2ELin1ELNS0_23CUDAHistogramMemoryTypeE0EZNS0_21CUDA_tensor_histogramIiiLb0EEEbNS_6TensorES4_S4_lNS_14AccumulateTypeIT0_Lb1EE4typeES8_NS0_13TensorArgTypeES9_S9_EUllE_EEvNS0_6detail10TensorInfoIT_T1_EESF_NSC_IKS6_SE_EElS8_S8_SE_T6_
	.globl	_ZN2at4cuda17kernelHistogram1DIiilLi1ELi2ELin1ELNS0_23CUDAHistogramMemoryTypeE0EZNS0_21CUDA_tensor_histogramIiiLb0EEEbNS_6TensorES4_S4_lNS_14AccumulateTypeIT0_Lb1EE4typeES8_NS0_13TensorArgTypeES9_S9_EUllE_EEvNS0_6detail10TensorInfoIT_T1_EESF_NSC_IKS6_SE_EElS8_S8_SE_T6_
	.p2align	8
	.type	_ZN2at4cuda17kernelHistogram1DIiilLi1ELi2ELin1ELNS0_23CUDAHistogramMemoryTypeE0EZNS0_21CUDA_tensor_histogramIiiLb0EEEbNS_6TensorES4_S4_lNS_14AccumulateTypeIT0_Lb1EE4typeES8_NS0_13TensorArgTypeES9_S9_EUllE_EEvNS0_6detail10TensorInfoIT_T1_EESF_NSC_IKS6_SE_EElS8_S8_SE_T6_,@function
_ZN2at4cuda17kernelHistogram1DIiilLi1ELi2ELin1ELNS0_23CUDAHistogramMemoryTypeE0EZNS0_21CUDA_tensor_histogramIiiLb0EEEbNS_6TensorES4_S4_lNS_14AccumulateTypeIT0_Lb1EE4typeES8_NS0_13TensorArgTypeES9_S9_EUllE_EEvNS0_6detail10TensorInfoIT_T1_EESF_NSC_IKS6_SE_EElS8_S8_SE_T6_: ; @_ZN2at4cuda17kernelHistogram1DIiilLi1ELi2ELin1ELNS0_23CUDAHistogramMemoryTypeE0EZNS0_21CUDA_tensor_histogramIiiLb0EEEbNS_6TensorES4_S4_lNS_14AccumulateTypeIT0_Lb1EE4typeES8_NS0_13TensorArgTypeES9_S9_EUllE_EEvNS0_6detail10TensorInfoIT_T1_EESF_NSC_IKS6_SE_EElS8_S8_SE_T6_
; %bb.0:
	s_clause 0x2
	s_load_b128 s[12:15], s[0:1], 0x0
	s_load_b64 s[16:17], s[0:1], 0x500
	s_load_b256 s[4:11], s[0:1], 0x4e0
	v_mov_b32_e32 v1, 0
	s_add_nc_u64 s[26:27], s[0:1], 0x6a0
	s_mov_b32 s3, exec_lo
                                        ; implicit-def: $sgpr18
	s_wait_kmcnt 0x0
	s_delay_alu instid0(VALU_DEP_1)
	v_cmp_gt_i64_e64 s2, s[14:15], v[0:1]
	v_cmpx_le_i64_e64 s[14:15], v[0:1]
	s_xor_b32 s3, exec_lo, s3
; %bb.1:
	s_load_b32 s18, s[26:27], 0xc
; %bb.2:
	s_or_saveexec_b32 s3, s3
	s_wait_kmcnt 0x0
	v_mov_b32_e32 v4, s18
	s_xor_b32 exec_lo, exec_lo, s3
	s_cbranch_execz .LBB68_12
; %bb.3:
	v_dual_mov_b32 v5, 0 :: v_dual_add_nc_u32 v4, 1, v0
	s_load_b32 s20, s[26:27], 0xc
	s_mov_b32 s22, -1
	s_delay_alu instid0(VALU_DEP_1) | instskip(SKIP_2) | instid1(SALU_CYCLE_1)
	v_max_i64 v[2:3], s[14:15], v[4:5]
	s_wait_kmcnt 0x0
	s_and_b32 s18, s20, 0xffff
	s_cmp_eq_u32 s18, 1
	s_cselect_b32 s19, -1, 0
	s_delay_alu instid0(VALU_DEP_1) | instskip(SKIP_1) | instid1(VALU_DEP_2)
	v_sub_nc_u64_e32 v[6:7], v[2:3], v[0:1]
	v_mov_b64_e32 v[2:3], v[0:1]
	v_cmp_lt_u64_e32 vcc_lo, 1, v[6:7]
	s_and_b32 s21, vcc_lo, s19
	s_delay_alu instid0(SALU_CYCLE_1)
	s_and_saveexec_b32 s19, s21
	s_cbranch_execz .LBB68_7
; %bb.4:
	v_dual_mov_b32 v3, v7 :: v_dual_bitop2_b32 v2, -2, v6 bitop3:0x40
	v_lshl_add_u32 v4, v0, 2, 0
	s_mov_b32 s21, 0
	s_delay_alu instid0(VALU_DEP_2)
	v_mov_b64_e32 v[8:9], v[2:3]
.LBB68_5:                               ; =>This Inner Loop Header: Depth=1
	s_delay_alu instid0(VALU_DEP_1) | instskip(SKIP_4) | instid1(SALU_CYCLE_1)
	v_add_nc_u64_e32 v[8:9], -2, v[8:9]
	ds_store_2addr_b32 v4, v5, v5 offset1:1
	v_add_nc_u32_e32 v4, 8, v4
	v_cmp_eq_u64_e32 vcc_lo, 0, v[8:9]
	s_or_b32 s21, vcc_lo, s21
	s_and_not1_b32 exec_lo, exec_lo, s21
	s_cbranch_execnz .LBB68_5
; %bb.6:
	s_or_b32 exec_lo, exec_lo, s21
	v_cmp_ne_u64_e32 vcc_lo, v[6:7], v[2:3]
	v_add_nc_u64_e32 v[2:3], v[2:3], v[0:1]
	s_or_not1_b32 s22, vcc_lo, exec_lo
.LBB68_7:
	s_or_b32 exec_lo, exec_lo, s19
	v_mov_b32_e32 v4, 1
	s_and_saveexec_b32 s21, s22
	s_cbranch_execz .LBB68_11
; %bb.8:
	s_delay_alu instid0(VALU_DEP_2)
	v_lshl_add_u32 v4, v2, 2, 0
	v_mov_b32_e32 v5, 0
	s_mov_b32 s19, 0
	s_lshl_b32 s23, s18, 2
	s_mov_b32 s22, s19
.LBB68_9:                               ; =>This Inner Loop Header: Depth=1
	v_add_nc_u64_e32 v[2:3], s[18:19], v[2:3]
	ds_store_b32 v4, v5
	v_add_nc_u32_e32 v4, s23, v4
	v_cmp_le_i64_e32 vcc_lo, s[14:15], v[2:3]
	s_or_b32 s22, vcc_lo, s22
	s_delay_alu instid0(SALU_CYCLE_1)
	s_and_not1_b32 exec_lo, exec_lo, s22
	s_cbranch_execnz .LBB68_9
; %bb.10:
	s_or_b32 exec_lo, exec_lo, s22
	v_mov_b32_e32 v4, s20
.LBB68_11:
	s_or_b32 exec_lo, exec_lo, s21
.LBB68_12:
	s_delay_alu instid0(SALU_CYCLE_1)
	s_or_b32 exec_lo, exec_lo, s3
	s_bfe_u32 s3, ttmp6, 0x4000c
	s_and_b32 s18, ttmp6, 15
	s_add_co_i32 s3, s3, 1
	s_getreg_b32 s19, hwreg(HW_REG_IB_STS2, 6, 4)
	s_mul_i32 s3, ttmp9, s3
	v_and_b32_e32 v2, 0xffff, v4
	s_add_co_i32 s18, s18, s3
	s_cmp_eq_u32 s19, 0
	v_mov_b32_e32 v6, 0
	s_cselect_b32 s3, ttmp9, s18
	s_mov_b32 s19, 0
	v_mad_u32 v4, s3, v2, v0
	s_mov_b32 s33, exec_lo
	v_mov_b32_e32 v5, v6
	s_wait_dscnt 0x0
	s_barrier_signal -1
	s_barrier_wait -1
	s_delay_alu instid0(VALU_DEP_1)
	v_cmpx_gt_i64_e64 s[10:11], v[4:5]
	s_cbranch_execz .LBB68_28
; %bb.13:
	s_load_b32 s3, s[0:1], 0x4d8
	s_load_b32 s18, s[26:27], 0x0
	s_clause 0x2
	s_load_b64 s[20:21], s[0:1], 0x5d0
	s_load_b64 s[22:23], s[0:1], 0x410
	;; [unrolled: 1-line block ×3, first 2 shown]
	s_add_nc_u64 s[30:31], s[0:1], 0x340
	v_mov_b32_e32 v9, v6
	s_wait_xcnt 0x0
	s_sub_nc_u64 s[26:27], s[8:9], s[6:7]
	s_mov_b64 s[28:29], 0xffffffff
	s_mov_b32 s46, 0
	s_wait_kmcnt 0x0
	s_cmp_gt_i32 s3, 1
	v_mul_lo_u32 v8, s18, v2
	s_cselect_b32 s44, -1, 0
	s_add_co_i32 s18, s3, -1
	s_add_co_i32 s45, s3, 1
	s_lshl_b64 s[34:35], s[18:19], 3
	s_delay_alu instid0(SALU_CYCLE_1)
	s_add_nc_u64 s[30:31], s[30:31], s[34:35]
	s_ashr_i32 s34, s27, 31
	s_add_nc_u64 s[30:31], s[30:31], 8
	s_branch .LBB68_16
.LBB68_14:                              ;   in Loop: Header=BB68_16 Depth=1
	s_or_b32 exec_lo, exec_lo, s3
	v_mul_u64_e32 v[10:11], s[20:21], v[4:5]
	s_delay_alu instid0(VALU_DEP_2) | instskip(NEXT) | instid1(VALU_DEP_1)
	v_ashrrev_i32_e32 v13, 31, v12
	v_cmp_eq_u64_e32 vcc_lo, s[4:5], v[12:13]
	v_subrev_co_ci_u32_e64 v7, null, 0, v12, vcc_lo
	s_delay_alu instid0(VALU_DEP_1)
	v_lshl_add_u32 v7, v7, 2, 0
	v_lshl_add_u64 v[10:11], v[10:11], 2, s[16:17]
	global_load_b32 v3, v[10:11], off
	s_wait_loadcnt 0x0
	ds_add_u32 v7, v3
.LBB68_15:                              ;   in Loop: Header=BB68_16 Depth=1
	s_wait_xcnt 0x0
	s_or_b32 exec_lo, exec_lo, s38
	v_add_nc_u64_e32 v[4:5], v[4:5], v[8:9]
	s_delay_alu instid0(VALU_DEP_1) | instskip(SKIP_1) | instid1(SALU_CYCLE_1)
	v_cmp_le_i64_e32 vcc_lo, s[10:11], v[4:5]
	s_or_b32 s46, vcc_lo, s46
	s_and_not1_b32 exec_lo, exec_lo, s46
	s_cbranch_execz .LBB68_28
.LBB68_16:                              ; =>This Loop Header: Depth=1
                                        ;     Child Loop BB68_17 Depth 2
	v_mov_b64_e32 v[10:11], 0
	v_mov_b64_e32 v[12:13], v[4:5]
	;; [unrolled: 1-line block ×3, first 2 shown]
	s_and_not1_b32 vcc_lo, exec_lo, s44
	s_mov_b64 s[36:37], s[30:31]
	s_mov_b32 s35, s45
	s_cbranch_vccnz .LBB68_23
.LBB68_17:                              ;   Parent Loop BB68_16 Depth=1
                                        ; =>  This Inner Loop Header: Depth=2
	s_load_b64 s[38:39], s[36:37], 0x0
                                        ; implicit-def: $vgpr14_vgpr15
	s_mov_b32 s3, exec_lo
	s_wait_kmcnt 0x0
	s_delay_alu instid0(VALU_DEP_1) | instskip(NEXT) | instid1(VALU_DEP_1)
	v_or_b32_e32 v7, s39, v13
	v_cmpx_ne_u64_e32 0, v[6:7]
	s_xor_b32 s47, exec_lo, s3
	s_cbranch_execz .LBB68_19
; %bb.18:                               ;   in Loop: Header=BB68_17 Depth=2
	s_ashr_i32 s40, s39, 31
	v_dual_mov_b32 v19, v6 :: v_dual_ashrrev_i32 v14, 31, v13
	s_mov_b32 s41, s40
	v_mov_b32_e32 v27, v6
	s_add_nc_u64 s[42:43], s[38:39], s[40:41]
	s_delay_alu instid0(VALU_DEP_2) | instskip(SKIP_1) | instid1(SALU_CYCLE_1)
	v_mov_b32_e32 v15, v14
	s_xor_b64 s[42:43], s[42:43], s[40:41]
	s_cvt_f32_u32 s3, s42
	s_cvt_f32_u32 s18, s43
	s_sub_nc_u64 s[50:51], 0, s[42:43]
	v_add_nc_u64_e32 v[16:17], v[12:13], v[14:15]
	v_mov_b32_e32 v23, v6
	s_fmamk_f32 s3, s18, 0x4f800000, s3
	s_delay_alu instid0(SALU_CYCLE_3) | instskip(NEXT) | instid1(VALU_DEP_2)
	v_s_rcp_f32 s3, s3
	v_xor_b32_e32 v18, v16, v14
	s_delay_alu instid0(VALU_DEP_3) | instskip(SKIP_1) | instid1(TRANS32_DEP_1)
	v_xor_b32_e32 v22, v17, v14
	v_xor_b32_e32 v14, s40, v14
	s_mul_f32 s3, s3, 0x5f7ffffc
	s_delay_alu instid0(SALU_CYCLE_3) | instskip(NEXT) | instid1(SALU_CYCLE_3)
	s_mul_f32 s18, s3, 0x2f800000
	s_trunc_f32 s18, s18
	s_delay_alu instid0(SALU_CYCLE_3) | instskip(SKIP_1) | instid1(SALU_CYCLE_2)
	s_fmamk_f32 s3, s18, 0xcf800000, s3
	s_cvt_u32_f32 s49, s18
	s_cvt_u32_f32 s48, s3
	s_delay_alu instid0(SALU_CYCLE_3) | instskip(NEXT) | instid1(SALU_CYCLE_1)
	s_mul_u64 s[52:53], s[50:51], s[48:49]
	s_mul_hi_u32 s55, s48, s53
	s_mul_i32 s54, s48, s53
	s_mul_hi_u32 s18, s48, s52
	s_mul_i32 s41, s49, s52
	s_add_nc_u64 s[54:55], s[18:19], s[54:55]
	s_mul_hi_u32 s3, s49, s52
	s_mul_hi_u32 s56, s49, s53
	s_add_co_u32 s18, s54, s41
	s_add_co_ci_u32 s18, s55, s3
	s_mul_i32 s52, s49, s53
	s_add_co_ci_u32 s53, s56, 0
	s_delay_alu instid0(SALU_CYCLE_1) | instskip(NEXT) | instid1(SALU_CYCLE_1)
	s_add_nc_u64 s[52:53], s[18:19], s[52:53]
	s_add_co_u32 s48, s48, s52
	s_cselect_b32 s3, -1, 0
	s_delay_alu instid0(SALU_CYCLE_1) | instskip(SKIP_1) | instid1(SALU_CYCLE_1)
	s_cmp_lg_u32 s3, 0
	s_add_co_ci_u32 s49, s49, s53
	s_mul_u64 s[50:51], s[50:51], s[48:49]
	s_delay_alu instid0(SALU_CYCLE_1)
	s_mul_hi_u32 s53, s48, s51
	s_mul_i32 s52, s48, s51
	s_mul_hi_u32 s18, s48, s50
	s_mul_i32 s41, s49, s50
	s_add_nc_u64 s[52:53], s[18:19], s[52:53]
	s_mul_hi_u32 s3, s49, s50
	s_mul_hi_u32 s54, s49, s51
	s_add_co_u32 s18, s52, s41
	s_add_co_ci_u32 s18, s53, s3
	s_mul_i32 s50, s49, s51
	s_add_co_ci_u32 s51, s54, 0
	s_delay_alu instid0(SALU_CYCLE_1) | instskip(NEXT) | instid1(SALU_CYCLE_1)
	s_add_nc_u64 s[50:51], s[18:19], s[50:51]
	s_add_co_u32 s48, s48, s50
	s_cselect_b32 s3, -1, 0
	v_mul_hi_u32 v26, v18, s48
	s_cmp_lg_u32 s3, 0
	s_add_co_ci_u32 s18, s49, s51
	s_and_b64 s[50:51], s[48:49], s[28:29]
	v_mul_u64_e32 v[20:21], s[18:19], v[18:19]
	v_mul_u64_e32 v[16:17], s[50:51], v[22:23]
	;; [unrolled: 1-line block ×3, first 2 shown]
	s_delay_alu instid0(VALU_DEP_3) | instskip(NEXT) | instid1(VALU_DEP_1)
	v_add_nc_u64_e32 v[20:21], v[26:27], v[20:21]
	v_add_co_u32 v3, vcc_lo, v20, v16
	s_delay_alu instid0(VALU_DEP_2) | instskip(NEXT) | instid1(VALU_DEP_4)
	v_add_co_ci_u32_e32 v26, vcc_lo, v21, v17, vcc_lo
	v_add_co_ci_u32_e32 v25, vcc_lo, 0, v25, vcc_lo
	s_delay_alu instid0(VALU_DEP_1) | instskip(NEXT) | instid1(VALU_DEP_1)
	v_add_nc_u64_e32 v[16:17], v[26:27], v[24:25]
	v_mul_u64_e32 v[20:21], s[42:43], v[16:17]
	s_delay_alu instid0(VALU_DEP_1) | instskip(NEXT) | instid1(VALU_DEP_2)
	v_sub_nc_u32_e32 v3, v22, v21
	v_sub_co_u32 v7, vcc_lo, v18, v20
	s_delay_alu instid0(VALU_DEP_1) | instskip(NEXT) | instid1(VALU_DEP_3)
	v_sub_co_ci_u32_e64 v22, null, v22, v21, vcc_lo
	v_subrev_co_ci_u32_e64 v3, null, s43, v3, vcc_lo
	s_delay_alu instid0(VALU_DEP_3) | instskip(SKIP_1) | instid1(VALU_DEP_3)
	v_sub_co_u32 v15, s3, v7, s42
	v_add_nc_u64_e32 v[20:21], 1, v[16:17]
	v_subrev_co_ci_u32_e64 v3, null, 0, v3, s3
	s_delay_alu instid0(VALU_DEP_3) | instskip(SKIP_1) | instid1(VALU_DEP_3)
	v_cmp_le_u32_e32 vcc_lo, s42, v15
	v_cndmask_b32_e64 v15, 0, -1, vcc_lo
	v_cmp_le_u32_e32 vcc_lo, s43, v3
	v_cndmask_b32_e64 v18, 0, -1, vcc_lo
	;; [unrolled: 2-line block ×4, first 2 shown]
	v_cmp_eq_u32_e32 vcc_lo, s43, v3
	v_cndmask_b32_e32 v3, v18, v15, vcc_lo
	v_cmp_eq_u32_e32 vcc_lo, s43, v22
	v_add_nc_u64_e32 v[18:19], 2, v[16:17]
	v_dual_mov_b32 v15, v14 :: v_dual_cndmask_b32 v7, v23, v7, vcc_lo
	s_delay_alu instid0(VALU_DEP_4) | instskip(NEXT) | instid1(VALU_DEP_2)
	v_cmp_ne_u32_e32 vcc_lo, 0, v3
	v_cmp_ne_u32_e64 s3, 0, v7
	s_delay_alu instid0(VALU_DEP_4) | instskip(NEXT) | instid1(VALU_DEP_1)
	v_dual_cndmask_b32 v3, v21, v19, vcc_lo :: v_dual_cndmask_b32 v7, v20, v18, vcc_lo
	v_cndmask_b32_e64 v7, v16, v7, s3
	s_delay_alu instid0(VALU_DEP_1) | instskip(NEXT) | instid1(VALU_DEP_1)
	v_dual_cndmask_b32 v3, v17, v3, s3 :: v_dual_bitop2_b32 v16, v7, v14 bitop3:0x14
	v_xor_b32_e32 v17, v3, v14
	s_delay_alu instid0(VALU_DEP_1)
	v_sub_nc_u64_e32 v[14:15], v[16:17], v[14:15]
.LBB68_19:                              ;   in Loop: Header=BB68_17 Depth=2
	s_and_not1_saveexec_b32 s3, s47
	s_cbranch_execz .LBB68_21
; %bb.20:                               ;   in Loop: Header=BB68_17 Depth=2
	v_cvt_f32_u32_e32 v3, s38
	s_sub_co_i32 s18, 0, s38
	s_delay_alu instid0(VALU_DEP_1) | instskip(SKIP_1) | instid1(TRANS32_DEP_1)
	v_rcp_iflag_f32_e32 v3, v3
	v_nop
	v_mul_f32_e32 v3, 0x4f7ffffe, v3
	s_delay_alu instid0(VALU_DEP_1) | instskip(NEXT) | instid1(VALU_DEP_1)
	v_cvt_u32_f32_e32 v3, v3
	v_mul_lo_u32 v7, s18, v3
	s_delay_alu instid0(VALU_DEP_1) | instskip(NEXT) | instid1(VALU_DEP_1)
	v_mul_hi_u32 v7, v3, v7
	v_add_nc_u32_e32 v3, v3, v7
	s_delay_alu instid0(VALU_DEP_1) | instskip(NEXT) | instid1(VALU_DEP_1)
	v_mul_hi_u32 v3, v12, v3
	v_mul_lo_u32 v7, v3, s38
	v_add_nc_u32_e32 v14, 1, v3
	s_delay_alu instid0(VALU_DEP_2) | instskip(NEXT) | instid1(VALU_DEP_1)
	v_sub_nc_u32_e32 v7, v12, v7
	v_subrev_nc_u32_e32 v15, s38, v7
	v_cmp_le_u32_e32 vcc_lo, s38, v7
	s_delay_alu instid0(VALU_DEP_2) | instskip(SKIP_1) | instid1(VALU_DEP_2)
	v_dual_cndmask_b32 v7, v7, v15, vcc_lo :: v_dual_mov_b32 v15, v6
	v_cndmask_b32_e32 v3, v3, v14, vcc_lo
	v_cmp_le_u32_e32 vcc_lo, s38, v7
	s_delay_alu instid0(VALU_DEP_2) | instskip(NEXT) | instid1(VALU_DEP_1)
	v_add_nc_u32_e32 v14, 1, v3
	v_cndmask_b32_e32 v14, v3, v14, vcc_lo
.LBB68_21:                              ;   in Loop: Header=BB68_17 Depth=2
	s_or_b32 exec_lo, exec_lo, s3
	s_delay_alu instid0(VALU_DEP_1)
	v_mul_u64_e32 v[16:17], s[38:39], v[14:15]
	s_load_b64 s[38:39], s[36:37], 0xc8
	s_add_co_i32 s35, s35, -1
	s_wait_xcnt 0x0
	s_add_nc_u64 s[36:37], s[36:37], -8
	s_cmp_gt_u32 s35, 2
	s_delay_alu instid0(VALU_DEP_1) | instskip(SKIP_1) | instid1(VALU_DEP_1)
	v_sub_nc_u64_e32 v[12:13], v[12:13], v[16:17]
	s_wait_kmcnt 0x0
	v_mad_nc_u64_u32 v[10:11], s38, v12, v[10:11]
	s_delay_alu instid0(VALU_DEP_1) | instskip(NEXT) | instid1(VALU_DEP_1)
	v_mad_u32 v3, s39, v12, v11
	v_mad_u32 v11, s38, v13, v3
	s_cbranch_scc0 .LBB68_23
; %bb.22:                               ;   in Loop: Header=BB68_17 Depth=2
	v_mov_b64_e32 v[12:13], v[14:15]
	s_branch .LBB68_17
.LBB68_23:                              ;   in Loop: Header=BB68_16 Depth=1
	s_delay_alu instid0(VALU_DEP_1) | instskip(NEXT) | instid1(VALU_DEP_1)
	v_mul_u64_e32 v[12:13], s[22:23], v[14:15]
	v_lshl_add_u64 v[12:13], v[12:13], 2, s[24:25]
	s_delay_alu instid0(VALU_DEP_1) | instskip(SKIP_4) | instid1(VALU_DEP_1)
	v_lshl_add_u64 v[10:11], v[10:11], 2, v[12:13]
	global_load_b32 v10, v[10:11], off
	s_wait_loadcnt 0x0
	s_wait_xcnt 0x0
	v_ashrrev_i32_e32 v11, 31, v10
	v_cmp_le_i64_e32 vcc_lo, s[6:7], v[10:11]
	v_cmp_ge_i64_e64 s3, s[8:9], v[10:11]
	s_and_b32 s3, vcc_lo, s3
	s_delay_alu instid0(SALU_CYCLE_1)
	s_and_saveexec_b32 s38, s3
	s_cbranch_execz .LBB68_15
; %bb.24:                               ;   in Loop: Header=BB68_16 Depth=1
	v_sub_nc_u64_e64 v[10:11], v[10:11], s[6:7]
                                        ; implicit-def: $vgpr12_vgpr13
	s_mov_b32 s3, exec_lo
	s_delay_alu instid0(VALU_DEP_1) | instskip(NEXT) | instid1(VALU_DEP_1)
	v_mul_u64_e32 v[10:11], s[4:5], v[10:11]
	v_or_b32_e32 v7, s27, v11
	s_delay_alu instid0(VALU_DEP_1)
	v_cmpx_ne_u64_e32 0, v[6:7]
	s_xor_b32 s39, exec_lo, s3
	s_cbranch_execz .LBB68_26
; %bb.25:                               ;   in Loop: Header=BB68_16 Depth=1
	s_mov_b32 s35, s34
	v_dual_mov_b32 v15, v6 :: v_dual_ashrrev_i32 v12, 31, v11
	s_add_nc_u64 s[36:37], s[26:27], s[34:35]
	v_mov_b32_e32 v23, v6
	s_xor_b64 s[36:37], s[36:37], s[34:35]
	s_delay_alu instid0(VALU_DEP_2) | instskip(SKIP_3) | instid1(VALU_DEP_1)
	v_mov_b32_e32 v13, v12
	s_cvt_f32_u32 s3, s36
	s_cvt_f32_u32 s18, s37
	s_sub_nc_u64 s[42:43], 0, s[36:37]
	v_add_nc_u64_e32 v[10:11], v[10:11], v[12:13]
	s_delay_alu instid0(SALU_CYCLE_1) | instskip(SKIP_1) | instid1(SALU_CYCLE_2)
	s_fmamk_f32 s3, s18, 0x4f800000, s3
	v_mov_b32_e32 v19, v6
	v_s_rcp_f32 s3, s3
	s_delay_alu instid0(VALU_DEP_2) | instskip(NEXT) | instid1(VALU_DEP_3)
	v_xor_b32_e32 v14, v10, v12
	v_xor_b32_e32 v18, v11, v12
	;; [unrolled: 1-line block ×3, first 2 shown]
	s_delay_alu instid0(TRANS32_DEP_1) | instskip(NEXT) | instid1(SALU_CYCLE_3)
	s_mul_f32 s3, s3, 0x5f7ffffc
	s_mul_f32 s18, s3, 0x2f800000
	s_delay_alu instid0(SALU_CYCLE_3) | instskip(NEXT) | instid1(SALU_CYCLE_3)
	s_trunc_f32 s18, s18
	s_fmamk_f32 s3, s18, 0xcf800000, s3
	s_cvt_u32_f32 s41, s18
	s_delay_alu instid0(SALU_CYCLE_2) | instskip(NEXT) | instid1(SALU_CYCLE_3)
	s_cvt_u32_f32 s40, s3
	s_mul_u64 s[48:49], s[42:43], s[40:41]
	s_delay_alu instid0(SALU_CYCLE_1)
	s_mul_hi_u32 s51, s40, s49
	s_mul_i32 s50, s40, s49
	s_mul_hi_u32 s18, s40, s48
	s_mul_i32 s35, s41, s48
	s_add_nc_u64 s[50:51], s[18:19], s[50:51]
	s_mul_hi_u32 s3, s41, s48
	s_mul_hi_u32 s47, s41, s49
	s_add_co_u32 s18, s50, s35
	s_add_co_ci_u32 s18, s51, s3
	s_mul_i32 s48, s41, s49
	s_add_co_ci_u32 s49, s47, 0
	s_delay_alu instid0(SALU_CYCLE_1) | instskip(NEXT) | instid1(SALU_CYCLE_1)
	s_add_nc_u64 s[48:49], s[18:19], s[48:49]
	s_add_co_u32 s40, s40, s48
	s_cselect_b32 s3, -1, 0
	s_delay_alu instid0(SALU_CYCLE_1) | instskip(SKIP_1) | instid1(SALU_CYCLE_1)
	s_cmp_lg_u32 s3, 0
	s_add_co_ci_u32 s41, s41, s49
	s_mul_u64 s[42:43], s[42:43], s[40:41]
	s_delay_alu instid0(SALU_CYCLE_1)
	s_mul_hi_u32 s49, s40, s43
	s_mul_i32 s48, s40, s43
	s_mul_hi_u32 s18, s40, s42
	s_mul_i32 s35, s41, s42
	s_add_nc_u64 s[48:49], s[18:19], s[48:49]
	s_mul_hi_u32 s3, s41, s42
	s_mul_hi_u32 s47, s41, s43
	s_add_co_u32 s18, s48, s35
	s_add_co_ci_u32 s18, s49, s3
	s_mul_i32 s42, s41, s43
	s_add_co_ci_u32 s43, s47, 0
	s_delay_alu instid0(SALU_CYCLE_1) | instskip(NEXT) | instid1(SALU_CYCLE_1)
	s_add_nc_u64 s[42:43], s[18:19], s[42:43]
	s_add_co_u32 s40, s40, s42
	s_cselect_b32 s3, -1, 0
	v_mul_hi_u32 v22, v14, s40
	s_cmp_lg_u32 s3, 0
	s_add_co_ci_u32 s18, s41, s43
	s_and_b64 s[42:43], s[40:41], s[28:29]
	v_mul_u64_e32 v[16:17], s[18:19], v[14:15]
	v_mul_u64_e32 v[10:11], s[42:43], v[18:19]
	;; [unrolled: 1-line block ×3, first 2 shown]
	s_delay_alu instid0(VALU_DEP_3) | instskip(NEXT) | instid1(VALU_DEP_1)
	v_add_nc_u64_e32 v[16:17], v[22:23], v[16:17]
	v_add_co_u32 v3, vcc_lo, v16, v10
	s_delay_alu instid0(VALU_DEP_2) | instskip(NEXT) | instid1(VALU_DEP_4)
	v_add_co_ci_u32_e32 v22, vcc_lo, v17, v11, vcc_lo
	v_add_co_ci_u32_e32 v21, vcc_lo, 0, v21, vcc_lo
	s_delay_alu instid0(VALU_DEP_1) | instskip(NEXT) | instid1(VALU_DEP_1)
	v_add_nc_u64_e32 v[10:11], v[22:23], v[20:21]
	v_mul_u64_e32 v[16:17], s[36:37], v[10:11]
	s_delay_alu instid0(VALU_DEP_1) | instskip(NEXT) | instid1(VALU_DEP_2)
	v_sub_nc_u32_e32 v3, v18, v17
	v_sub_co_u32 v7, vcc_lo, v14, v16
	s_delay_alu instid0(VALU_DEP_1) | instskip(NEXT) | instid1(VALU_DEP_3)
	v_sub_co_ci_u32_e64 v18, null, v18, v17, vcc_lo
	v_subrev_co_ci_u32_e64 v3, null, s37, v3, vcc_lo
	s_delay_alu instid0(VALU_DEP_3) | instskip(SKIP_1) | instid1(VALU_DEP_3)
	v_sub_co_u32 v13, s3, v7, s36
	v_add_nc_u64_e32 v[16:17], 1, v[10:11]
	v_subrev_co_ci_u32_e64 v3, null, 0, v3, s3
	s_delay_alu instid0(VALU_DEP_3) | instskip(SKIP_1) | instid1(VALU_DEP_3)
	v_cmp_le_u32_e32 vcc_lo, s36, v13
	v_cndmask_b32_e64 v13, 0, -1, vcc_lo
	v_cmp_le_u32_e32 vcc_lo, s37, v3
	v_cndmask_b32_e64 v14, 0, -1, vcc_lo
	;; [unrolled: 2-line block ×4, first 2 shown]
	v_cmp_eq_u32_e32 vcc_lo, s37, v3
	v_cndmask_b32_e32 v3, v14, v13, vcc_lo
	v_cmp_eq_u32_e32 vcc_lo, s37, v18
	v_add_nc_u64_e32 v[14:15], 2, v[10:11]
	v_dual_mov_b32 v13, v12 :: v_dual_cndmask_b32 v7, v19, v7, vcc_lo
	s_delay_alu instid0(VALU_DEP_4) | instskip(NEXT) | instid1(VALU_DEP_2)
	v_cmp_ne_u32_e32 vcc_lo, 0, v3
	v_cmp_ne_u32_e64 s3, 0, v7
	s_delay_alu instid0(VALU_DEP_4) | instskip(NEXT) | instid1(VALU_DEP_1)
	v_dual_cndmask_b32 v3, v17, v15, vcc_lo :: v_dual_cndmask_b32 v7, v16, v14, vcc_lo
	v_cndmask_b32_e64 v3, v11, v3, s3
	s_delay_alu instid0(VALU_DEP_1) | instskip(NEXT) | instid1(VALU_DEP_1)
	v_dual_cndmask_b32 v7, v10, v7, s3 :: v_dual_bitop2_b32 v11, v3, v12 bitop3:0x14
	v_xor_b32_e32 v10, v7, v12
	s_delay_alu instid0(VALU_DEP_1)
	v_sub_nc_u64_e32 v[12:13], v[10:11], v[12:13]
                                        ; implicit-def: $vgpr10_vgpr11
.LBB68_26:                              ;   in Loop: Header=BB68_16 Depth=1
	s_and_not1_saveexec_b32 s3, s39
	s_cbranch_execz .LBB68_14
; %bb.27:                               ;   in Loop: Header=BB68_16 Depth=1
	v_cvt_f32_u32_e32 v3, s26
	s_sub_co_i32 s18, 0, s26
	s_delay_alu instid0(VALU_DEP_1) | instskip(SKIP_1) | instid1(TRANS32_DEP_1)
	v_rcp_iflag_f32_e32 v3, v3
	v_nop
	v_mul_f32_e32 v3, 0x4f7ffffe, v3
	s_delay_alu instid0(VALU_DEP_1) | instskip(NEXT) | instid1(VALU_DEP_1)
	v_cvt_u32_f32_e32 v3, v3
	v_mul_lo_u32 v7, s18, v3
	s_delay_alu instid0(VALU_DEP_1) | instskip(NEXT) | instid1(VALU_DEP_1)
	v_mul_hi_u32 v7, v3, v7
	v_add_nc_u32_e32 v3, v3, v7
	s_delay_alu instid0(VALU_DEP_1) | instskip(NEXT) | instid1(VALU_DEP_1)
	v_mul_hi_u32 v3, v10, v3
	v_mul_lo_u32 v7, v3, s26
	s_delay_alu instid0(VALU_DEP_1) | instskip(SKIP_1) | instid1(VALU_DEP_2)
	v_sub_nc_u32_e32 v7, v10, v7
	v_add_nc_u32_e32 v10, 1, v3
	v_subrev_nc_u32_e32 v11, s26, v7
	v_cmp_le_u32_e32 vcc_lo, s26, v7
	s_delay_alu instid0(VALU_DEP_2) | instskip(NEXT) | instid1(VALU_DEP_4)
	v_cndmask_b32_e32 v7, v7, v11, vcc_lo
	v_cndmask_b32_e32 v3, v3, v10, vcc_lo
	s_delay_alu instid0(VALU_DEP_2) | instskip(NEXT) | instid1(VALU_DEP_2)
	v_cmp_le_u32_e32 vcc_lo, s26, v7
	v_add_nc_u32_e32 v10, 1, v3
	s_delay_alu instid0(VALU_DEP_1)
	v_cndmask_b32_e32 v12, v3, v10, vcc_lo
	s_branch .LBB68_14
.LBB68_28:
	s_or_b32 exec_lo, exec_lo, s33
	s_load_b64 s[0:1], s[0:1], 0xd0
; %bb.29:
	s_wait_dscnt 0x0
	s_barrier_signal -1
	s_barrier_wait -1
	s_and_saveexec_b32 s3, s2
	s_cbranch_execz .LBB68_32
; %bb.30:
	v_dual_mov_b32 v3, 0 :: v_dual_lshlrev_b32 v9, 2, v2
	s_wait_kmcnt 0x0
	v_mul_u64_e32 v[4:5], s[0:1], v[0:1]
	v_lshl_add_u32 v8, v0, 2, 0
	s_delay_alu instid0(VALU_DEP_3) | instskip(SKIP_1) | instid1(VALU_DEP_3)
	v_mul_u64_e32 v[6:7], s[0:1], v[2:3]
	s_mov_b32 s0, 0
	v_lshl_add_u64 v[4:5], v[4:5], 2, s[12:13]
	s_delay_alu instid0(VALU_DEP_2)
	v_lshlrev_b64_e32 v[6:7], 2, v[6:7]
.LBB68_31:                              ; =>This Inner Loop Header: Depth=1
	ds_load_b32 v10, v8
	v_add_nc_u64_e32 v[0:1], v[0:1], v[2:3]
	v_add_nc_u32_e32 v8, v8, v9
	s_delay_alu instid0(VALU_DEP_2)
	v_cmp_le_i64_e32 vcc_lo, s[14:15], v[0:1]
	s_or_b32 s0, vcc_lo, s0
	s_wait_dscnt 0x0
	global_atomic_add_u32 v[4:5], v10, off scope:SCOPE_DEV
	s_wait_xcnt 0x0
	v_add_nc_u64_e32 v[4:5], v[4:5], v[6:7]
	s_and_not1_b32 exec_lo, exec_lo, s0
	s_cbranch_execnz .LBB68_31
.LBB68_32:
	s_endpgm
	.section	.rodata,"a",@progbits
	.p2align	6, 0x0
	.amdhsa_kernel _ZN2at4cuda17kernelHistogram1DIiilLi1ELi2ELin1ELNS0_23CUDAHistogramMemoryTypeE0EZNS0_21CUDA_tensor_histogramIiiLb0EEEbNS_6TensorES4_S4_lNS_14AccumulateTypeIT0_Lb1EE4typeES8_NS0_13TensorArgTypeES9_S9_EUllE_EEvNS0_6detail10TensorInfoIT_T1_EESF_NSC_IKS6_SE_EElS8_S8_SE_T6_
		.amdhsa_group_segment_fixed_size 0
		.amdhsa_private_segment_fixed_size 0
		.amdhsa_kernarg_size 1952
		.amdhsa_user_sgpr_count 2
		.amdhsa_user_sgpr_dispatch_ptr 0
		.amdhsa_user_sgpr_queue_ptr 0
		.amdhsa_user_sgpr_kernarg_segment_ptr 1
		.amdhsa_user_sgpr_dispatch_id 0
		.amdhsa_user_sgpr_kernarg_preload_length 0
		.amdhsa_user_sgpr_kernarg_preload_offset 0
		.amdhsa_user_sgpr_private_segment_size 0
		.amdhsa_wavefront_size32 1
		.amdhsa_uses_dynamic_stack 0
		.amdhsa_enable_private_segment 0
		.amdhsa_system_sgpr_workgroup_id_x 1
		.amdhsa_system_sgpr_workgroup_id_y 0
		.amdhsa_system_sgpr_workgroup_id_z 0
		.amdhsa_system_sgpr_workgroup_info 0
		.amdhsa_system_vgpr_workitem_id 0
		.amdhsa_next_free_vgpr 28
		.amdhsa_next_free_sgpr 57
		.amdhsa_named_barrier_count 0
		.amdhsa_reserve_vcc 1
		.amdhsa_float_round_mode_32 0
		.amdhsa_float_round_mode_16_64 0
		.amdhsa_float_denorm_mode_32 3
		.amdhsa_float_denorm_mode_16_64 3
		.amdhsa_fp16_overflow 0
		.amdhsa_memory_ordered 1
		.amdhsa_forward_progress 1
		.amdhsa_inst_pref_size 20
		.amdhsa_round_robin_scheduling 0
		.amdhsa_exception_fp_ieee_invalid_op 0
		.amdhsa_exception_fp_denorm_src 0
		.amdhsa_exception_fp_ieee_div_zero 0
		.amdhsa_exception_fp_ieee_overflow 0
		.amdhsa_exception_fp_ieee_underflow 0
		.amdhsa_exception_fp_ieee_inexact 0
		.amdhsa_exception_int_div_zero 0
	.end_amdhsa_kernel
	.section	.text._ZN2at4cuda17kernelHistogram1DIiilLi1ELi2ELin1ELNS0_23CUDAHistogramMemoryTypeE0EZNS0_21CUDA_tensor_histogramIiiLb0EEEbNS_6TensorES4_S4_lNS_14AccumulateTypeIT0_Lb1EE4typeES8_NS0_13TensorArgTypeES9_S9_EUllE_EEvNS0_6detail10TensorInfoIT_T1_EESF_NSC_IKS6_SE_EElS8_S8_SE_T6_,"axG",@progbits,_ZN2at4cuda17kernelHistogram1DIiilLi1ELi2ELin1ELNS0_23CUDAHistogramMemoryTypeE0EZNS0_21CUDA_tensor_histogramIiiLb0EEEbNS_6TensorES4_S4_lNS_14AccumulateTypeIT0_Lb1EE4typeES8_NS0_13TensorArgTypeES9_S9_EUllE_EEvNS0_6detail10TensorInfoIT_T1_EESF_NSC_IKS6_SE_EElS8_S8_SE_T6_,comdat
.Lfunc_end68:
	.size	_ZN2at4cuda17kernelHistogram1DIiilLi1ELi2ELin1ELNS0_23CUDAHistogramMemoryTypeE0EZNS0_21CUDA_tensor_histogramIiiLb0EEEbNS_6TensorES4_S4_lNS_14AccumulateTypeIT0_Lb1EE4typeES8_NS0_13TensorArgTypeES9_S9_EUllE_EEvNS0_6detail10TensorInfoIT_T1_EESF_NSC_IKS6_SE_EElS8_S8_SE_T6_, .Lfunc_end68-_ZN2at4cuda17kernelHistogram1DIiilLi1ELi2ELin1ELNS0_23CUDAHistogramMemoryTypeE0EZNS0_21CUDA_tensor_histogramIiiLb0EEEbNS_6TensorES4_S4_lNS_14AccumulateTypeIT0_Lb1EE4typeES8_NS0_13TensorArgTypeES9_S9_EUllE_EEvNS0_6detail10TensorInfoIT_T1_EESF_NSC_IKS6_SE_EElS8_S8_SE_T6_
                                        ; -- End function
	.set _ZN2at4cuda17kernelHistogram1DIiilLi1ELi2ELin1ELNS0_23CUDAHistogramMemoryTypeE0EZNS0_21CUDA_tensor_histogramIiiLb0EEEbNS_6TensorES4_S4_lNS_14AccumulateTypeIT0_Lb1EE4typeES8_NS0_13TensorArgTypeES9_S9_EUllE_EEvNS0_6detail10TensorInfoIT_T1_EESF_NSC_IKS6_SE_EElS8_S8_SE_T6_.num_vgpr, 28
	.set _ZN2at4cuda17kernelHistogram1DIiilLi1ELi2ELin1ELNS0_23CUDAHistogramMemoryTypeE0EZNS0_21CUDA_tensor_histogramIiiLb0EEEbNS_6TensorES4_S4_lNS_14AccumulateTypeIT0_Lb1EE4typeES8_NS0_13TensorArgTypeES9_S9_EUllE_EEvNS0_6detail10TensorInfoIT_T1_EESF_NSC_IKS6_SE_EElS8_S8_SE_T6_.num_agpr, 0
	.set _ZN2at4cuda17kernelHistogram1DIiilLi1ELi2ELin1ELNS0_23CUDAHistogramMemoryTypeE0EZNS0_21CUDA_tensor_histogramIiiLb0EEEbNS_6TensorES4_S4_lNS_14AccumulateTypeIT0_Lb1EE4typeES8_NS0_13TensorArgTypeES9_S9_EUllE_EEvNS0_6detail10TensorInfoIT_T1_EESF_NSC_IKS6_SE_EElS8_S8_SE_T6_.numbered_sgpr, 57
	.set _ZN2at4cuda17kernelHistogram1DIiilLi1ELi2ELin1ELNS0_23CUDAHistogramMemoryTypeE0EZNS0_21CUDA_tensor_histogramIiiLb0EEEbNS_6TensorES4_S4_lNS_14AccumulateTypeIT0_Lb1EE4typeES8_NS0_13TensorArgTypeES9_S9_EUllE_EEvNS0_6detail10TensorInfoIT_T1_EESF_NSC_IKS6_SE_EElS8_S8_SE_T6_.num_named_barrier, 0
	.set _ZN2at4cuda17kernelHistogram1DIiilLi1ELi2ELin1ELNS0_23CUDAHistogramMemoryTypeE0EZNS0_21CUDA_tensor_histogramIiiLb0EEEbNS_6TensorES4_S4_lNS_14AccumulateTypeIT0_Lb1EE4typeES8_NS0_13TensorArgTypeES9_S9_EUllE_EEvNS0_6detail10TensorInfoIT_T1_EESF_NSC_IKS6_SE_EElS8_S8_SE_T6_.private_seg_size, 0
	.set _ZN2at4cuda17kernelHistogram1DIiilLi1ELi2ELin1ELNS0_23CUDAHistogramMemoryTypeE0EZNS0_21CUDA_tensor_histogramIiiLb0EEEbNS_6TensorES4_S4_lNS_14AccumulateTypeIT0_Lb1EE4typeES8_NS0_13TensorArgTypeES9_S9_EUllE_EEvNS0_6detail10TensorInfoIT_T1_EESF_NSC_IKS6_SE_EElS8_S8_SE_T6_.uses_vcc, 1
	.set _ZN2at4cuda17kernelHistogram1DIiilLi1ELi2ELin1ELNS0_23CUDAHistogramMemoryTypeE0EZNS0_21CUDA_tensor_histogramIiiLb0EEEbNS_6TensorES4_S4_lNS_14AccumulateTypeIT0_Lb1EE4typeES8_NS0_13TensorArgTypeES9_S9_EUllE_EEvNS0_6detail10TensorInfoIT_T1_EESF_NSC_IKS6_SE_EElS8_S8_SE_T6_.uses_flat_scratch, 0
	.set _ZN2at4cuda17kernelHistogram1DIiilLi1ELi2ELin1ELNS0_23CUDAHistogramMemoryTypeE0EZNS0_21CUDA_tensor_histogramIiiLb0EEEbNS_6TensorES4_S4_lNS_14AccumulateTypeIT0_Lb1EE4typeES8_NS0_13TensorArgTypeES9_S9_EUllE_EEvNS0_6detail10TensorInfoIT_T1_EESF_NSC_IKS6_SE_EElS8_S8_SE_T6_.has_dyn_sized_stack, 0
	.set _ZN2at4cuda17kernelHistogram1DIiilLi1ELi2ELin1ELNS0_23CUDAHistogramMemoryTypeE0EZNS0_21CUDA_tensor_histogramIiiLb0EEEbNS_6TensorES4_S4_lNS_14AccumulateTypeIT0_Lb1EE4typeES8_NS0_13TensorArgTypeES9_S9_EUllE_EEvNS0_6detail10TensorInfoIT_T1_EESF_NSC_IKS6_SE_EElS8_S8_SE_T6_.has_recursion, 0
	.set _ZN2at4cuda17kernelHistogram1DIiilLi1ELi2ELin1ELNS0_23CUDAHistogramMemoryTypeE0EZNS0_21CUDA_tensor_histogramIiiLb0EEEbNS_6TensorES4_S4_lNS_14AccumulateTypeIT0_Lb1EE4typeES8_NS0_13TensorArgTypeES9_S9_EUllE_EEvNS0_6detail10TensorInfoIT_T1_EESF_NSC_IKS6_SE_EElS8_S8_SE_T6_.has_indirect_call, 0
	.section	.AMDGPU.csdata,"",@progbits
; Kernel info:
; codeLenInByte = 2536
; TotalNumSgprs: 59
; NumVgprs: 28
; ScratchSize: 0
; MemoryBound: 0
; FloatMode: 240
; IeeeMode: 1
; LDSByteSize: 0 bytes/workgroup (compile time only)
; SGPRBlocks: 0
; VGPRBlocks: 1
; NumSGPRsForWavesPerEU: 59
; NumVGPRsForWavesPerEU: 28
; NamedBarCnt: 0
; Occupancy: 16
; WaveLimiterHint : 1
; COMPUTE_PGM_RSRC2:SCRATCH_EN: 0
; COMPUTE_PGM_RSRC2:USER_SGPR: 2
; COMPUTE_PGM_RSRC2:TRAP_HANDLER: 0
; COMPUTE_PGM_RSRC2:TGID_X_EN: 1
; COMPUTE_PGM_RSRC2:TGID_Y_EN: 0
; COMPUTE_PGM_RSRC2:TGID_Z_EN: 0
; COMPUTE_PGM_RSRC2:TIDIG_COMP_CNT: 0
	.section	.text._ZN2at4cuda17kernelHistogram1DIiilLi1ELi2ELin1ELNS0_23CUDAHistogramMemoryTypeE1EZNS0_21CUDA_tensor_histogramIiiLb0EEEbNS_6TensorES4_S4_lNS_14AccumulateTypeIT0_Lb1EE4typeES8_NS0_13TensorArgTypeES9_S9_EUllE_EEvNS0_6detail10TensorInfoIT_T1_EESF_NSC_IKS6_SE_EElS8_S8_SE_T6_,"axG",@progbits,_ZN2at4cuda17kernelHistogram1DIiilLi1ELi2ELin1ELNS0_23CUDAHistogramMemoryTypeE1EZNS0_21CUDA_tensor_histogramIiiLb0EEEbNS_6TensorES4_S4_lNS_14AccumulateTypeIT0_Lb1EE4typeES8_NS0_13TensorArgTypeES9_S9_EUllE_EEvNS0_6detail10TensorInfoIT_T1_EESF_NSC_IKS6_SE_EElS8_S8_SE_T6_,comdat
	.protected	_ZN2at4cuda17kernelHistogram1DIiilLi1ELi2ELin1ELNS0_23CUDAHistogramMemoryTypeE1EZNS0_21CUDA_tensor_histogramIiiLb0EEEbNS_6TensorES4_S4_lNS_14AccumulateTypeIT0_Lb1EE4typeES8_NS0_13TensorArgTypeES9_S9_EUllE_EEvNS0_6detail10TensorInfoIT_T1_EESF_NSC_IKS6_SE_EElS8_S8_SE_T6_ ; -- Begin function _ZN2at4cuda17kernelHistogram1DIiilLi1ELi2ELin1ELNS0_23CUDAHistogramMemoryTypeE1EZNS0_21CUDA_tensor_histogramIiiLb0EEEbNS_6TensorES4_S4_lNS_14AccumulateTypeIT0_Lb1EE4typeES8_NS0_13TensorArgTypeES9_S9_EUllE_EEvNS0_6detail10TensorInfoIT_T1_EESF_NSC_IKS6_SE_EElS8_S8_SE_T6_
	.globl	_ZN2at4cuda17kernelHistogram1DIiilLi1ELi2ELin1ELNS0_23CUDAHistogramMemoryTypeE1EZNS0_21CUDA_tensor_histogramIiiLb0EEEbNS_6TensorES4_S4_lNS_14AccumulateTypeIT0_Lb1EE4typeES8_NS0_13TensorArgTypeES9_S9_EUllE_EEvNS0_6detail10TensorInfoIT_T1_EESF_NSC_IKS6_SE_EElS8_S8_SE_T6_
	.p2align	8
	.type	_ZN2at4cuda17kernelHistogram1DIiilLi1ELi2ELin1ELNS0_23CUDAHistogramMemoryTypeE1EZNS0_21CUDA_tensor_histogramIiiLb0EEEbNS_6TensorES4_S4_lNS_14AccumulateTypeIT0_Lb1EE4typeES8_NS0_13TensorArgTypeES9_S9_EUllE_EEvNS0_6detail10TensorInfoIT_T1_EESF_NSC_IKS6_SE_EElS8_S8_SE_T6_,@function
_ZN2at4cuda17kernelHistogram1DIiilLi1ELi2ELin1ELNS0_23CUDAHistogramMemoryTypeE1EZNS0_21CUDA_tensor_histogramIiiLb0EEEbNS_6TensorES4_S4_lNS_14AccumulateTypeIT0_Lb1EE4typeES8_NS0_13TensorArgTypeES9_S9_EUllE_EEvNS0_6detail10TensorInfoIT_T1_EESF_NSC_IKS6_SE_EElS8_S8_SE_T6_: ; @_ZN2at4cuda17kernelHistogram1DIiilLi1ELi2ELin1ELNS0_23CUDAHistogramMemoryTypeE1EZNS0_21CUDA_tensor_histogramIiiLb0EEEbNS_6TensorES4_S4_lNS_14AccumulateTypeIT0_Lb1EE4typeES8_NS0_13TensorArgTypeES9_S9_EUllE_EEvNS0_6detail10TensorInfoIT_T1_EESF_NSC_IKS6_SE_EElS8_S8_SE_T6_
; %bb.0:
	s_load_b32 s2, s[0:1], 0x6ac
	s_bfe_u32 s12, ttmp6, 0x4000c
	s_load_b256 s[4:11], s[0:1], 0x4e0
	s_add_co_i32 s12, s12, 1
	s_and_b32 s3, ttmp6, 15
	s_mul_i32 s12, ttmp9, s12
	s_getreg_b32 s13, hwreg(HW_REG_IB_STS2, 6, 4)
	s_add_co_i32 s3, s3, s12
	v_mov_b32_e32 v2, 0
	s_mov_b32 s12, exec_lo
	s_delay_alu instid0(VALU_DEP_1) | instskip(SKIP_4) | instid1(SALU_CYCLE_1)
	v_mov_b32_e32 v1, v2
	s_wait_kmcnt 0x0
	s_and_b32 s2, s2, 0xffff
	s_cmp_eq_u32 s13, 0
	s_cselect_b32 s3, ttmp9, s3
	v_mad_u32 v0, s3, s2, v0
	s_mov_b32 s3, 0
	s_delay_alu instid0(VALU_DEP_1)
	v_cmpx_gt_i64_e64 s[10:11], v[0:1]
	s_cbranch_execz .LBB69_16
; %bb.1:
	s_clause 0x1
	s_load_b64 s[12:13], s[0:1], 0x5d0
	s_load_b32 s33, s[0:1], 0x4d8
	s_add_nc_u64 s[24:25], s[0:1], 0x6a0
	s_load_b32 s26, s[24:25], 0x0
	s_clause 0x4
	s_load_b64 s[14:15], s[0:1], 0x500
	s_load_b64 s[16:17], s[0:1], 0x0
	;; [unrolled: 1-line block ×5, first 2 shown]
	s_add_nc_u64 s[30:31], s[0:1], 0x340
	s_wait_xcnt 0x0
	s_sub_nc_u64 s[24:25], s[8:9], s[6:7]
	s_mov_b32 s27, s3
	s_mov_b64 s[28:29], 0xffffffff
	s_mov_b32 s44, 0
	s_wait_kmcnt 0x0
	s_mul_i32 s26, s26, s2
	s_cmp_gt_i32 s33, 1
	s_cselect_b32 s1, -1, 0
	s_add_co_i32 s2, s33, -1
	s_add_co_i32 s33, s33, 1
	s_lshl_b64 s[34:35], s[2:3], 3
	s_delay_alu instid0(SALU_CYCLE_1)
	s_add_nc_u64 s[34:35], s[30:31], s[34:35]
	s_ashr_i32 s30, s25, 31
	s_add_nc_u64 s[34:35], s[34:35], 8
	s_branch .LBB69_4
.LBB69_2:                               ;   in Loop: Header=BB69_4 Depth=1
	s_or_b32 exec_lo, exec_lo, s0
	v_mul_u64_e32 v[4:5], s[12:13], v[0:1]
	s_delay_alu instid0(VALU_DEP_2) | instskip(NEXT) | instid1(VALU_DEP_2)
	v_ashrrev_i32_e32 v7, 31, v6
	v_lshl_add_u64 v[4:5], v[4:5], 2, s[14:15]
	global_load_b32 v3, v[4:5], off
	s_wait_xcnt 0x0
	v_mov_b32_e32 v5, s3
	v_cmp_eq_u64_e32 vcc_lo, s[4:5], v[6:7]
	v_cndmask_b32_e64 v4, 0, 1, vcc_lo
	s_delay_alu instid0(VALU_DEP_1) | instskip(NEXT) | instid1(VALU_DEP_1)
	v_sub_nc_u64_e32 v[4:5], v[6:7], v[4:5]
	v_mul_u64_e32 v[4:5], s[18:19], v[4:5]
	s_delay_alu instid0(VALU_DEP_1)
	v_lshl_add_u64 v[4:5], v[4:5], 2, s[16:17]
	s_wait_loadcnt 0x0
	global_atomic_add_u32 v[4:5], v3, off scope:SCOPE_DEV
.LBB69_3:                               ;   in Loop: Header=BB69_4 Depth=1
	s_wait_xcnt 0x0
	s_or_b32 exec_lo, exec_lo, s38
	v_add_nc_u64_e32 v[0:1], s[26:27], v[0:1]
	s_delay_alu instid0(VALU_DEP_1) | instskip(SKIP_1) | instid1(SALU_CYCLE_1)
	v_cmp_le_i64_e32 vcc_lo, s[10:11], v[0:1]
	s_or_b32 s44, vcc_lo, s44
	s_and_not1_b32 exec_lo, exec_lo, s44
	s_cbranch_execz .LBB69_16
.LBB69_4:                               ; =>This Loop Header: Depth=1
                                        ;     Child Loop BB69_5 Depth 2
	v_mov_b64_e32 v[4:5], 0
	v_mov_b64_e32 v[6:7], v[0:1]
	;; [unrolled: 1-line block ×3, first 2 shown]
	s_and_not1_b32 vcc_lo, exec_lo, s1
	s_mov_b64 s[36:37], s[34:35]
	s_mov_b32 s31, s33
	s_cbranch_vccnz .LBB69_11
.LBB69_5:                               ;   Parent Loop BB69_4 Depth=1
                                        ; =>  This Inner Loop Header: Depth=2
	s_load_b64 s[38:39], s[36:37], 0x0
                                        ; implicit-def: $vgpr8_vgpr9
	s_mov_b32 s0, exec_lo
	s_wait_kmcnt 0x0
	s_delay_alu instid0(VALU_DEP_1) | instskip(NEXT) | instid1(VALU_DEP_1)
	v_or_b32_e32 v3, s39, v7
	v_cmpx_ne_u64_e32 0, v[2:3]
	s_xor_b32 s45, exec_lo, s0
	s_cbranch_execz .LBB69_7
; %bb.6:                                ;   in Loop: Header=BB69_5 Depth=2
	s_ashr_i32 s40, s39, 31
	v_dual_mov_b32 v13, v2 :: v_dual_ashrrev_i32 v8, 31, v7
	s_mov_b32 s41, s40
	s_delay_alu instid0(SALU_CYCLE_1) | instskip(NEXT) | instid1(VALU_DEP_1)
	s_add_nc_u64 s[42:43], s[38:39], s[40:41]
	v_mov_b32_e32 v9, v8
	s_xor_b64 s[42:43], s[42:43], s[40:41]
	s_delay_alu instid0(SALU_CYCLE_1)
	s_cvt_f32_u32 s0, s42
	s_cvt_f32_u32 s2, s43
	s_sub_nc_u64 s[48:49], 0, s[42:43]
	v_add_nc_u64_e32 v[10:11], v[6:7], v[8:9]
	v_mov_b32_e32 v17, v2
	s_fmamk_f32 s0, s2, 0x4f800000, s0
	s_delay_alu instid0(SALU_CYCLE_3) | instskip(NEXT) | instid1(VALU_DEP_2)
	v_s_rcp_f32 s0, s0
	v_xor_b32_e32 v12, v10, v8
	s_delay_alu instid0(VALU_DEP_3) | instskip(SKIP_1) | instid1(TRANS32_DEP_1)
	v_dual_mov_b32 v21, v2 :: v_dual_bitop2_b32 v16, v11, v8 bitop3:0x14
	v_xor_b32_e32 v8, s40, v8
	s_mul_f32 s0, s0, 0x5f7ffffc
	s_delay_alu instid0(SALU_CYCLE_3) | instskip(NEXT) | instid1(SALU_CYCLE_3)
	s_mul_f32 s2, s0, 0x2f800000
	s_trunc_f32 s2, s2
	s_delay_alu instid0(SALU_CYCLE_3) | instskip(SKIP_1) | instid1(SALU_CYCLE_2)
	s_fmamk_f32 s0, s2, 0xcf800000, s0
	s_cvt_u32_f32 s47, s2
	s_cvt_u32_f32 s46, s0
	s_delay_alu instid0(SALU_CYCLE_3) | instskip(NEXT) | instid1(SALU_CYCLE_1)
	s_mul_u64 s[50:51], s[48:49], s[46:47]
	s_mul_hi_u32 s53, s46, s51
	s_mul_i32 s52, s46, s51
	s_mul_hi_u32 s2, s46, s50
	s_mul_i32 s41, s47, s50
	s_add_nc_u64 s[52:53], s[2:3], s[52:53]
	s_mul_hi_u32 s0, s47, s50
	s_mul_hi_u32 s54, s47, s51
	s_add_co_u32 s2, s52, s41
	s_add_co_ci_u32 s2, s53, s0
	s_mul_i32 s50, s47, s51
	s_add_co_ci_u32 s51, s54, 0
	s_delay_alu instid0(SALU_CYCLE_1) | instskip(NEXT) | instid1(SALU_CYCLE_1)
	s_add_nc_u64 s[50:51], s[2:3], s[50:51]
	s_add_co_u32 s46, s46, s50
	s_cselect_b32 s0, -1, 0
	s_delay_alu instid0(SALU_CYCLE_1) | instskip(SKIP_1) | instid1(SALU_CYCLE_1)
	s_cmp_lg_u32 s0, 0
	s_add_co_ci_u32 s47, s47, s51
	s_mul_u64 s[48:49], s[48:49], s[46:47]
	s_delay_alu instid0(SALU_CYCLE_1)
	s_mul_hi_u32 s51, s46, s49
	s_mul_i32 s50, s46, s49
	s_mul_hi_u32 s2, s46, s48
	s_mul_i32 s41, s47, s48
	s_add_nc_u64 s[50:51], s[2:3], s[50:51]
	s_mul_hi_u32 s0, s47, s48
	s_mul_hi_u32 s52, s47, s49
	s_add_co_u32 s2, s50, s41
	s_add_co_ci_u32 s2, s51, s0
	s_mul_i32 s48, s47, s49
	s_add_co_ci_u32 s49, s52, 0
	s_delay_alu instid0(SALU_CYCLE_1) | instskip(NEXT) | instid1(SALU_CYCLE_1)
	s_add_nc_u64 s[48:49], s[2:3], s[48:49]
	s_add_co_u32 s0, s46, s48
	s_cselect_b32 s2, -1, 0
	v_mul_hi_u32 v20, v12, s0
	s_cmp_lg_u32 s2, 0
	s_add_co_ci_u32 s2, s47, s49
	s_and_b64 s[46:47], s[0:1], s[28:29]
	v_mul_u64_e32 v[14:15], s[2:3], v[12:13]
	v_mul_u64_e32 v[10:11], s[46:47], v[16:17]
	;; [unrolled: 1-line block ×3, first 2 shown]
	s_delay_alu instid0(VALU_DEP_3) | instskip(NEXT) | instid1(VALU_DEP_1)
	v_add_nc_u64_e32 v[14:15], v[20:21], v[14:15]
	v_add_co_u32 v3, vcc_lo, v14, v10
	s_delay_alu instid0(VALU_DEP_2) | instskip(NEXT) | instid1(VALU_DEP_4)
	v_add_co_ci_u32_e32 v20, vcc_lo, v15, v11, vcc_lo
	v_add_co_ci_u32_e32 v19, vcc_lo, 0, v19, vcc_lo
	s_delay_alu instid0(VALU_DEP_1) | instskip(NEXT) | instid1(VALU_DEP_1)
	v_add_nc_u64_e32 v[10:11], v[20:21], v[18:19]
	v_mul_u64_e32 v[14:15], s[42:43], v[10:11]
	s_delay_alu instid0(VALU_DEP_1) | instskip(NEXT) | instid1(VALU_DEP_2)
	v_sub_nc_u32_e32 v3, v16, v15
	v_sub_co_u32 v9, vcc_lo, v12, v14
	s_delay_alu instid0(VALU_DEP_1) | instskip(NEXT) | instid1(VALU_DEP_3)
	v_sub_co_ci_u32_e64 v16, null, v16, v15, vcc_lo
	v_subrev_co_ci_u32_e64 v3, null, s43, v3, vcc_lo
	s_delay_alu instid0(VALU_DEP_3) | instskip(SKIP_1) | instid1(VALU_DEP_3)
	v_sub_co_u32 v12, s0, v9, s42
	v_add_nc_u64_e32 v[14:15], 1, v[10:11]
	v_subrev_co_ci_u32_e64 v3, null, 0, v3, s0
	s_delay_alu instid0(VALU_DEP_3) | instskip(SKIP_1) | instid1(VALU_DEP_3)
	v_cmp_le_u32_e32 vcc_lo, s42, v12
	v_cndmask_b32_e64 v12, 0, -1, vcc_lo
	v_cmp_le_u32_e32 vcc_lo, s43, v3
	v_cndmask_b32_e64 v13, 0, -1, vcc_lo
	;; [unrolled: 2-line block ×4, first 2 shown]
	v_cmp_eq_u32_e32 vcc_lo, s43, v3
	v_cndmask_b32_e32 v3, v13, v12, vcc_lo
	v_cmp_eq_u32_e32 vcc_lo, s43, v16
	v_add_nc_u64_e32 v[12:13], 2, v[10:11]
	v_cndmask_b32_e32 v9, v17, v9, vcc_lo
	s_delay_alu instid0(VALU_DEP_4) | instskip(NEXT) | instid1(VALU_DEP_2)
	v_cmp_ne_u32_e32 vcc_lo, 0, v3
	v_cmp_ne_u32_e64 s0, 0, v9
	s_delay_alu instid0(VALU_DEP_4) | instskip(NEXT) | instid1(VALU_DEP_1)
	v_dual_cndmask_b32 v3, v15, v13, vcc_lo :: v_dual_cndmask_b32 v9, v14, v12, vcc_lo
	v_dual_cndmask_b32 v10, v10, v9, s0 :: v_dual_mov_b32 v9, v8
	s_delay_alu instid0(VALU_DEP_1) | instskip(NEXT) | instid1(VALU_DEP_1)
	v_dual_cndmask_b32 v3, v11, v3, s0 :: v_dual_bitop2_b32 v10, v10, v8 bitop3:0x14
	v_xor_b32_e32 v11, v3, v8
	s_delay_alu instid0(VALU_DEP_1)
	v_sub_nc_u64_e32 v[8:9], v[10:11], v[8:9]
.LBB69_7:                               ;   in Loop: Header=BB69_5 Depth=2
	s_and_not1_saveexec_b32 s0, s45
	s_cbranch_execz .LBB69_9
; %bb.8:                                ;   in Loop: Header=BB69_5 Depth=2
	v_cvt_f32_u32_e32 v3, s38
	s_sub_co_i32 s2, 0, s38
	s_delay_alu instid0(VALU_DEP_1) | instskip(SKIP_1) | instid1(TRANS32_DEP_1)
	v_rcp_iflag_f32_e32 v3, v3
	v_nop
	v_mul_f32_e32 v3, 0x4f7ffffe, v3
	s_delay_alu instid0(VALU_DEP_1) | instskip(NEXT) | instid1(VALU_DEP_1)
	v_cvt_u32_f32_e32 v3, v3
	v_mul_lo_u32 v8, s2, v3
	s_delay_alu instid0(VALU_DEP_1) | instskip(NEXT) | instid1(VALU_DEP_1)
	v_mul_hi_u32 v8, v3, v8
	v_add_nc_u32_e32 v3, v3, v8
	s_delay_alu instid0(VALU_DEP_1) | instskip(NEXT) | instid1(VALU_DEP_1)
	v_mul_hi_u32 v3, v6, v3
	v_mul_lo_u32 v8, v3, s38
	s_delay_alu instid0(VALU_DEP_1) | instskip(NEXT) | instid1(VALU_DEP_1)
	v_dual_add_nc_u32 v9, 1, v3 :: v_dual_sub_nc_u32 v8, v6, v8
	v_subrev_nc_u32_e32 v10, s38, v8
	v_cmp_le_u32_e32 vcc_lo, s38, v8
	s_delay_alu instid0(VALU_DEP_2) | instskip(NEXT) | instid1(VALU_DEP_1)
	v_dual_cndmask_b32 v8, v8, v10 :: v_dual_cndmask_b32 v3, v3, v9
	v_cmp_le_u32_e32 vcc_lo, s38, v8
	s_delay_alu instid0(VALU_DEP_2) | instskip(NEXT) | instid1(VALU_DEP_1)
	v_add_nc_u32_e32 v9, 1, v3
	v_dual_cndmask_b32 v8, v3, v9 :: v_dual_mov_b32 v9, v2
.LBB69_9:                               ;   in Loop: Header=BB69_5 Depth=2
	s_or_b32 exec_lo, exec_lo, s0
	s_delay_alu instid0(VALU_DEP_1)
	v_mul_u64_e32 v[10:11], s[38:39], v[8:9]
	s_load_b64 s[38:39], s[36:37], 0xc8
	s_add_co_i32 s31, s31, -1
	s_wait_xcnt 0x0
	s_add_nc_u64 s[36:37], s[36:37], -8
	s_cmp_gt_u32 s31, 2
	s_delay_alu instid0(VALU_DEP_1) | instskip(SKIP_1) | instid1(VALU_DEP_1)
	v_sub_nc_u64_e32 v[6:7], v[6:7], v[10:11]
	s_wait_kmcnt 0x0
	v_mad_nc_u64_u32 v[4:5], s38, v6, v[4:5]
	s_delay_alu instid0(VALU_DEP_1) | instskip(NEXT) | instid1(VALU_DEP_1)
	v_mad_u32 v3, s39, v6, v5
	v_mad_u32 v5, s38, v7, v3
	s_cbranch_scc0 .LBB69_11
; %bb.10:                               ;   in Loop: Header=BB69_5 Depth=2
	v_mov_b64_e32 v[6:7], v[8:9]
	s_branch .LBB69_5
.LBB69_11:                              ;   in Loop: Header=BB69_4 Depth=1
	s_delay_alu instid0(VALU_DEP_1) | instskip(NEXT) | instid1(VALU_DEP_1)
	v_mul_u64_e32 v[6:7], s[20:21], v[8:9]
	v_lshl_add_u64 v[6:7], v[6:7], 2, s[22:23]
	s_delay_alu instid0(VALU_DEP_1) | instskip(SKIP_4) | instid1(VALU_DEP_1)
	v_lshl_add_u64 v[4:5], v[4:5], 2, v[6:7]
	global_load_b32 v4, v[4:5], off
	s_wait_loadcnt 0x0
	s_wait_xcnt 0x0
	v_ashrrev_i32_e32 v5, 31, v4
	v_cmp_le_i64_e32 vcc_lo, s[6:7], v[4:5]
	v_cmp_ge_i64_e64 s0, s[8:9], v[4:5]
	s_and_b32 s0, vcc_lo, s0
	s_delay_alu instid0(SALU_CYCLE_1)
	s_and_saveexec_b32 s38, s0
	s_cbranch_execz .LBB69_3
; %bb.12:                               ;   in Loop: Header=BB69_4 Depth=1
	v_sub_nc_u64_e64 v[4:5], v[4:5], s[6:7]
                                        ; implicit-def: $vgpr6_vgpr7
	s_mov_b32 s0, exec_lo
	s_delay_alu instid0(VALU_DEP_1) | instskip(NEXT) | instid1(VALU_DEP_1)
	v_mul_u64_e32 v[4:5], s[4:5], v[4:5]
	v_or_b32_e32 v3, s25, v5
	s_delay_alu instid0(VALU_DEP_1)
	v_cmpx_ne_u64_e32 0, v[2:3]
	s_xor_b32 s39, exec_lo, s0
	s_cbranch_execz .LBB69_14
; %bb.13:                               ;   in Loop: Header=BB69_4 Depth=1
	s_mov_b32 s31, s30
	v_dual_mov_b32 v9, v2 :: v_dual_ashrrev_i32 v6, 31, v5
	s_add_nc_u64 s[36:37], s[24:25], s[30:31]
	s_delay_alu instid0(SALU_CYCLE_1) | instskip(NEXT) | instid1(VALU_DEP_1)
	s_xor_b64 s[36:37], s[36:37], s[30:31]
	v_mov_b32_e32 v7, v6
	s_cvt_f32_u32 s0, s36
	s_cvt_f32_u32 s2, s37
	s_sub_nc_u64 s[42:43], 0, s[36:37]
	s_delay_alu instid0(VALU_DEP_1) | instskip(NEXT) | instid1(SALU_CYCLE_1)
	v_add_nc_u64_e32 v[4:5], v[4:5], v[6:7]
	s_fmamk_f32 s0, s2, 0x4f800000, s0
	v_mov_b32_e32 v13, v2
	s_delay_alu instid0(SALU_CYCLE_2) | instskip(NEXT) | instid1(VALU_DEP_2)
	v_s_rcp_f32 s0, s0
	v_xor_b32_e32 v8, v4, v6
	s_delay_alu instid0(VALU_DEP_3) | instskip(NEXT) | instid1(TRANS32_DEP_1)
	v_dual_mov_b32 v17, v2 :: v_dual_bitop2_b32 v12, v5, v6 bitop3:0x14
	s_mul_f32 s0, s0, 0x5f7ffffc
	s_delay_alu instid0(SALU_CYCLE_3) | instskip(NEXT) | instid1(SALU_CYCLE_3)
	s_mul_f32 s2, s0, 0x2f800000
	s_trunc_f32 s2, s2
	s_delay_alu instid0(SALU_CYCLE_3) | instskip(SKIP_1) | instid1(SALU_CYCLE_2)
	s_fmamk_f32 s0, s2, 0xcf800000, s0
	s_cvt_u32_f32 s41, s2
	s_cvt_u32_f32 s40, s0
	s_delay_alu instid0(SALU_CYCLE_3) | instskip(NEXT) | instid1(SALU_CYCLE_1)
	s_mul_u64 s[46:47], s[42:43], s[40:41]
	s_mul_hi_u32 s49, s40, s47
	s_mul_i32 s48, s40, s47
	s_mul_hi_u32 s2, s40, s46
	s_mul_i32 s31, s41, s46
	s_add_nc_u64 s[48:49], s[2:3], s[48:49]
	s_mul_hi_u32 s0, s41, s46
	s_mul_hi_u32 s45, s41, s47
	s_add_co_u32 s2, s48, s31
	s_add_co_ci_u32 s2, s49, s0
	s_mul_i32 s46, s41, s47
	s_add_co_ci_u32 s47, s45, 0
	s_delay_alu instid0(SALU_CYCLE_1) | instskip(NEXT) | instid1(SALU_CYCLE_1)
	s_add_nc_u64 s[46:47], s[2:3], s[46:47]
	s_add_co_u32 s40, s40, s46
	s_cselect_b32 s0, -1, 0
	s_delay_alu instid0(SALU_CYCLE_1) | instskip(SKIP_1) | instid1(SALU_CYCLE_1)
	s_cmp_lg_u32 s0, 0
	s_add_co_ci_u32 s41, s41, s47
	s_mul_u64 s[42:43], s[42:43], s[40:41]
	s_delay_alu instid0(SALU_CYCLE_1)
	s_mul_hi_u32 s47, s40, s43
	s_mul_i32 s46, s40, s43
	s_mul_hi_u32 s2, s40, s42
	s_mul_i32 s31, s41, s42
	s_add_nc_u64 s[46:47], s[2:3], s[46:47]
	s_mul_hi_u32 s0, s41, s42
	s_mul_hi_u32 s45, s41, s43
	s_add_co_u32 s2, s46, s31
	s_add_co_ci_u32 s2, s47, s0
	s_mul_i32 s42, s41, s43
	s_add_co_ci_u32 s43, s45, 0
	s_delay_alu instid0(SALU_CYCLE_1) | instskip(NEXT) | instid1(SALU_CYCLE_1)
	s_add_nc_u64 s[42:43], s[2:3], s[42:43]
	s_add_co_u32 s0, s40, s42
	s_cselect_b32 s2, -1, 0
	v_mul_hi_u32 v16, v8, s0
	s_cmp_lg_u32 s2, 0
	s_add_co_ci_u32 s2, s41, s43
	s_and_b64 s[40:41], s[0:1], s[28:29]
	v_mul_u64_e32 v[10:11], s[2:3], v[8:9]
	v_mul_u64_e32 v[4:5], s[40:41], v[12:13]
	;; [unrolled: 1-line block ×3, first 2 shown]
	s_delay_alu instid0(VALU_DEP_3) | instskip(NEXT) | instid1(VALU_DEP_1)
	v_add_nc_u64_e32 v[10:11], v[16:17], v[10:11]
	v_add_co_u32 v3, vcc_lo, v10, v4
	s_delay_alu instid0(VALU_DEP_2) | instskip(NEXT) | instid1(VALU_DEP_4)
	v_add_co_ci_u32_e32 v16, vcc_lo, v11, v5, vcc_lo
	v_add_co_ci_u32_e32 v15, vcc_lo, 0, v15, vcc_lo
	s_delay_alu instid0(VALU_DEP_1) | instskip(NEXT) | instid1(VALU_DEP_1)
	v_add_nc_u64_e32 v[4:5], v[16:17], v[14:15]
	v_mul_u64_e32 v[10:11], s[36:37], v[4:5]
	s_delay_alu instid0(VALU_DEP_1) | instskip(NEXT) | instid1(VALU_DEP_2)
	v_sub_nc_u32_e32 v3, v12, v11
	v_sub_co_u32 v7, vcc_lo, v8, v10
	s_delay_alu instid0(VALU_DEP_1) | instskip(NEXT) | instid1(VALU_DEP_3)
	v_sub_co_ci_u32_e64 v12, null, v12, v11, vcc_lo
	v_subrev_co_ci_u32_e64 v3, null, s37, v3, vcc_lo
	s_delay_alu instid0(VALU_DEP_3) | instskip(SKIP_1) | instid1(VALU_DEP_3)
	v_sub_co_u32 v8, s0, v7, s36
	v_add_nc_u64_e32 v[10:11], 1, v[4:5]
	v_subrev_co_ci_u32_e64 v3, null, 0, v3, s0
	s_delay_alu instid0(VALU_DEP_3) | instskip(SKIP_1) | instid1(VALU_DEP_3)
	v_cmp_le_u32_e32 vcc_lo, s36, v8
	v_cndmask_b32_e64 v8, 0, -1, vcc_lo
	v_cmp_le_u32_e32 vcc_lo, s37, v3
	v_cndmask_b32_e64 v9, 0, -1, vcc_lo
	;; [unrolled: 2-line block ×4, first 2 shown]
	v_cmp_eq_u32_e32 vcc_lo, s37, v3
	v_cndmask_b32_e32 v3, v9, v8, vcc_lo
	v_cmp_eq_u32_e32 vcc_lo, s37, v12
	v_add_nc_u64_e32 v[8:9], 2, v[4:5]
	v_cndmask_b32_e32 v7, v13, v7, vcc_lo
	s_delay_alu instid0(VALU_DEP_4) | instskip(NEXT) | instid1(VALU_DEP_3)
	v_cmp_ne_u32_e32 vcc_lo, 0, v3
	v_cndmask_b32_e32 v3, v11, v9, vcc_lo
	s_delay_alu instid0(VALU_DEP_3) | instskip(SKIP_1) | instid1(VALU_DEP_2)
	v_cmp_ne_u32_e64 s0, 0, v7
	v_dual_cndmask_b32 v7, v10, v8, vcc_lo :: v_dual_bitop2_b32 v6, s30, v6 bitop3:0x14
	v_cndmask_b32_e64 v3, v5, v3, s0
	s_delay_alu instid0(VALU_DEP_2) | instskip(NEXT) | instid1(VALU_DEP_2)
	v_dual_cndmask_b32 v4, v4, v7, s0 :: v_dual_mov_b32 v7, v6
	v_xor_b32_e32 v5, v3, v6
	s_delay_alu instid0(VALU_DEP_2) | instskip(NEXT) | instid1(VALU_DEP_1)
	v_xor_b32_e32 v4, v4, v6
	v_sub_nc_u64_e32 v[6:7], v[4:5], v[6:7]
                                        ; implicit-def: $vgpr4_vgpr5
.LBB69_14:                              ;   in Loop: Header=BB69_4 Depth=1
	s_and_not1_saveexec_b32 s0, s39
	s_cbranch_execz .LBB69_2
; %bb.15:                               ;   in Loop: Header=BB69_4 Depth=1
	v_cvt_f32_u32_e32 v3, s24
	s_sub_co_i32 s2, 0, s24
	s_delay_alu instid0(VALU_DEP_1) | instskip(SKIP_1) | instid1(TRANS32_DEP_1)
	v_rcp_iflag_f32_e32 v3, v3
	v_nop
	v_mul_f32_e32 v3, 0x4f7ffffe, v3
	s_delay_alu instid0(VALU_DEP_1) | instskip(NEXT) | instid1(VALU_DEP_1)
	v_cvt_u32_f32_e32 v3, v3
	v_mul_lo_u32 v5, s2, v3
	s_delay_alu instid0(VALU_DEP_1) | instskip(NEXT) | instid1(VALU_DEP_1)
	v_mul_hi_u32 v5, v3, v5
	v_add_nc_u32_e32 v3, v3, v5
	s_delay_alu instid0(VALU_DEP_1) | instskip(NEXT) | instid1(VALU_DEP_1)
	v_mul_hi_u32 v3, v4, v3
	v_mul_lo_u32 v5, v3, s24
	s_delay_alu instid0(VALU_DEP_1) | instskip(NEXT) | instid1(VALU_DEP_1)
	v_dual_sub_nc_u32 v4, v4, v5 :: v_dual_add_nc_u32 v5, 1, v3
	v_subrev_nc_u32_e32 v6, s24, v4
	v_cmp_le_u32_e32 vcc_lo, s24, v4
	s_delay_alu instid0(VALU_DEP_2) | instskip(NEXT) | instid1(VALU_DEP_1)
	v_dual_cndmask_b32 v4, v4, v6 :: v_dual_cndmask_b32 v3, v3, v5
	v_cmp_le_u32_e32 vcc_lo, s24, v4
	s_delay_alu instid0(VALU_DEP_2) | instskip(NEXT) | instid1(VALU_DEP_1)
	v_add_nc_u32_e32 v5, 1, v3
	v_cndmask_b32_e32 v6, v3, v5, vcc_lo
	s_branch .LBB69_2
.LBB69_16:
	s_endpgm
	.section	.rodata,"a",@progbits
	.p2align	6, 0x0
	.amdhsa_kernel _ZN2at4cuda17kernelHistogram1DIiilLi1ELi2ELin1ELNS0_23CUDAHistogramMemoryTypeE1EZNS0_21CUDA_tensor_histogramIiiLb0EEEbNS_6TensorES4_S4_lNS_14AccumulateTypeIT0_Lb1EE4typeES8_NS0_13TensorArgTypeES9_S9_EUllE_EEvNS0_6detail10TensorInfoIT_T1_EESF_NSC_IKS6_SE_EElS8_S8_SE_T6_
		.amdhsa_group_segment_fixed_size 0
		.amdhsa_private_segment_fixed_size 0
		.amdhsa_kernarg_size 1952
		.amdhsa_user_sgpr_count 2
		.amdhsa_user_sgpr_dispatch_ptr 0
		.amdhsa_user_sgpr_queue_ptr 0
		.amdhsa_user_sgpr_kernarg_segment_ptr 1
		.amdhsa_user_sgpr_dispatch_id 0
		.amdhsa_user_sgpr_kernarg_preload_length 0
		.amdhsa_user_sgpr_kernarg_preload_offset 0
		.amdhsa_user_sgpr_private_segment_size 0
		.amdhsa_wavefront_size32 1
		.amdhsa_uses_dynamic_stack 0
		.amdhsa_enable_private_segment 0
		.amdhsa_system_sgpr_workgroup_id_x 1
		.amdhsa_system_sgpr_workgroup_id_y 0
		.amdhsa_system_sgpr_workgroup_id_z 0
		.amdhsa_system_sgpr_workgroup_info 0
		.amdhsa_system_vgpr_workitem_id 0
		.amdhsa_next_free_vgpr 22
		.amdhsa_next_free_sgpr 55
		.amdhsa_named_barrier_count 0
		.amdhsa_reserve_vcc 1
		.amdhsa_float_round_mode_32 0
		.amdhsa_float_round_mode_16_64 0
		.amdhsa_float_denorm_mode_32 3
		.amdhsa_float_denorm_mode_16_64 3
		.amdhsa_fp16_overflow 0
		.amdhsa_memory_ordered 1
		.amdhsa_forward_progress 1
		.amdhsa_inst_pref_size 17
		.amdhsa_round_robin_scheduling 0
		.amdhsa_exception_fp_ieee_invalid_op 0
		.amdhsa_exception_fp_denorm_src 0
		.amdhsa_exception_fp_ieee_div_zero 0
		.amdhsa_exception_fp_ieee_overflow 0
		.amdhsa_exception_fp_ieee_underflow 0
		.amdhsa_exception_fp_ieee_inexact 0
		.amdhsa_exception_int_div_zero 0
	.end_amdhsa_kernel
	.section	.text._ZN2at4cuda17kernelHistogram1DIiilLi1ELi2ELin1ELNS0_23CUDAHistogramMemoryTypeE1EZNS0_21CUDA_tensor_histogramIiiLb0EEEbNS_6TensorES4_S4_lNS_14AccumulateTypeIT0_Lb1EE4typeES8_NS0_13TensorArgTypeES9_S9_EUllE_EEvNS0_6detail10TensorInfoIT_T1_EESF_NSC_IKS6_SE_EElS8_S8_SE_T6_,"axG",@progbits,_ZN2at4cuda17kernelHistogram1DIiilLi1ELi2ELin1ELNS0_23CUDAHistogramMemoryTypeE1EZNS0_21CUDA_tensor_histogramIiiLb0EEEbNS_6TensorES4_S4_lNS_14AccumulateTypeIT0_Lb1EE4typeES8_NS0_13TensorArgTypeES9_S9_EUllE_EEvNS0_6detail10TensorInfoIT_T1_EESF_NSC_IKS6_SE_EElS8_S8_SE_T6_,comdat
.Lfunc_end69:
	.size	_ZN2at4cuda17kernelHistogram1DIiilLi1ELi2ELin1ELNS0_23CUDAHistogramMemoryTypeE1EZNS0_21CUDA_tensor_histogramIiiLb0EEEbNS_6TensorES4_S4_lNS_14AccumulateTypeIT0_Lb1EE4typeES8_NS0_13TensorArgTypeES9_S9_EUllE_EEvNS0_6detail10TensorInfoIT_T1_EESF_NSC_IKS6_SE_EElS8_S8_SE_T6_, .Lfunc_end69-_ZN2at4cuda17kernelHistogram1DIiilLi1ELi2ELin1ELNS0_23CUDAHistogramMemoryTypeE1EZNS0_21CUDA_tensor_histogramIiiLb0EEEbNS_6TensorES4_S4_lNS_14AccumulateTypeIT0_Lb1EE4typeES8_NS0_13TensorArgTypeES9_S9_EUllE_EEvNS0_6detail10TensorInfoIT_T1_EESF_NSC_IKS6_SE_EElS8_S8_SE_T6_
                                        ; -- End function
	.set _ZN2at4cuda17kernelHistogram1DIiilLi1ELi2ELin1ELNS0_23CUDAHistogramMemoryTypeE1EZNS0_21CUDA_tensor_histogramIiiLb0EEEbNS_6TensorES4_S4_lNS_14AccumulateTypeIT0_Lb1EE4typeES8_NS0_13TensorArgTypeES9_S9_EUllE_EEvNS0_6detail10TensorInfoIT_T1_EESF_NSC_IKS6_SE_EElS8_S8_SE_T6_.num_vgpr, 22
	.set _ZN2at4cuda17kernelHistogram1DIiilLi1ELi2ELin1ELNS0_23CUDAHistogramMemoryTypeE1EZNS0_21CUDA_tensor_histogramIiiLb0EEEbNS_6TensorES4_S4_lNS_14AccumulateTypeIT0_Lb1EE4typeES8_NS0_13TensorArgTypeES9_S9_EUllE_EEvNS0_6detail10TensorInfoIT_T1_EESF_NSC_IKS6_SE_EElS8_S8_SE_T6_.num_agpr, 0
	.set _ZN2at4cuda17kernelHistogram1DIiilLi1ELi2ELin1ELNS0_23CUDAHistogramMemoryTypeE1EZNS0_21CUDA_tensor_histogramIiiLb0EEEbNS_6TensorES4_S4_lNS_14AccumulateTypeIT0_Lb1EE4typeES8_NS0_13TensorArgTypeES9_S9_EUllE_EEvNS0_6detail10TensorInfoIT_T1_EESF_NSC_IKS6_SE_EElS8_S8_SE_T6_.numbered_sgpr, 55
	.set _ZN2at4cuda17kernelHistogram1DIiilLi1ELi2ELin1ELNS0_23CUDAHistogramMemoryTypeE1EZNS0_21CUDA_tensor_histogramIiiLb0EEEbNS_6TensorES4_S4_lNS_14AccumulateTypeIT0_Lb1EE4typeES8_NS0_13TensorArgTypeES9_S9_EUllE_EEvNS0_6detail10TensorInfoIT_T1_EESF_NSC_IKS6_SE_EElS8_S8_SE_T6_.num_named_barrier, 0
	.set _ZN2at4cuda17kernelHistogram1DIiilLi1ELi2ELin1ELNS0_23CUDAHistogramMemoryTypeE1EZNS0_21CUDA_tensor_histogramIiiLb0EEEbNS_6TensorES4_S4_lNS_14AccumulateTypeIT0_Lb1EE4typeES8_NS0_13TensorArgTypeES9_S9_EUllE_EEvNS0_6detail10TensorInfoIT_T1_EESF_NSC_IKS6_SE_EElS8_S8_SE_T6_.private_seg_size, 0
	.set _ZN2at4cuda17kernelHistogram1DIiilLi1ELi2ELin1ELNS0_23CUDAHistogramMemoryTypeE1EZNS0_21CUDA_tensor_histogramIiiLb0EEEbNS_6TensorES4_S4_lNS_14AccumulateTypeIT0_Lb1EE4typeES8_NS0_13TensorArgTypeES9_S9_EUllE_EEvNS0_6detail10TensorInfoIT_T1_EESF_NSC_IKS6_SE_EElS8_S8_SE_T6_.uses_vcc, 1
	.set _ZN2at4cuda17kernelHistogram1DIiilLi1ELi2ELin1ELNS0_23CUDAHistogramMemoryTypeE1EZNS0_21CUDA_tensor_histogramIiiLb0EEEbNS_6TensorES4_S4_lNS_14AccumulateTypeIT0_Lb1EE4typeES8_NS0_13TensorArgTypeES9_S9_EUllE_EEvNS0_6detail10TensorInfoIT_T1_EESF_NSC_IKS6_SE_EElS8_S8_SE_T6_.uses_flat_scratch, 0
	.set _ZN2at4cuda17kernelHistogram1DIiilLi1ELi2ELin1ELNS0_23CUDAHistogramMemoryTypeE1EZNS0_21CUDA_tensor_histogramIiiLb0EEEbNS_6TensorES4_S4_lNS_14AccumulateTypeIT0_Lb1EE4typeES8_NS0_13TensorArgTypeES9_S9_EUllE_EEvNS0_6detail10TensorInfoIT_T1_EESF_NSC_IKS6_SE_EElS8_S8_SE_T6_.has_dyn_sized_stack, 0
	.set _ZN2at4cuda17kernelHistogram1DIiilLi1ELi2ELin1ELNS0_23CUDAHistogramMemoryTypeE1EZNS0_21CUDA_tensor_histogramIiiLb0EEEbNS_6TensorES4_S4_lNS_14AccumulateTypeIT0_Lb1EE4typeES8_NS0_13TensorArgTypeES9_S9_EUllE_EEvNS0_6detail10TensorInfoIT_T1_EESF_NSC_IKS6_SE_EElS8_S8_SE_T6_.has_recursion, 0
	.set _ZN2at4cuda17kernelHistogram1DIiilLi1ELi2ELin1ELNS0_23CUDAHistogramMemoryTypeE1EZNS0_21CUDA_tensor_histogramIiiLb0EEEbNS_6TensorES4_S4_lNS_14AccumulateTypeIT0_Lb1EE4typeES8_NS0_13TensorArgTypeES9_S9_EUllE_EEvNS0_6detail10TensorInfoIT_T1_EESF_NSC_IKS6_SE_EElS8_S8_SE_T6_.has_indirect_call, 0
	.section	.AMDGPU.csdata,"",@progbits
; Kernel info:
; codeLenInByte = 2092
; TotalNumSgprs: 57
; NumVgprs: 22
; ScratchSize: 0
; MemoryBound: 0
; FloatMode: 240
; IeeeMode: 1
; LDSByteSize: 0 bytes/workgroup (compile time only)
; SGPRBlocks: 0
; VGPRBlocks: 1
; NumSGPRsForWavesPerEU: 57
; NumVGPRsForWavesPerEU: 22
; NamedBarCnt: 0
; Occupancy: 16
; WaveLimiterHint : 1
; COMPUTE_PGM_RSRC2:SCRATCH_EN: 0
; COMPUTE_PGM_RSRC2:USER_SGPR: 2
; COMPUTE_PGM_RSRC2:TRAP_HANDLER: 0
; COMPUTE_PGM_RSRC2:TGID_X_EN: 1
; COMPUTE_PGM_RSRC2:TGID_Y_EN: 0
; COMPUTE_PGM_RSRC2:TGID_Z_EN: 0
; COMPUTE_PGM_RSRC2:TIDIG_COMP_CNT: 0
	.section	.text._ZN2at4cuda17kernelHistogram1DIiilLi1ELi2ELin1ELNS0_23CUDAHistogramMemoryTypeE0EZNS0_21CUDA_tensor_histogramIiiLb0EEEbNS_6TensorES4_S4_lNS_14AccumulateTypeIT0_Lb1EE4typeES8_NS0_13TensorArgTypeES9_S9_EUllE0_EEvNS0_6detail10TensorInfoIT_T1_EESF_NSC_IKS6_SE_EElS8_S8_SE_T6_,"axG",@progbits,_ZN2at4cuda17kernelHistogram1DIiilLi1ELi2ELin1ELNS0_23CUDAHistogramMemoryTypeE0EZNS0_21CUDA_tensor_histogramIiiLb0EEEbNS_6TensorES4_S4_lNS_14AccumulateTypeIT0_Lb1EE4typeES8_NS0_13TensorArgTypeES9_S9_EUllE0_EEvNS0_6detail10TensorInfoIT_T1_EESF_NSC_IKS6_SE_EElS8_S8_SE_T6_,comdat
	.protected	_ZN2at4cuda17kernelHistogram1DIiilLi1ELi2ELin1ELNS0_23CUDAHistogramMemoryTypeE0EZNS0_21CUDA_tensor_histogramIiiLb0EEEbNS_6TensorES4_S4_lNS_14AccumulateTypeIT0_Lb1EE4typeES8_NS0_13TensorArgTypeES9_S9_EUllE0_EEvNS0_6detail10TensorInfoIT_T1_EESF_NSC_IKS6_SE_EElS8_S8_SE_T6_ ; -- Begin function _ZN2at4cuda17kernelHistogram1DIiilLi1ELi2ELin1ELNS0_23CUDAHistogramMemoryTypeE0EZNS0_21CUDA_tensor_histogramIiiLb0EEEbNS_6TensorES4_S4_lNS_14AccumulateTypeIT0_Lb1EE4typeES8_NS0_13TensorArgTypeES9_S9_EUllE0_EEvNS0_6detail10TensorInfoIT_T1_EESF_NSC_IKS6_SE_EElS8_S8_SE_T6_
	.globl	_ZN2at4cuda17kernelHistogram1DIiilLi1ELi2ELin1ELNS0_23CUDAHistogramMemoryTypeE0EZNS0_21CUDA_tensor_histogramIiiLb0EEEbNS_6TensorES4_S4_lNS_14AccumulateTypeIT0_Lb1EE4typeES8_NS0_13TensorArgTypeES9_S9_EUllE0_EEvNS0_6detail10TensorInfoIT_T1_EESF_NSC_IKS6_SE_EElS8_S8_SE_T6_
	.p2align	8
	.type	_ZN2at4cuda17kernelHistogram1DIiilLi1ELi2ELin1ELNS0_23CUDAHistogramMemoryTypeE0EZNS0_21CUDA_tensor_histogramIiiLb0EEEbNS_6TensorES4_S4_lNS_14AccumulateTypeIT0_Lb1EE4typeES8_NS0_13TensorArgTypeES9_S9_EUllE0_EEvNS0_6detail10TensorInfoIT_T1_EESF_NSC_IKS6_SE_EElS8_S8_SE_T6_,@function
_ZN2at4cuda17kernelHistogram1DIiilLi1ELi2ELin1ELNS0_23CUDAHistogramMemoryTypeE0EZNS0_21CUDA_tensor_histogramIiiLb0EEEbNS_6TensorES4_S4_lNS_14AccumulateTypeIT0_Lb1EE4typeES8_NS0_13TensorArgTypeES9_S9_EUllE0_EEvNS0_6detail10TensorInfoIT_T1_EESF_NSC_IKS6_SE_EElS8_S8_SE_T6_: ; @_ZN2at4cuda17kernelHistogram1DIiilLi1ELi2ELin1ELNS0_23CUDAHistogramMemoryTypeE0EZNS0_21CUDA_tensor_histogramIiiLb0EEEbNS_6TensorES4_S4_lNS_14AccumulateTypeIT0_Lb1EE4typeES8_NS0_13TensorArgTypeES9_S9_EUllE0_EEvNS0_6detail10TensorInfoIT_T1_EESF_NSC_IKS6_SE_EElS8_S8_SE_T6_
; %bb.0:
	s_load_b128 s[12:15], s[0:1], 0x0
	v_mov_b32_e32 v1, 0
	s_add_nc_u64 s[22:23], s[0:1], 0x508
	s_mov_b32 s3, exec_lo
                                        ; implicit-def: $sgpr4
	s_wait_kmcnt 0x0
	s_delay_alu instid0(VALU_DEP_1)
	v_cmp_gt_i64_e64 s2, s[14:15], v[0:1]
	v_cmpx_le_i64_e64 s[14:15], v[0:1]
	s_xor_b32 s3, exec_lo, s3
; %bb.1:
	s_load_b32 s4, s[22:23], 0xc
; %bb.2:
	s_or_saveexec_b32 s3, s3
	s_wait_kmcnt 0x0
	v_mov_b32_e32 v4, s4
	s_xor_b32 exec_lo, exec_lo, s3
	s_cbranch_execz .LBB70_12
; %bb.3:
	v_dual_mov_b32 v5, 0 :: v_dual_add_nc_u32 v4, 1, v0
	s_load_b32 s6, s[22:23], 0xc
	s_mov_b32 s8, -1
	s_delay_alu instid0(VALU_DEP_1) | instskip(SKIP_2) | instid1(SALU_CYCLE_1)
	v_max_i64 v[2:3], s[14:15], v[4:5]
	s_wait_kmcnt 0x0
	s_and_b32 s4, s6, 0xffff
	s_cmp_eq_u32 s4, 1
	s_cselect_b32 s5, -1, 0
	s_delay_alu instid0(VALU_DEP_1) | instskip(SKIP_1) | instid1(VALU_DEP_2)
	v_sub_nc_u64_e32 v[6:7], v[2:3], v[0:1]
	v_mov_b64_e32 v[2:3], v[0:1]
	v_cmp_lt_u64_e32 vcc_lo, 1, v[6:7]
	s_and_b32 s7, vcc_lo, s5
	s_delay_alu instid0(SALU_CYCLE_1)
	s_and_saveexec_b32 s5, s7
	s_cbranch_execz .LBB70_7
; %bb.4:
	v_dual_mov_b32 v3, v7 :: v_dual_bitop2_b32 v2, -2, v6 bitop3:0x40
	v_lshl_add_u32 v4, v0, 2, 0
	s_mov_b32 s7, 0
	s_delay_alu instid0(VALU_DEP_2)
	v_mov_b64_e32 v[8:9], v[2:3]
.LBB70_5:                               ; =>This Inner Loop Header: Depth=1
	s_delay_alu instid0(VALU_DEP_1) | instskip(SKIP_4) | instid1(SALU_CYCLE_1)
	v_add_nc_u64_e32 v[8:9], -2, v[8:9]
	ds_store_2addr_b32 v4, v5, v5 offset1:1
	v_add_nc_u32_e32 v4, 8, v4
	v_cmp_eq_u64_e32 vcc_lo, 0, v[8:9]
	s_or_b32 s7, vcc_lo, s7
	s_and_not1_b32 exec_lo, exec_lo, s7
	s_cbranch_execnz .LBB70_5
; %bb.6:
	s_or_b32 exec_lo, exec_lo, s7
	v_cmp_ne_u64_e32 vcc_lo, v[6:7], v[2:3]
	v_add_nc_u64_e32 v[2:3], v[2:3], v[0:1]
	s_or_not1_b32 s8, vcc_lo, exec_lo
.LBB70_7:
	s_or_b32 exec_lo, exec_lo, s5
	v_mov_b32_e32 v4, 1
	s_and_saveexec_b32 s7, s8
	s_cbranch_execz .LBB70_11
; %bb.8:
	s_delay_alu instid0(VALU_DEP_2)
	v_lshl_add_u32 v4, v2, 2, 0
	v_mov_b32_e32 v5, 0
	s_mov_b32 s5, 0
	s_lshl_b32 s9, s4, 2
	s_mov_b32 s8, s5
.LBB70_9:                               ; =>This Inner Loop Header: Depth=1
	v_add_nc_u64_e32 v[2:3], s[4:5], v[2:3]
	ds_store_b32 v4, v5
	v_add_nc_u32_e32 v4, s9, v4
	v_cmp_le_i64_e32 vcc_lo, s[14:15], v[2:3]
	s_or_b32 s8, vcc_lo, s8
	s_delay_alu instid0(SALU_CYCLE_1)
	s_and_not1_b32 exec_lo, exec_lo, s8
	s_cbranch_execnz .LBB70_9
; %bb.10:
	s_or_b32 exec_lo, exec_lo, s8
	v_mov_b32_e32 v4, s6
.LBB70_11:
	s_or_b32 exec_lo, exec_lo, s7
.LBB70_12:
	s_delay_alu instid0(SALU_CYCLE_1)
	s_or_b32 exec_lo, exec_lo, s3
	s_bfe_u32 s3, ttmp6, 0x4000c
	s_load_b256 s[4:11], s[0:1], 0x4e0
	s_add_co_i32 s3, s3, 1
	s_and_b32 s16, ttmp6, 15
	s_mul_i32 s3, ttmp9, s3
	s_getreg_b32 s17, hwreg(HW_REG_IB_STS2, 6, 4)
	v_and_b32_e32 v2, 0xffff, v4
	s_add_co_i32 s16, s16, s3
	s_cmp_eq_u32 s17, 0
	v_mov_b32_e32 v6, 0
	s_cselect_b32 s3, ttmp9, s16
	s_mov_b32 s17, 0
	v_mad_u32 v4, s3, v2, v0
	s_mov_b32 s33, exec_lo
	v_mov_b32_e32 v5, v6
	s_wait_dscnt 0x0
	s_barrier_signal -1
	s_barrier_wait -1
	s_wait_kmcnt 0x0
	s_delay_alu instid0(VALU_DEP_2)
	v_cmpx_gt_i64_e64 s[10:11], v[4:5]
	s_cbranch_execz .LBB70_28
; %bb.13:
	s_load_b32 s3, s[0:1], 0x4d8
	s_load_b32 s16, s[22:23], 0x0
	s_clause 0x1
	s_load_b64 s[18:19], s[0:1], 0x410
	s_load_b64 s[20:21], s[0:1], 0x340
	s_add_nc_u64 s[26:27], s[0:1], 0x340
	v_dual_mov_b32 v9, v6 :: v_dual_mov_b32 v3, 1
	s_wait_xcnt 0x0
	s_sub_nc_u64 s[22:23], s[8:9], s[6:7]
	s_mov_b64 s[24:25], 0xffffffff
	s_mov_b32 s42, 0
	s_wait_kmcnt 0x0
	s_cmp_gt_i32 s3, 1
	v_mul_lo_u32 v8, s16, v2
	s_cselect_b32 s40, -1, 0
	s_add_co_i32 s16, s3, -1
	s_add_co_i32 s41, s3, 1
	s_lshl_b64 s[28:29], s[16:17], 3
	s_delay_alu instid0(SALU_CYCLE_1)
	s_add_nc_u64 s[26:27], s[26:27], s[28:29]
	s_ashr_i32 s28, s23, 31
	s_add_nc_u64 s[26:27], s[26:27], 8
	s_branch .LBB70_16
.LBB70_14:                              ;   in Loop: Header=BB70_16 Depth=1
	s_or_b32 exec_lo, exec_lo, s3
	s_delay_alu instid0(VALU_DEP_1) | instskip(NEXT) | instid1(VALU_DEP_1)
	v_ashrrev_i32_e32 v13, 31, v12
	v_cmp_eq_u64_e32 vcc_lo, s[4:5], v[12:13]
	v_subrev_co_ci_u32_e64 v7, null, 0, v12, vcc_lo
	s_delay_alu instid0(VALU_DEP_1)
	v_lshl_add_u32 v7, v7, 2, 0
	ds_add_u32 v7, v3
.LBB70_15:                              ;   in Loop: Header=BB70_16 Depth=1
	s_or_b32 exec_lo, exec_lo, s34
	v_add_nc_u64_e32 v[4:5], v[4:5], v[8:9]
	s_delay_alu instid0(VALU_DEP_1) | instskip(SKIP_1) | instid1(SALU_CYCLE_1)
	v_cmp_le_i64_e32 vcc_lo, s[10:11], v[4:5]
	s_or_b32 s42, vcc_lo, s42
	s_and_not1_b32 exec_lo, exec_lo, s42
	s_cbranch_execz .LBB70_28
.LBB70_16:                              ; =>This Loop Header: Depth=1
                                        ;     Child Loop BB70_17 Depth 2
	v_mov_b64_e32 v[10:11], 0
	v_mov_b64_e32 v[12:13], v[4:5]
	v_mov_b64_e32 v[14:15], v[4:5]
	s_and_not1_b32 vcc_lo, exec_lo, s40
	s_mov_b64 s[30:31], s[26:27]
	s_mov_b32 s29, s41
	s_cbranch_vccnz .LBB70_23
.LBB70_17:                              ;   Parent Loop BB70_16 Depth=1
                                        ; =>  This Inner Loop Header: Depth=2
	s_load_b64 s[34:35], s[30:31], 0x0
                                        ; implicit-def: $vgpr14_vgpr15
	s_mov_b32 s3, exec_lo
	s_wait_kmcnt 0x0
	s_delay_alu instid0(VALU_DEP_1) | instskip(NEXT) | instid1(VALU_DEP_1)
	v_or_b32_e32 v7, s35, v13
	v_cmpx_ne_u64_e32 0, v[6:7]
	s_xor_b32 s43, exec_lo, s3
	s_cbranch_execz .LBB70_19
; %bb.18:                               ;   in Loop: Header=BB70_17 Depth=2
	s_ashr_i32 s36, s35, 31
	v_dual_mov_b32 v19, v6 :: v_dual_ashrrev_i32 v14, 31, v13
	s_mov_b32 s37, s36
	v_mov_b32_e32 v27, v6
	s_add_nc_u64 s[38:39], s[34:35], s[36:37]
	s_delay_alu instid0(VALU_DEP_2) | instskip(SKIP_1) | instid1(SALU_CYCLE_1)
	v_mov_b32_e32 v15, v14
	s_xor_b64 s[38:39], s[38:39], s[36:37]
	s_cvt_f32_u32 s3, s38
	s_cvt_f32_u32 s16, s39
	s_sub_nc_u64 s[46:47], 0, s[38:39]
	v_add_nc_u64_e32 v[16:17], v[12:13], v[14:15]
	v_mov_b32_e32 v23, v6
	s_fmamk_f32 s3, s16, 0x4f800000, s3
	s_delay_alu instid0(SALU_CYCLE_3) | instskip(NEXT) | instid1(VALU_DEP_2)
	v_s_rcp_f32 s3, s3
	v_xor_b32_e32 v18, v16, v14
	s_delay_alu instid0(VALU_DEP_3) | instskip(NEXT) | instid1(TRANS32_DEP_1)
	v_xor_b32_e32 v22, v17, v14
	s_mul_f32 s3, s3, 0x5f7ffffc
	s_delay_alu instid0(SALU_CYCLE_3) | instskip(NEXT) | instid1(SALU_CYCLE_3)
	s_mul_f32 s16, s3, 0x2f800000
	s_trunc_f32 s16, s16
	s_delay_alu instid0(SALU_CYCLE_3) | instskip(SKIP_1) | instid1(SALU_CYCLE_2)
	s_fmamk_f32 s3, s16, 0xcf800000, s3
	s_cvt_u32_f32 s45, s16
	s_cvt_u32_f32 s44, s3
	s_delay_alu instid0(SALU_CYCLE_3) | instskip(NEXT) | instid1(SALU_CYCLE_1)
	s_mul_u64 s[48:49], s[46:47], s[44:45]
	s_mul_hi_u32 s51, s44, s49
	s_mul_i32 s50, s44, s49
	s_mul_hi_u32 s16, s44, s48
	s_mul_i32 s37, s45, s48
	s_add_nc_u64 s[50:51], s[16:17], s[50:51]
	s_mul_hi_u32 s3, s45, s48
	s_mul_hi_u32 s52, s45, s49
	s_add_co_u32 s16, s50, s37
	s_add_co_ci_u32 s16, s51, s3
	s_mul_i32 s48, s45, s49
	s_add_co_ci_u32 s49, s52, 0
	s_delay_alu instid0(SALU_CYCLE_1) | instskip(NEXT) | instid1(SALU_CYCLE_1)
	s_add_nc_u64 s[48:49], s[16:17], s[48:49]
	s_add_co_u32 s44, s44, s48
	s_cselect_b32 s3, -1, 0
	s_delay_alu instid0(SALU_CYCLE_1) | instskip(SKIP_1) | instid1(SALU_CYCLE_1)
	s_cmp_lg_u32 s3, 0
	s_add_co_ci_u32 s45, s45, s49
	s_mul_u64 s[46:47], s[46:47], s[44:45]
	s_delay_alu instid0(SALU_CYCLE_1)
	s_mul_hi_u32 s49, s44, s47
	s_mul_i32 s48, s44, s47
	s_mul_hi_u32 s16, s44, s46
	s_mul_i32 s37, s45, s46
	s_add_nc_u64 s[48:49], s[16:17], s[48:49]
	s_mul_hi_u32 s3, s45, s46
	s_mul_hi_u32 s50, s45, s47
	s_add_co_u32 s16, s48, s37
	s_add_co_ci_u32 s16, s49, s3
	s_mul_i32 s46, s45, s47
	s_add_co_ci_u32 s47, s50, 0
	s_delay_alu instid0(SALU_CYCLE_1) | instskip(NEXT) | instid1(SALU_CYCLE_1)
	s_add_nc_u64 s[46:47], s[16:17], s[46:47]
	s_add_co_u32 s44, s44, s46
	s_cselect_b32 s3, -1, 0
	v_mul_hi_u32 v26, v18, s44
	s_cmp_lg_u32 s3, 0
	s_add_co_ci_u32 s16, s45, s47
	s_and_b64 s[46:47], s[44:45], s[24:25]
	v_mul_u64_e32 v[20:21], s[16:17], v[18:19]
	v_mul_u64_e32 v[16:17], s[46:47], v[22:23]
	;; [unrolled: 1-line block ×3, first 2 shown]
	s_delay_alu instid0(VALU_DEP_3) | instskip(NEXT) | instid1(VALU_DEP_1)
	v_add_nc_u64_e32 v[20:21], v[26:27], v[20:21]
	v_add_co_u32 v7, vcc_lo, v20, v16
	s_delay_alu instid0(VALU_DEP_2) | instskip(NEXT) | instid1(VALU_DEP_4)
	v_add_co_ci_u32_e32 v26, vcc_lo, v21, v17, vcc_lo
	v_add_co_ci_u32_e32 v25, vcc_lo, 0, v25, vcc_lo
	s_delay_alu instid0(VALU_DEP_1) | instskip(NEXT) | instid1(VALU_DEP_1)
	v_add_nc_u64_e32 v[16:17], v[26:27], v[24:25]
	v_mul_u64_e32 v[20:21], s[38:39], v[16:17]
	s_delay_alu instid0(VALU_DEP_1) | instskip(NEXT) | instid1(VALU_DEP_2)
	v_sub_nc_u32_e32 v7, v22, v21
	v_sub_co_u32 v15, vcc_lo, v18, v20
	s_delay_alu instid0(VALU_DEP_1) | instskip(NEXT) | instid1(VALU_DEP_3)
	v_sub_co_ci_u32_e64 v22, null, v22, v21, vcc_lo
	v_subrev_co_ci_u32_e64 v7, null, s39, v7, vcc_lo
	s_delay_alu instid0(VALU_DEP_3) | instskip(SKIP_1) | instid1(VALU_DEP_3)
	v_sub_co_u32 v18, s3, v15, s38
	v_add_nc_u64_e32 v[20:21], 1, v[16:17]
	v_subrev_co_ci_u32_e64 v7, null, 0, v7, s3
	s_delay_alu instid0(VALU_DEP_3) | instskip(SKIP_1) | instid1(VALU_DEP_3)
	v_cmp_le_u32_e32 vcc_lo, s38, v18
	v_cndmask_b32_e64 v18, 0, -1, vcc_lo
	v_cmp_le_u32_e32 vcc_lo, s39, v7
	v_cndmask_b32_e64 v19, 0, -1, vcc_lo
	;; [unrolled: 2-line block ×4, first 2 shown]
	v_cmp_eq_u32_e32 vcc_lo, s39, v7
	v_cndmask_b32_e32 v7, v19, v18, vcc_lo
	v_cmp_eq_u32_e32 vcc_lo, s39, v22
	v_add_nc_u64_e32 v[18:19], 2, v[16:17]
	v_cndmask_b32_e32 v15, v23, v15, vcc_lo
	s_delay_alu instid0(VALU_DEP_4) | instskip(NEXT) | instid1(VALU_DEP_2)
	v_cmp_ne_u32_e32 vcc_lo, 0, v7
	v_cmp_ne_u32_e64 s3, 0, v15
	s_delay_alu instid0(VALU_DEP_4) | instskip(NEXT) | instid1(VALU_DEP_1)
	v_dual_cndmask_b32 v7, v21, v19, vcc_lo :: v_dual_cndmask_b32 v15, v20, v18, vcc_lo
	v_dual_cndmask_b32 v7, v17, v7, s3 :: v_dual_bitop2_b32 v14, s36, v14 bitop3:0x14
	s_delay_alu instid0(VALU_DEP_1) | instskip(NEXT) | instid1(VALU_DEP_2)
	v_dual_cndmask_b32 v16, v16, v15, s3 :: v_dual_mov_b32 v15, v14
	v_xor_b32_e32 v17, v7, v14
	s_delay_alu instid0(VALU_DEP_2) | instskip(NEXT) | instid1(VALU_DEP_1)
	v_xor_b32_e32 v16, v16, v14
	v_sub_nc_u64_e32 v[14:15], v[16:17], v[14:15]
.LBB70_19:                              ;   in Loop: Header=BB70_17 Depth=2
	s_and_not1_saveexec_b32 s3, s43
	s_cbranch_execz .LBB70_21
; %bb.20:                               ;   in Loop: Header=BB70_17 Depth=2
	v_cvt_f32_u32_e32 v7, s34
	s_sub_co_i32 s16, 0, s34
	s_delay_alu instid0(VALU_DEP_1) | instskip(SKIP_1) | instid1(TRANS32_DEP_1)
	v_rcp_iflag_f32_e32 v7, v7
	v_nop
	v_mul_f32_e32 v7, 0x4f7ffffe, v7
	s_delay_alu instid0(VALU_DEP_1) | instskip(NEXT) | instid1(VALU_DEP_1)
	v_cvt_u32_f32_e32 v7, v7
	v_mul_lo_u32 v14, s16, v7
	s_delay_alu instid0(VALU_DEP_1) | instskip(NEXT) | instid1(VALU_DEP_1)
	v_mul_hi_u32 v14, v7, v14
	v_add_nc_u32_e32 v7, v7, v14
	s_delay_alu instid0(VALU_DEP_1) | instskip(NEXT) | instid1(VALU_DEP_1)
	v_mul_hi_u32 v7, v12, v7
	v_mul_lo_u32 v14, v7, s34
	s_delay_alu instid0(VALU_DEP_1) | instskip(NEXT) | instid1(VALU_DEP_1)
	v_dual_add_nc_u32 v15, 1, v7 :: v_dual_sub_nc_u32 v14, v12, v14
	v_subrev_nc_u32_e32 v16, s34, v14
	v_cmp_le_u32_e32 vcc_lo, s34, v14
	s_delay_alu instid0(VALU_DEP_2) | instskip(NEXT) | instid1(VALU_DEP_1)
	v_dual_cndmask_b32 v14, v14, v16 :: v_dual_cndmask_b32 v7, v7, v15
	v_cmp_le_u32_e32 vcc_lo, s34, v14
	s_delay_alu instid0(VALU_DEP_2) | instskip(NEXT) | instid1(VALU_DEP_1)
	v_add_nc_u32_e32 v15, 1, v7
	v_dual_cndmask_b32 v14, v7, v15 :: v_dual_mov_b32 v15, v6
.LBB70_21:                              ;   in Loop: Header=BB70_17 Depth=2
	s_or_b32 exec_lo, exec_lo, s3
	s_delay_alu instid0(VALU_DEP_1)
	v_mul_u64_e32 v[16:17], s[34:35], v[14:15]
	s_load_b64 s[34:35], s[30:31], 0xc8
	s_add_co_i32 s29, s29, -1
	s_wait_xcnt 0x0
	s_add_nc_u64 s[30:31], s[30:31], -8
	s_cmp_gt_u32 s29, 2
	s_delay_alu instid0(VALU_DEP_1) | instskip(SKIP_1) | instid1(VALU_DEP_1)
	v_sub_nc_u64_e32 v[12:13], v[12:13], v[16:17]
	s_wait_kmcnt 0x0
	v_mad_nc_u64_u32 v[10:11], s34, v12, v[10:11]
	s_delay_alu instid0(VALU_DEP_1) | instskip(NEXT) | instid1(VALU_DEP_1)
	v_mad_u32 v7, s35, v12, v11
	v_mad_u32 v11, s34, v13, v7
	s_cbranch_scc0 .LBB70_23
; %bb.22:                               ;   in Loop: Header=BB70_17 Depth=2
	v_mov_b64_e32 v[12:13], v[14:15]
	s_branch .LBB70_17
.LBB70_23:                              ;   in Loop: Header=BB70_16 Depth=1
	s_delay_alu instid0(VALU_DEP_1) | instskip(NEXT) | instid1(VALU_DEP_1)
	v_mul_u64_e32 v[12:13], s[18:19], v[14:15]
	v_lshl_add_u64 v[12:13], v[12:13], 2, s[20:21]
	s_delay_alu instid0(VALU_DEP_1) | instskip(SKIP_4) | instid1(VALU_DEP_1)
	v_lshl_add_u64 v[10:11], v[10:11], 2, v[12:13]
	global_load_b32 v10, v[10:11], off
	s_wait_loadcnt 0x0
	s_wait_xcnt 0x0
	v_ashrrev_i32_e32 v11, 31, v10
	v_cmp_le_i64_e32 vcc_lo, s[6:7], v[10:11]
	v_cmp_ge_i64_e64 s3, s[8:9], v[10:11]
	s_and_b32 s3, vcc_lo, s3
	s_delay_alu instid0(SALU_CYCLE_1)
	s_and_saveexec_b32 s34, s3
	s_cbranch_execz .LBB70_15
; %bb.24:                               ;   in Loop: Header=BB70_16 Depth=1
	v_sub_nc_u64_e64 v[10:11], v[10:11], s[6:7]
                                        ; implicit-def: $vgpr12_vgpr13
	s_mov_b32 s3, exec_lo
	s_delay_alu instid0(VALU_DEP_1) | instskip(NEXT) | instid1(VALU_DEP_1)
	v_mul_u64_e32 v[10:11], s[4:5], v[10:11]
	v_or_b32_e32 v7, s23, v11
	s_delay_alu instid0(VALU_DEP_1)
	v_cmpx_ne_u64_e32 0, v[6:7]
	s_xor_b32 s35, exec_lo, s3
	s_cbranch_execz .LBB70_26
; %bb.25:                               ;   in Loop: Header=BB70_16 Depth=1
	s_mov_b32 s29, s28
	v_dual_mov_b32 v15, v6 :: v_dual_ashrrev_i32 v12, 31, v11
	s_add_nc_u64 s[30:31], s[22:23], s[28:29]
	v_mov_b32_e32 v23, v6
	s_xor_b64 s[30:31], s[30:31], s[28:29]
	s_delay_alu instid0(VALU_DEP_2) | instskip(SKIP_3) | instid1(VALU_DEP_1)
	v_mov_b32_e32 v13, v12
	s_cvt_f32_u32 s3, s30
	s_cvt_f32_u32 s16, s31
	s_sub_nc_u64 s[38:39], 0, s[30:31]
	v_add_nc_u64_e32 v[10:11], v[10:11], v[12:13]
	s_delay_alu instid0(SALU_CYCLE_1) | instskip(SKIP_1) | instid1(SALU_CYCLE_2)
	s_fmamk_f32 s3, s16, 0x4f800000, s3
	v_mov_b32_e32 v19, v6
	v_s_rcp_f32 s3, s3
	s_delay_alu instid0(VALU_DEP_2) | instskip(NEXT) | instid1(VALU_DEP_3)
	v_xor_b32_e32 v14, v10, v12
	v_xor_b32_e32 v18, v11, v12
	s_delay_alu instid0(TRANS32_DEP_1) | instskip(NEXT) | instid1(SALU_CYCLE_3)
	s_mul_f32 s3, s3, 0x5f7ffffc
	s_mul_f32 s16, s3, 0x2f800000
	s_delay_alu instid0(SALU_CYCLE_3) | instskip(NEXT) | instid1(SALU_CYCLE_3)
	s_trunc_f32 s16, s16
	s_fmamk_f32 s3, s16, 0xcf800000, s3
	s_cvt_u32_f32 s37, s16
	s_delay_alu instid0(SALU_CYCLE_2) | instskip(NEXT) | instid1(SALU_CYCLE_3)
	s_cvt_u32_f32 s36, s3
	s_mul_u64 s[44:45], s[38:39], s[36:37]
	s_delay_alu instid0(SALU_CYCLE_1)
	s_mul_hi_u32 s47, s36, s45
	s_mul_i32 s46, s36, s45
	s_mul_hi_u32 s16, s36, s44
	s_mul_i32 s29, s37, s44
	s_add_nc_u64 s[46:47], s[16:17], s[46:47]
	s_mul_hi_u32 s3, s37, s44
	s_mul_hi_u32 s43, s37, s45
	s_add_co_u32 s16, s46, s29
	s_add_co_ci_u32 s16, s47, s3
	s_mul_i32 s44, s37, s45
	s_add_co_ci_u32 s45, s43, 0
	s_delay_alu instid0(SALU_CYCLE_1) | instskip(NEXT) | instid1(SALU_CYCLE_1)
	s_add_nc_u64 s[44:45], s[16:17], s[44:45]
	s_add_co_u32 s36, s36, s44
	s_cselect_b32 s3, -1, 0
	s_delay_alu instid0(SALU_CYCLE_1) | instskip(SKIP_1) | instid1(SALU_CYCLE_1)
	s_cmp_lg_u32 s3, 0
	s_add_co_ci_u32 s37, s37, s45
	s_mul_u64 s[38:39], s[38:39], s[36:37]
	s_delay_alu instid0(SALU_CYCLE_1)
	s_mul_hi_u32 s45, s36, s39
	s_mul_i32 s44, s36, s39
	s_mul_hi_u32 s16, s36, s38
	s_mul_i32 s29, s37, s38
	s_add_nc_u64 s[44:45], s[16:17], s[44:45]
	s_mul_hi_u32 s3, s37, s38
	s_mul_hi_u32 s43, s37, s39
	s_add_co_u32 s16, s44, s29
	s_add_co_ci_u32 s16, s45, s3
	s_mul_i32 s38, s37, s39
	s_add_co_ci_u32 s39, s43, 0
	s_delay_alu instid0(SALU_CYCLE_1) | instskip(NEXT) | instid1(SALU_CYCLE_1)
	s_add_nc_u64 s[38:39], s[16:17], s[38:39]
	s_add_co_u32 s36, s36, s38
	s_cselect_b32 s3, -1, 0
	v_mul_hi_u32 v22, v14, s36
	s_cmp_lg_u32 s3, 0
	s_add_co_ci_u32 s16, s37, s39
	s_and_b64 s[38:39], s[36:37], s[24:25]
	v_mul_u64_e32 v[16:17], s[16:17], v[14:15]
	v_mul_u64_e32 v[10:11], s[38:39], v[18:19]
	;; [unrolled: 1-line block ×3, first 2 shown]
	s_delay_alu instid0(VALU_DEP_3) | instskip(NEXT) | instid1(VALU_DEP_1)
	v_add_nc_u64_e32 v[16:17], v[22:23], v[16:17]
	v_add_co_u32 v7, vcc_lo, v16, v10
	s_delay_alu instid0(VALU_DEP_2) | instskip(NEXT) | instid1(VALU_DEP_4)
	v_add_co_ci_u32_e32 v22, vcc_lo, v17, v11, vcc_lo
	v_add_co_ci_u32_e32 v21, vcc_lo, 0, v21, vcc_lo
	s_delay_alu instid0(VALU_DEP_1) | instskip(NEXT) | instid1(VALU_DEP_1)
	v_add_nc_u64_e32 v[10:11], v[22:23], v[20:21]
	v_mul_u64_e32 v[16:17], s[30:31], v[10:11]
	s_delay_alu instid0(VALU_DEP_1) | instskip(NEXT) | instid1(VALU_DEP_2)
	v_sub_nc_u32_e32 v7, v18, v17
	v_sub_co_u32 v13, vcc_lo, v14, v16
	s_delay_alu instid0(VALU_DEP_1) | instskip(NEXT) | instid1(VALU_DEP_3)
	v_sub_co_ci_u32_e64 v18, null, v18, v17, vcc_lo
	v_subrev_co_ci_u32_e64 v7, null, s31, v7, vcc_lo
	s_delay_alu instid0(VALU_DEP_3) | instskip(SKIP_1) | instid1(VALU_DEP_3)
	v_sub_co_u32 v14, s3, v13, s30
	v_add_nc_u64_e32 v[16:17], 1, v[10:11]
	v_subrev_co_ci_u32_e64 v7, null, 0, v7, s3
	s_delay_alu instid0(VALU_DEP_3) | instskip(SKIP_1) | instid1(VALU_DEP_3)
	v_cmp_le_u32_e32 vcc_lo, s30, v14
	v_cndmask_b32_e64 v14, 0, -1, vcc_lo
	v_cmp_le_u32_e32 vcc_lo, s31, v7
	v_cndmask_b32_e64 v15, 0, -1, vcc_lo
	;; [unrolled: 2-line block ×4, first 2 shown]
	v_cmp_eq_u32_e32 vcc_lo, s31, v7
	v_cndmask_b32_e32 v7, v15, v14, vcc_lo
	v_cmp_eq_u32_e32 vcc_lo, s31, v18
	v_add_nc_u64_e32 v[14:15], 2, v[10:11]
	v_cndmask_b32_e32 v13, v19, v13, vcc_lo
	s_delay_alu instid0(VALU_DEP_4) | instskip(NEXT) | instid1(VALU_DEP_3)
	v_cmp_ne_u32_e32 vcc_lo, 0, v7
	v_cndmask_b32_e32 v7, v17, v15, vcc_lo
	s_delay_alu instid0(VALU_DEP_3) | instskip(SKIP_1) | instid1(VALU_DEP_1)
	v_cmp_ne_u32_e64 s3, 0, v13
	v_dual_cndmask_b32 v13, v16, v14, vcc_lo :: v_dual_bitop2_b32 v12, s28, v12 bitop3:0x14
	v_dual_cndmask_b32 v7, v11, v7, s3 :: v_dual_cndmask_b32 v10, v10, v13, s3
	s_delay_alu instid0(VALU_DEP_1) | instskip(NEXT) | instid1(VALU_DEP_2)
	v_dual_mov_b32 v13, v12 :: v_dual_bitop2_b32 v11, v7, v12 bitop3:0x14
	v_xor_b32_e32 v10, v10, v12
	s_delay_alu instid0(VALU_DEP_1)
	v_sub_nc_u64_e32 v[12:13], v[10:11], v[12:13]
                                        ; implicit-def: $vgpr10_vgpr11
.LBB70_26:                              ;   in Loop: Header=BB70_16 Depth=1
	s_and_not1_saveexec_b32 s3, s35
	s_cbranch_execz .LBB70_14
; %bb.27:                               ;   in Loop: Header=BB70_16 Depth=1
	v_cvt_f32_u32_e32 v7, s22
	s_sub_co_i32 s16, 0, s22
	s_delay_alu instid0(VALU_DEP_1) | instskip(SKIP_1) | instid1(TRANS32_DEP_1)
	v_rcp_iflag_f32_e32 v7, v7
	v_nop
	v_mul_f32_e32 v7, 0x4f7ffffe, v7
	s_delay_alu instid0(VALU_DEP_1) | instskip(NEXT) | instid1(VALU_DEP_1)
	v_cvt_u32_f32_e32 v7, v7
	v_mul_lo_u32 v11, s16, v7
	s_delay_alu instid0(VALU_DEP_1) | instskip(NEXT) | instid1(VALU_DEP_1)
	v_mul_hi_u32 v11, v7, v11
	v_add_nc_u32_e32 v7, v7, v11
	s_delay_alu instid0(VALU_DEP_1) | instskip(NEXT) | instid1(VALU_DEP_1)
	v_mul_hi_u32 v7, v10, v7
	v_mul_lo_u32 v11, v7, s22
	s_delay_alu instid0(VALU_DEP_1) | instskip(SKIP_1) | instid1(VALU_DEP_2)
	v_sub_nc_u32_e32 v10, v10, v11
	v_add_nc_u32_e32 v11, 1, v7
	v_subrev_nc_u32_e32 v12, s22, v10
	v_cmp_le_u32_e32 vcc_lo, s22, v10
	s_delay_alu instid0(VALU_DEP_2) | instskip(NEXT) | instid1(VALU_DEP_1)
	v_dual_cndmask_b32 v10, v10, v12 :: v_dual_cndmask_b32 v7, v7, v11
	v_cmp_le_u32_e32 vcc_lo, s22, v10
	s_delay_alu instid0(VALU_DEP_2) | instskip(NEXT) | instid1(VALU_DEP_1)
	v_add_nc_u32_e32 v11, 1, v7
	v_cndmask_b32_e32 v12, v7, v11, vcc_lo
	s_branch .LBB70_14
.LBB70_28:
	s_or_b32 exec_lo, exec_lo, s33
	s_load_b64 s[0:1], s[0:1], 0xd0
; %bb.29:
	s_wait_dscnt 0x0
	s_barrier_signal -1
	s_barrier_wait -1
	s_and_saveexec_b32 s3, s2
	s_cbranch_execz .LBB70_32
; %bb.30:
	v_dual_mov_b32 v3, 0 :: v_dual_lshlrev_b32 v9, 2, v2
	s_wait_kmcnt 0x0
	v_mul_u64_e32 v[4:5], s[0:1], v[0:1]
	v_lshl_add_u32 v8, v0, 2, 0
	s_delay_alu instid0(VALU_DEP_3) | instskip(SKIP_1) | instid1(VALU_DEP_3)
	v_mul_u64_e32 v[6:7], s[0:1], v[2:3]
	s_mov_b32 s0, 0
	v_lshl_add_u64 v[4:5], v[4:5], 2, s[12:13]
	s_delay_alu instid0(VALU_DEP_2)
	v_lshlrev_b64_e32 v[6:7], 2, v[6:7]
.LBB70_31:                              ; =>This Inner Loop Header: Depth=1
	ds_load_b32 v10, v8
	v_add_nc_u64_e32 v[0:1], v[0:1], v[2:3]
	v_add_nc_u32_e32 v8, v8, v9
	s_delay_alu instid0(VALU_DEP_2)
	v_cmp_le_i64_e32 vcc_lo, s[14:15], v[0:1]
	s_or_b32 s0, vcc_lo, s0
	s_wait_dscnt 0x0
	global_atomic_add_u32 v[4:5], v10, off scope:SCOPE_DEV
	s_wait_xcnt 0x0
	v_add_nc_u64_e32 v[4:5], v[4:5], v[6:7]
	s_and_not1_b32 exec_lo, exec_lo, s0
	s_cbranch_execnz .LBB70_31
.LBB70_32:
	s_endpgm
	.section	.rodata,"a",@progbits
	.p2align	6, 0x0
	.amdhsa_kernel _ZN2at4cuda17kernelHistogram1DIiilLi1ELi2ELin1ELNS0_23CUDAHistogramMemoryTypeE0EZNS0_21CUDA_tensor_histogramIiiLb0EEEbNS_6TensorES4_S4_lNS_14AccumulateTypeIT0_Lb1EE4typeES8_NS0_13TensorArgTypeES9_S9_EUllE0_EEvNS0_6detail10TensorInfoIT_T1_EESF_NSC_IKS6_SE_EElS8_S8_SE_T6_
		.amdhsa_group_segment_fixed_size 0
		.amdhsa_private_segment_fixed_size 0
		.amdhsa_kernarg_size 1544
		.amdhsa_user_sgpr_count 2
		.amdhsa_user_sgpr_dispatch_ptr 0
		.amdhsa_user_sgpr_queue_ptr 0
		.amdhsa_user_sgpr_kernarg_segment_ptr 1
		.amdhsa_user_sgpr_dispatch_id 0
		.amdhsa_user_sgpr_kernarg_preload_length 0
		.amdhsa_user_sgpr_kernarg_preload_offset 0
		.amdhsa_user_sgpr_private_segment_size 0
		.amdhsa_wavefront_size32 1
		.amdhsa_uses_dynamic_stack 0
		.amdhsa_enable_private_segment 0
		.amdhsa_system_sgpr_workgroup_id_x 1
		.amdhsa_system_sgpr_workgroup_id_y 0
		.amdhsa_system_sgpr_workgroup_id_z 0
		.amdhsa_system_sgpr_workgroup_info 0
		.amdhsa_system_vgpr_workitem_id 0
		.amdhsa_next_free_vgpr 28
		.amdhsa_next_free_sgpr 53
		.amdhsa_named_barrier_count 0
		.amdhsa_reserve_vcc 1
		.amdhsa_float_round_mode_32 0
		.amdhsa_float_round_mode_16_64 0
		.amdhsa_float_denorm_mode_32 3
		.amdhsa_float_denorm_mode_16_64 3
		.amdhsa_fp16_overflow 0
		.amdhsa_memory_ordered 1
		.amdhsa_forward_progress 1
		.amdhsa_inst_pref_size 20
		.amdhsa_round_robin_scheduling 0
		.amdhsa_exception_fp_ieee_invalid_op 0
		.amdhsa_exception_fp_denorm_src 0
		.amdhsa_exception_fp_ieee_div_zero 0
		.amdhsa_exception_fp_ieee_overflow 0
		.amdhsa_exception_fp_ieee_underflow 0
		.amdhsa_exception_fp_ieee_inexact 0
		.amdhsa_exception_int_div_zero 0
	.end_amdhsa_kernel
	.section	.text._ZN2at4cuda17kernelHistogram1DIiilLi1ELi2ELin1ELNS0_23CUDAHistogramMemoryTypeE0EZNS0_21CUDA_tensor_histogramIiiLb0EEEbNS_6TensorES4_S4_lNS_14AccumulateTypeIT0_Lb1EE4typeES8_NS0_13TensorArgTypeES9_S9_EUllE0_EEvNS0_6detail10TensorInfoIT_T1_EESF_NSC_IKS6_SE_EElS8_S8_SE_T6_,"axG",@progbits,_ZN2at4cuda17kernelHistogram1DIiilLi1ELi2ELin1ELNS0_23CUDAHistogramMemoryTypeE0EZNS0_21CUDA_tensor_histogramIiiLb0EEEbNS_6TensorES4_S4_lNS_14AccumulateTypeIT0_Lb1EE4typeES8_NS0_13TensorArgTypeES9_S9_EUllE0_EEvNS0_6detail10TensorInfoIT_T1_EESF_NSC_IKS6_SE_EElS8_S8_SE_T6_,comdat
.Lfunc_end70:
	.size	_ZN2at4cuda17kernelHistogram1DIiilLi1ELi2ELin1ELNS0_23CUDAHistogramMemoryTypeE0EZNS0_21CUDA_tensor_histogramIiiLb0EEEbNS_6TensorES4_S4_lNS_14AccumulateTypeIT0_Lb1EE4typeES8_NS0_13TensorArgTypeES9_S9_EUllE0_EEvNS0_6detail10TensorInfoIT_T1_EESF_NSC_IKS6_SE_EElS8_S8_SE_T6_, .Lfunc_end70-_ZN2at4cuda17kernelHistogram1DIiilLi1ELi2ELin1ELNS0_23CUDAHistogramMemoryTypeE0EZNS0_21CUDA_tensor_histogramIiiLb0EEEbNS_6TensorES4_S4_lNS_14AccumulateTypeIT0_Lb1EE4typeES8_NS0_13TensorArgTypeES9_S9_EUllE0_EEvNS0_6detail10TensorInfoIT_T1_EESF_NSC_IKS6_SE_EElS8_S8_SE_T6_
                                        ; -- End function
	.set _ZN2at4cuda17kernelHistogram1DIiilLi1ELi2ELin1ELNS0_23CUDAHistogramMemoryTypeE0EZNS0_21CUDA_tensor_histogramIiiLb0EEEbNS_6TensorES4_S4_lNS_14AccumulateTypeIT0_Lb1EE4typeES8_NS0_13TensorArgTypeES9_S9_EUllE0_EEvNS0_6detail10TensorInfoIT_T1_EESF_NSC_IKS6_SE_EElS8_S8_SE_T6_.num_vgpr, 28
	.set _ZN2at4cuda17kernelHistogram1DIiilLi1ELi2ELin1ELNS0_23CUDAHistogramMemoryTypeE0EZNS0_21CUDA_tensor_histogramIiiLb0EEEbNS_6TensorES4_S4_lNS_14AccumulateTypeIT0_Lb1EE4typeES8_NS0_13TensorArgTypeES9_S9_EUllE0_EEvNS0_6detail10TensorInfoIT_T1_EESF_NSC_IKS6_SE_EElS8_S8_SE_T6_.num_agpr, 0
	.set _ZN2at4cuda17kernelHistogram1DIiilLi1ELi2ELin1ELNS0_23CUDAHistogramMemoryTypeE0EZNS0_21CUDA_tensor_histogramIiiLb0EEEbNS_6TensorES4_S4_lNS_14AccumulateTypeIT0_Lb1EE4typeES8_NS0_13TensorArgTypeES9_S9_EUllE0_EEvNS0_6detail10TensorInfoIT_T1_EESF_NSC_IKS6_SE_EElS8_S8_SE_T6_.numbered_sgpr, 53
	.set _ZN2at4cuda17kernelHistogram1DIiilLi1ELi2ELin1ELNS0_23CUDAHistogramMemoryTypeE0EZNS0_21CUDA_tensor_histogramIiiLb0EEEbNS_6TensorES4_S4_lNS_14AccumulateTypeIT0_Lb1EE4typeES8_NS0_13TensorArgTypeES9_S9_EUllE0_EEvNS0_6detail10TensorInfoIT_T1_EESF_NSC_IKS6_SE_EElS8_S8_SE_T6_.num_named_barrier, 0
	.set _ZN2at4cuda17kernelHistogram1DIiilLi1ELi2ELin1ELNS0_23CUDAHistogramMemoryTypeE0EZNS0_21CUDA_tensor_histogramIiiLb0EEEbNS_6TensorES4_S4_lNS_14AccumulateTypeIT0_Lb1EE4typeES8_NS0_13TensorArgTypeES9_S9_EUllE0_EEvNS0_6detail10TensorInfoIT_T1_EESF_NSC_IKS6_SE_EElS8_S8_SE_T6_.private_seg_size, 0
	.set _ZN2at4cuda17kernelHistogram1DIiilLi1ELi2ELin1ELNS0_23CUDAHistogramMemoryTypeE0EZNS0_21CUDA_tensor_histogramIiiLb0EEEbNS_6TensorES4_S4_lNS_14AccumulateTypeIT0_Lb1EE4typeES8_NS0_13TensorArgTypeES9_S9_EUllE0_EEvNS0_6detail10TensorInfoIT_T1_EESF_NSC_IKS6_SE_EElS8_S8_SE_T6_.uses_vcc, 1
	.set _ZN2at4cuda17kernelHistogram1DIiilLi1ELi2ELin1ELNS0_23CUDAHistogramMemoryTypeE0EZNS0_21CUDA_tensor_histogramIiiLb0EEEbNS_6TensorES4_S4_lNS_14AccumulateTypeIT0_Lb1EE4typeES8_NS0_13TensorArgTypeES9_S9_EUllE0_EEvNS0_6detail10TensorInfoIT_T1_EESF_NSC_IKS6_SE_EElS8_S8_SE_T6_.uses_flat_scratch, 0
	.set _ZN2at4cuda17kernelHistogram1DIiilLi1ELi2ELin1ELNS0_23CUDAHistogramMemoryTypeE0EZNS0_21CUDA_tensor_histogramIiiLb0EEEbNS_6TensorES4_S4_lNS_14AccumulateTypeIT0_Lb1EE4typeES8_NS0_13TensorArgTypeES9_S9_EUllE0_EEvNS0_6detail10TensorInfoIT_T1_EESF_NSC_IKS6_SE_EElS8_S8_SE_T6_.has_dyn_sized_stack, 0
	.set _ZN2at4cuda17kernelHistogram1DIiilLi1ELi2ELin1ELNS0_23CUDAHistogramMemoryTypeE0EZNS0_21CUDA_tensor_histogramIiiLb0EEEbNS_6TensorES4_S4_lNS_14AccumulateTypeIT0_Lb1EE4typeES8_NS0_13TensorArgTypeES9_S9_EUllE0_EEvNS0_6detail10TensorInfoIT_T1_EESF_NSC_IKS6_SE_EElS8_S8_SE_T6_.has_recursion, 0
	.set _ZN2at4cuda17kernelHistogram1DIiilLi1ELi2ELin1ELNS0_23CUDAHistogramMemoryTypeE0EZNS0_21CUDA_tensor_histogramIiiLb0EEEbNS_6TensorES4_S4_lNS_14AccumulateTypeIT0_Lb1EE4typeES8_NS0_13TensorArgTypeES9_S9_EUllE0_EEvNS0_6detail10TensorInfoIT_T1_EESF_NSC_IKS6_SE_EElS8_S8_SE_T6_.has_indirect_call, 0
	.section	.AMDGPU.csdata,"",@progbits
; Kernel info:
; codeLenInByte = 2484
; TotalNumSgprs: 55
; NumVgprs: 28
; ScratchSize: 0
; MemoryBound: 0
; FloatMode: 240
; IeeeMode: 1
; LDSByteSize: 0 bytes/workgroup (compile time only)
; SGPRBlocks: 0
; VGPRBlocks: 1
; NumSGPRsForWavesPerEU: 55
; NumVGPRsForWavesPerEU: 28
; NamedBarCnt: 0
; Occupancy: 16
; WaveLimiterHint : 1
; COMPUTE_PGM_RSRC2:SCRATCH_EN: 0
; COMPUTE_PGM_RSRC2:USER_SGPR: 2
; COMPUTE_PGM_RSRC2:TRAP_HANDLER: 0
; COMPUTE_PGM_RSRC2:TGID_X_EN: 1
; COMPUTE_PGM_RSRC2:TGID_Y_EN: 0
; COMPUTE_PGM_RSRC2:TGID_Z_EN: 0
; COMPUTE_PGM_RSRC2:TIDIG_COMP_CNT: 0
	.section	.text._ZN2at4cuda17kernelHistogram1DIiilLi1ELi2ELin1ELNS0_23CUDAHistogramMemoryTypeE1EZNS0_21CUDA_tensor_histogramIiiLb0EEEbNS_6TensorES4_S4_lNS_14AccumulateTypeIT0_Lb1EE4typeES8_NS0_13TensorArgTypeES9_S9_EUllE0_EEvNS0_6detail10TensorInfoIT_T1_EESF_NSC_IKS6_SE_EElS8_S8_SE_T6_,"axG",@progbits,_ZN2at4cuda17kernelHistogram1DIiilLi1ELi2ELin1ELNS0_23CUDAHistogramMemoryTypeE1EZNS0_21CUDA_tensor_histogramIiiLb0EEEbNS_6TensorES4_S4_lNS_14AccumulateTypeIT0_Lb1EE4typeES8_NS0_13TensorArgTypeES9_S9_EUllE0_EEvNS0_6detail10TensorInfoIT_T1_EESF_NSC_IKS6_SE_EElS8_S8_SE_T6_,comdat
	.protected	_ZN2at4cuda17kernelHistogram1DIiilLi1ELi2ELin1ELNS0_23CUDAHistogramMemoryTypeE1EZNS0_21CUDA_tensor_histogramIiiLb0EEEbNS_6TensorES4_S4_lNS_14AccumulateTypeIT0_Lb1EE4typeES8_NS0_13TensorArgTypeES9_S9_EUllE0_EEvNS0_6detail10TensorInfoIT_T1_EESF_NSC_IKS6_SE_EElS8_S8_SE_T6_ ; -- Begin function _ZN2at4cuda17kernelHistogram1DIiilLi1ELi2ELin1ELNS0_23CUDAHistogramMemoryTypeE1EZNS0_21CUDA_tensor_histogramIiiLb0EEEbNS_6TensorES4_S4_lNS_14AccumulateTypeIT0_Lb1EE4typeES8_NS0_13TensorArgTypeES9_S9_EUllE0_EEvNS0_6detail10TensorInfoIT_T1_EESF_NSC_IKS6_SE_EElS8_S8_SE_T6_
	.globl	_ZN2at4cuda17kernelHistogram1DIiilLi1ELi2ELin1ELNS0_23CUDAHistogramMemoryTypeE1EZNS0_21CUDA_tensor_histogramIiiLb0EEEbNS_6TensorES4_S4_lNS_14AccumulateTypeIT0_Lb1EE4typeES8_NS0_13TensorArgTypeES9_S9_EUllE0_EEvNS0_6detail10TensorInfoIT_T1_EESF_NSC_IKS6_SE_EElS8_S8_SE_T6_
	.p2align	8
	.type	_ZN2at4cuda17kernelHistogram1DIiilLi1ELi2ELin1ELNS0_23CUDAHistogramMemoryTypeE1EZNS0_21CUDA_tensor_histogramIiiLb0EEEbNS_6TensorES4_S4_lNS_14AccumulateTypeIT0_Lb1EE4typeES8_NS0_13TensorArgTypeES9_S9_EUllE0_EEvNS0_6detail10TensorInfoIT_T1_EESF_NSC_IKS6_SE_EElS8_S8_SE_T6_,@function
_ZN2at4cuda17kernelHistogram1DIiilLi1ELi2ELin1ELNS0_23CUDAHistogramMemoryTypeE1EZNS0_21CUDA_tensor_histogramIiiLb0EEEbNS_6TensorES4_S4_lNS_14AccumulateTypeIT0_Lb1EE4typeES8_NS0_13TensorArgTypeES9_S9_EUllE0_EEvNS0_6detail10TensorInfoIT_T1_EESF_NSC_IKS6_SE_EElS8_S8_SE_T6_: ; @_ZN2at4cuda17kernelHistogram1DIiilLi1ELi2ELin1ELNS0_23CUDAHistogramMemoryTypeE1EZNS0_21CUDA_tensor_histogramIiiLb0EEEbNS_6TensorES4_S4_lNS_14AccumulateTypeIT0_Lb1EE4typeES8_NS0_13TensorArgTypeES9_S9_EUllE0_EEvNS0_6detail10TensorInfoIT_T1_EESF_NSC_IKS6_SE_EElS8_S8_SE_T6_
; %bb.0:
	s_load_b32 s2, s[0:1], 0x514
	s_bfe_u32 s12, ttmp6, 0x4000c
	s_load_b256 s[4:11], s[0:1], 0x4e0
	s_add_co_i32 s12, s12, 1
	s_and_b32 s3, ttmp6, 15
	s_mul_i32 s12, ttmp9, s12
	s_getreg_b32 s13, hwreg(HW_REG_IB_STS2, 6, 4)
	s_add_co_i32 s3, s3, s12
	v_mov_b32_e32 v2, 0
	s_mov_b32 s12, exec_lo
	s_delay_alu instid0(VALU_DEP_1) | instskip(SKIP_4) | instid1(SALU_CYCLE_1)
	v_mov_b32_e32 v1, v2
	s_wait_kmcnt 0x0
	s_and_b32 s2, s2, 0xffff
	s_cmp_eq_u32 s13, 0
	s_cselect_b32 s3, ttmp9, s3
	v_mad_u32 v0, s3, s2, v0
	s_mov_b32 s3, 0
	s_delay_alu instid0(VALU_DEP_1)
	v_cmpx_gt_i64_e64 s[10:11], v[0:1]
	s_cbranch_execz .LBB71_16
; %bb.1:
	s_load_b32 s28, s[0:1], 0x4d8
	s_add_nc_u64 s[20:21], s[0:1], 0x508
	s_load_b32 s22, s[20:21], 0x0
	s_clause 0x3
	s_load_b64 s[12:13], s[0:1], 0x0
	s_load_b64 s[14:15], s[0:1], 0xd0
	;; [unrolled: 1-line block ×4, first 2 shown]
	s_add_nc_u64 s[26:27], s[0:1], 0x340
	v_mov_b32_e32 v10, 1
	s_wait_xcnt 0x0
	s_sub_nc_u64 s[20:21], s[8:9], s[6:7]
	s_mov_b32 s23, s3
	s_mov_b64 s[24:25], 0xffffffff
	s_mov_b32 s40, 0
	s_wait_kmcnt 0x0
	s_mul_i32 s22, s22, s2
	s_cmp_gt_i32 s28, 1
	s_cselect_b32 s1, -1, 0
	s_add_co_i32 s2, s28, -1
	s_add_co_i32 s33, s28, 1
	s_lshl_b64 s[28:29], s[2:3], 3
	s_delay_alu instid0(SALU_CYCLE_1)
	s_add_nc_u64 s[28:29], s[26:27], s[28:29]
	s_ashr_i32 s26, s21, 31
	s_add_nc_u64 s[28:29], s[28:29], 8
	s_branch .LBB71_4
.LBB71_2:                               ;   in Loop: Header=BB71_4 Depth=1
	s_or_b32 exec_lo, exec_lo, s0
	s_delay_alu instid0(VALU_DEP_1) | instskip(NEXT) | instid1(VALU_DEP_1)
	v_dual_ashrrev_i32 v7, 31, v6 :: v_dual_mov_b32 v5, s3
	v_cmp_eq_u64_e32 vcc_lo, s[4:5], v[6:7]
	v_cndmask_b32_e64 v4, 0, 1, vcc_lo
	s_delay_alu instid0(VALU_DEP_1) | instskip(NEXT) | instid1(VALU_DEP_1)
	v_sub_nc_u64_e32 v[4:5], v[6:7], v[4:5]
	v_mul_u64_e32 v[4:5], s[14:15], v[4:5]
	s_delay_alu instid0(VALU_DEP_1)
	v_lshl_add_u64 v[4:5], v[4:5], 2, s[12:13]
	global_atomic_add_u32 v[4:5], v10, off scope:SCOPE_DEV
.LBB71_3:                               ;   in Loop: Header=BB71_4 Depth=1
	s_wait_xcnt 0x0
	s_or_b32 exec_lo, exec_lo, s34
	v_add_nc_u64_e32 v[0:1], s[22:23], v[0:1]
	s_delay_alu instid0(VALU_DEP_1) | instskip(SKIP_1) | instid1(SALU_CYCLE_1)
	v_cmp_le_i64_e32 vcc_lo, s[10:11], v[0:1]
	s_or_b32 s40, vcc_lo, s40
	s_and_not1_b32 exec_lo, exec_lo, s40
	s_cbranch_execz .LBB71_16
.LBB71_4:                               ; =>This Loop Header: Depth=1
                                        ;     Child Loop BB71_5 Depth 2
	v_mov_b64_e32 v[4:5], 0
	v_mov_b64_e32 v[6:7], v[0:1]
	;; [unrolled: 1-line block ×3, first 2 shown]
	s_and_not1_b32 vcc_lo, exec_lo, s1
	s_mov_b64 s[30:31], s[28:29]
	s_mov_b32 s27, s33
	s_cbranch_vccnz .LBB71_11
.LBB71_5:                               ;   Parent Loop BB71_4 Depth=1
                                        ; =>  This Inner Loop Header: Depth=2
	s_load_b64 s[34:35], s[30:31], 0x0
                                        ; implicit-def: $vgpr8_vgpr9
	s_mov_b32 s0, exec_lo
	s_wait_kmcnt 0x0
	s_delay_alu instid0(VALU_DEP_1) | instskip(NEXT) | instid1(VALU_DEP_1)
	v_or_b32_e32 v3, s35, v7
	v_cmpx_ne_u64_e32 0, v[2:3]
	s_xor_b32 s41, exec_lo, s0
	s_cbranch_execz .LBB71_7
; %bb.6:                                ;   in Loop: Header=BB71_5 Depth=2
	s_ashr_i32 s36, s35, 31
	v_dual_mov_b32 v15, v2 :: v_dual_ashrrev_i32 v8, 31, v7
	s_mov_b32 s37, s36
	v_mov_b32_e32 v19, v2
	s_add_nc_u64 s[38:39], s[34:35], s[36:37]
	s_delay_alu instid0(VALU_DEP_2)
	v_mov_b32_e32 v9, v8
	s_xor_b64 s[38:39], s[38:39], s[36:37]
	v_mov_b32_e32 v23, v2
	s_cvt_f32_u32 s0, s38
	s_cvt_f32_u32 s2, s39
	s_sub_nc_u64 s[44:45], 0, s[38:39]
	v_add_nc_u64_e32 v[12:13], v[6:7], v[8:9]
	s_delay_alu instid0(SALU_CYCLE_1) | instskip(NEXT) | instid1(SALU_CYCLE_3)
	s_fmamk_f32 s0, s2, 0x4f800000, s0
	v_s_rcp_f32 s0, s0
	s_delay_alu instid0(VALU_DEP_1) | instskip(NEXT) | instid1(VALU_DEP_2)
	v_xor_b32_e32 v14, v12, v8
	v_xor_b32_e32 v18, v13, v8
	s_delay_alu instid0(TRANS32_DEP_1) | instskip(NEXT) | instid1(SALU_CYCLE_3)
	s_mul_f32 s0, s0, 0x5f7ffffc
	s_mul_f32 s2, s0, 0x2f800000
	s_delay_alu instid0(SALU_CYCLE_3) | instskip(NEXT) | instid1(SALU_CYCLE_3)
	s_trunc_f32 s2, s2
	s_fmamk_f32 s0, s2, 0xcf800000, s0
	s_cvt_u32_f32 s43, s2
	s_delay_alu instid0(SALU_CYCLE_2) | instskip(NEXT) | instid1(SALU_CYCLE_3)
	s_cvt_u32_f32 s42, s0
	s_mul_u64 s[46:47], s[44:45], s[42:43]
	s_delay_alu instid0(SALU_CYCLE_1)
	s_mul_hi_u32 s49, s42, s47
	s_mul_i32 s48, s42, s47
	s_mul_hi_u32 s2, s42, s46
	s_mul_i32 s37, s43, s46
	s_add_nc_u64 s[48:49], s[2:3], s[48:49]
	s_mul_hi_u32 s0, s43, s46
	s_mul_hi_u32 s50, s43, s47
	s_add_co_u32 s2, s48, s37
	s_add_co_ci_u32 s2, s49, s0
	s_mul_i32 s46, s43, s47
	s_add_co_ci_u32 s47, s50, 0
	s_delay_alu instid0(SALU_CYCLE_1) | instskip(NEXT) | instid1(SALU_CYCLE_1)
	s_add_nc_u64 s[46:47], s[2:3], s[46:47]
	s_add_co_u32 s42, s42, s46
	s_cselect_b32 s0, -1, 0
	s_delay_alu instid0(SALU_CYCLE_1) | instskip(SKIP_1) | instid1(SALU_CYCLE_1)
	s_cmp_lg_u32 s0, 0
	s_add_co_ci_u32 s43, s43, s47
	s_mul_u64 s[44:45], s[44:45], s[42:43]
	s_delay_alu instid0(SALU_CYCLE_1)
	s_mul_hi_u32 s47, s42, s45
	s_mul_i32 s46, s42, s45
	s_mul_hi_u32 s2, s42, s44
	s_mul_i32 s37, s43, s44
	s_add_nc_u64 s[46:47], s[2:3], s[46:47]
	s_mul_hi_u32 s0, s43, s44
	s_mul_hi_u32 s48, s43, s45
	s_add_co_u32 s2, s46, s37
	s_add_co_ci_u32 s2, s47, s0
	s_mul_i32 s44, s43, s45
	s_add_co_ci_u32 s45, s48, 0
	s_delay_alu instid0(SALU_CYCLE_1) | instskip(NEXT) | instid1(SALU_CYCLE_1)
	s_add_nc_u64 s[44:45], s[2:3], s[44:45]
	s_add_co_u32 s0, s42, s44
	s_cselect_b32 s2, -1, 0
	v_mul_hi_u32 v22, v14, s0
	s_cmp_lg_u32 s2, 0
	s_add_co_ci_u32 s2, s43, s45
	s_and_b64 s[42:43], s[0:1], s[24:25]
	v_mul_u64_e32 v[16:17], s[2:3], v[14:15]
	v_mul_u64_e32 v[12:13], s[42:43], v[18:19]
	;; [unrolled: 1-line block ×3, first 2 shown]
	s_delay_alu instid0(VALU_DEP_3) | instskip(NEXT) | instid1(VALU_DEP_1)
	v_add_nc_u64_e32 v[16:17], v[22:23], v[16:17]
	v_add_co_u32 v3, vcc_lo, v16, v12
	s_delay_alu instid0(VALU_DEP_2) | instskip(NEXT) | instid1(VALU_DEP_4)
	v_add_co_ci_u32_e32 v22, vcc_lo, v17, v13, vcc_lo
	v_add_co_ci_u32_e32 v21, vcc_lo, 0, v21, vcc_lo
	s_delay_alu instid0(VALU_DEP_1) | instskip(NEXT) | instid1(VALU_DEP_1)
	v_add_nc_u64_e32 v[12:13], v[22:23], v[20:21]
	v_mul_u64_e32 v[16:17], s[38:39], v[12:13]
	s_delay_alu instid0(VALU_DEP_1) | instskip(NEXT) | instid1(VALU_DEP_2)
	v_sub_nc_u32_e32 v3, v18, v17
	v_sub_co_u32 v9, vcc_lo, v14, v16
	s_delay_alu instid0(VALU_DEP_1) | instskip(NEXT) | instid1(VALU_DEP_3)
	v_sub_co_ci_u32_e64 v18, null, v18, v17, vcc_lo
	v_subrev_co_ci_u32_e64 v3, null, s39, v3, vcc_lo
	s_delay_alu instid0(VALU_DEP_3) | instskip(SKIP_1) | instid1(VALU_DEP_3)
	v_sub_co_u32 v11, s0, v9, s38
	v_add_nc_u64_e32 v[16:17], 1, v[12:13]
	v_subrev_co_ci_u32_e64 v3, null, 0, v3, s0
	s_delay_alu instid0(VALU_DEP_3) | instskip(SKIP_1) | instid1(VALU_DEP_3)
	v_cmp_le_u32_e32 vcc_lo, s38, v11
	v_cndmask_b32_e64 v11, 0, -1, vcc_lo
	v_cmp_le_u32_e32 vcc_lo, s39, v3
	v_cndmask_b32_e64 v14, 0, -1, vcc_lo
	;; [unrolled: 2-line block ×4, first 2 shown]
	v_cmp_eq_u32_e32 vcc_lo, s39, v3
	v_cndmask_b32_e32 v3, v14, v11, vcc_lo
	v_cmp_eq_u32_e32 vcc_lo, s39, v18
	v_add_nc_u64_e32 v[14:15], 2, v[12:13]
	v_cndmask_b32_e32 v9, v19, v9, vcc_lo
	s_delay_alu instid0(VALU_DEP_4) | instskip(NEXT) | instid1(VALU_DEP_3)
	v_cmp_ne_u32_e32 vcc_lo, 0, v3
	v_cndmask_b32_e32 v3, v17, v15, vcc_lo
	s_delay_alu instid0(VALU_DEP_3) | instskip(SKIP_1) | instid1(VALU_DEP_1)
	v_cmp_ne_u32_e64 s0, 0, v9
	v_dual_cndmask_b32 v9, v16, v14, vcc_lo :: v_dual_bitop2_b32 v8, s36, v8 bitop3:0x14
	v_dual_cndmask_b32 v3, v13, v3, s0 :: v_dual_cndmask_b32 v11, v12, v9, s0
	s_delay_alu instid0(VALU_DEP_1) | instskip(NEXT) | instid1(VALU_DEP_2)
	v_dual_mov_b32 v9, v8 :: v_dual_bitop2_b32 v13, v3, v8 bitop3:0x14
	v_xor_b32_e32 v12, v11, v8
	s_delay_alu instid0(VALU_DEP_1)
	v_sub_nc_u64_e32 v[8:9], v[12:13], v[8:9]
.LBB71_7:                               ;   in Loop: Header=BB71_5 Depth=2
	s_and_not1_saveexec_b32 s0, s41
	s_cbranch_execz .LBB71_9
; %bb.8:                                ;   in Loop: Header=BB71_5 Depth=2
	v_cvt_f32_u32_e32 v3, s34
	s_sub_co_i32 s2, 0, s34
	s_delay_alu instid0(VALU_DEP_1) | instskip(SKIP_1) | instid1(TRANS32_DEP_1)
	v_rcp_iflag_f32_e32 v3, v3
	v_nop
	v_mul_f32_e32 v3, 0x4f7ffffe, v3
	s_delay_alu instid0(VALU_DEP_1) | instskip(NEXT) | instid1(VALU_DEP_1)
	v_cvt_u32_f32_e32 v3, v3
	v_mul_lo_u32 v8, s2, v3
	s_delay_alu instid0(VALU_DEP_1) | instskip(NEXT) | instid1(VALU_DEP_1)
	v_mul_hi_u32 v8, v3, v8
	v_add_nc_u32_e32 v3, v3, v8
	s_delay_alu instid0(VALU_DEP_1) | instskip(NEXT) | instid1(VALU_DEP_1)
	v_mul_hi_u32 v3, v6, v3
	v_mul_lo_u32 v8, v3, s34
	s_delay_alu instid0(VALU_DEP_1) | instskip(NEXT) | instid1(VALU_DEP_1)
	v_dual_add_nc_u32 v9, 1, v3 :: v_dual_sub_nc_u32 v8, v6, v8
	v_subrev_nc_u32_e32 v11, s34, v8
	v_cmp_le_u32_e32 vcc_lo, s34, v8
	s_delay_alu instid0(VALU_DEP_2) | instskip(NEXT) | instid1(VALU_DEP_1)
	v_dual_cndmask_b32 v8, v8, v11 :: v_dual_cndmask_b32 v3, v3, v9
	v_cmp_le_u32_e32 vcc_lo, s34, v8
	s_delay_alu instid0(VALU_DEP_2) | instskip(NEXT) | instid1(VALU_DEP_1)
	v_add_nc_u32_e32 v9, 1, v3
	v_dual_cndmask_b32 v8, v3, v9 :: v_dual_mov_b32 v9, v2
.LBB71_9:                               ;   in Loop: Header=BB71_5 Depth=2
	s_or_b32 exec_lo, exec_lo, s0
	s_delay_alu instid0(VALU_DEP_1)
	v_mul_u64_e32 v[12:13], s[34:35], v[8:9]
	s_load_b64 s[34:35], s[30:31], 0xc8
	s_add_co_i32 s27, s27, -1
	s_wait_xcnt 0x0
	s_add_nc_u64 s[30:31], s[30:31], -8
	s_cmp_gt_u32 s27, 2
	s_delay_alu instid0(VALU_DEP_1) | instskip(SKIP_1) | instid1(VALU_DEP_1)
	v_sub_nc_u64_e32 v[6:7], v[6:7], v[12:13]
	s_wait_kmcnt 0x0
	v_mad_nc_u64_u32 v[4:5], s34, v6, v[4:5]
	s_delay_alu instid0(VALU_DEP_1) | instskip(NEXT) | instid1(VALU_DEP_1)
	v_mad_u32 v3, s35, v6, v5
	v_mad_u32 v5, s34, v7, v3
	s_cbranch_scc0 .LBB71_11
; %bb.10:                               ;   in Loop: Header=BB71_5 Depth=2
	v_mov_b64_e32 v[6:7], v[8:9]
	s_branch .LBB71_5
.LBB71_11:                              ;   in Loop: Header=BB71_4 Depth=1
	s_delay_alu instid0(VALU_DEP_1) | instskip(NEXT) | instid1(VALU_DEP_1)
	v_mul_u64_e32 v[6:7], s[16:17], v[8:9]
	v_lshl_add_u64 v[6:7], v[6:7], 2, s[18:19]
	s_delay_alu instid0(VALU_DEP_1) | instskip(SKIP_4) | instid1(VALU_DEP_1)
	v_lshl_add_u64 v[4:5], v[4:5], 2, v[6:7]
	global_load_b32 v4, v[4:5], off
	s_wait_loadcnt 0x0
	s_wait_xcnt 0x0
	v_ashrrev_i32_e32 v5, 31, v4
	v_cmp_le_i64_e32 vcc_lo, s[6:7], v[4:5]
	v_cmp_ge_i64_e64 s0, s[8:9], v[4:5]
	s_and_b32 s0, vcc_lo, s0
	s_delay_alu instid0(SALU_CYCLE_1)
	s_and_saveexec_b32 s34, s0
	s_cbranch_execz .LBB71_3
; %bb.12:                               ;   in Loop: Header=BB71_4 Depth=1
	v_sub_nc_u64_e64 v[4:5], v[4:5], s[6:7]
                                        ; implicit-def: $vgpr6_vgpr7
	s_mov_b32 s0, exec_lo
	s_delay_alu instid0(VALU_DEP_1) | instskip(NEXT) | instid1(VALU_DEP_1)
	v_mul_u64_e32 v[4:5], s[4:5], v[4:5]
	v_or_b32_e32 v3, s21, v5
	s_delay_alu instid0(VALU_DEP_1)
	v_cmpx_ne_u64_e32 0, v[2:3]
	s_xor_b32 s35, exec_lo, s0
	s_cbranch_execz .LBB71_14
; %bb.13:                               ;   in Loop: Header=BB71_4 Depth=1
	s_mov_b32 s27, s26
	v_dual_mov_b32 v9, v2 :: v_dual_ashrrev_i32 v6, 31, v5
	s_add_nc_u64 s[30:31], s[20:21], s[26:27]
	v_mov_b32_e32 v19, v2
	s_xor_b64 s[30:31], s[30:31], s[26:27]
	s_delay_alu instid0(VALU_DEP_2) | instskip(SKIP_3) | instid1(VALU_DEP_1)
	v_mov_b32_e32 v7, v6
	s_cvt_f32_u32 s0, s30
	s_cvt_f32_u32 s2, s31
	s_sub_nc_u64 s[38:39], 0, s[30:31]
	v_add_nc_u64_e32 v[4:5], v[4:5], v[6:7]
	s_delay_alu instid0(SALU_CYCLE_1) | instskip(SKIP_1) | instid1(SALU_CYCLE_2)
	s_fmamk_f32 s0, s2, 0x4f800000, s0
	v_mov_b32_e32 v15, v2
	v_s_rcp_f32 s0, s0
	s_delay_alu instid0(VALU_DEP_2) | instskip(NEXT) | instid1(VALU_DEP_3)
	v_xor_b32_e32 v8, v4, v6
	v_xor_b32_e32 v14, v5, v6
	s_delay_alu instid0(TRANS32_DEP_1) | instskip(NEXT) | instid1(SALU_CYCLE_3)
	s_mul_f32 s0, s0, 0x5f7ffffc
	s_mul_f32 s2, s0, 0x2f800000
	s_delay_alu instid0(SALU_CYCLE_3) | instskip(NEXT) | instid1(SALU_CYCLE_3)
	s_trunc_f32 s2, s2
	s_fmamk_f32 s0, s2, 0xcf800000, s0
	s_cvt_u32_f32 s37, s2
	s_delay_alu instid0(SALU_CYCLE_2) | instskip(NEXT) | instid1(SALU_CYCLE_3)
	s_cvt_u32_f32 s36, s0
	s_mul_u64 s[42:43], s[38:39], s[36:37]
	s_delay_alu instid0(SALU_CYCLE_1)
	s_mul_hi_u32 s45, s36, s43
	s_mul_i32 s44, s36, s43
	s_mul_hi_u32 s2, s36, s42
	s_mul_i32 s27, s37, s42
	s_add_nc_u64 s[44:45], s[2:3], s[44:45]
	s_mul_hi_u32 s0, s37, s42
	s_mul_hi_u32 s41, s37, s43
	s_add_co_u32 s2, s44, s27
	s_add_co_ci_u32 s2, s45, s0
	s_mul_i32 s42, s37, s43
	s_add_co_ci_u32 s43, s41, 0
	s_delay_alu instid0(SALU_CYCLE_1) | instskip(NEXT) | instid1(SALU_CYCLE_1)
	s_add_nc_u64 s[42:43], s[2:3], s[42:43]
	s_add_co_u32 s36, s36, s42
	s_cselect_b32 s0, -1, 0
	s_delay_alu instid0(SALU_CYCLE_1) | instskip(SKIP_1) | instid1(SALU_CYCLE_1)
	s_cmp_lg_u32 s0, 0
	s_add_co_ci_u32 s37, s37, s43
	s_mul_u64 s[38:39], s[38:39], s[36:37]
	s_delay_alu instid0(SALU_CYCLE_1)
	s_mul_hi_u32 s43, s36, s39
	s_mul_i32 s42, s36, s39
	s_mul_hi_u32 s2, s36, s38
	s_mul_i32 s27, s37, s38
	s_add_nc_u64 s[42:43], s[2:3], s[42:43]
	s_mul_hi_u32 s0, s37, s38
	s_mul_hi_u32 s41, s37, s39
	s_add_co_u32 s2, s42, s27
	s_add_co_ci_u32 s2, s43, s0
	s_mul_i32 s38, s37, s39
	s_add_co_ci_u32 s39, s41, 0
	s_delay_alu instid0(SALU_CYCLE_1) | instskip(NEXT) | instid1(SALU_CYCLE_1)
	s_add_nc_u64 s[38:39], s[2:3], s[38:39]
	s_add_co_u32 s0, s36, s38
	s_cselect_b32 s2, -1, 0
	v_mul_hi_u32 v18, v8, s0
	s_cmp_lg_u32 s2, 0
	s_add_co_ci_u32 s2, s37, s39
	s_and_b64 s[36:37], s[0:1], s[24:25]
	v_mul_u64_e32 v[12:13], s[2:3], v[8:9]
	v_mul_u64_e32 v[4:5], s[36:37], v[14:15]
	;; [unrolled: 1-line block ×3, first 2 shown]
	s_delay_alu instid0(VALU_DEP_3) | instskip(NEXT) | instid1(VALU_DEP_1)
	v_add_nc_u64_e32 v[12:13], v[18:19], v[12:13]
	v_add_co_u32 v3, vcc_lo, v12, v4
	s_delay_alu instid0(VALU_DEP_2) | instskip(NEXT) | instid1(VALU_DEP_4)
	v_add_co_ci_u32_e32 v18, vcc_lo, v13, v5, vcc_lo
	v_add_co_ci_u32_e32 v17, vcc_lo, 0, v17, vcc_lo
	s_delay_alu instid0(VALU_DEP_1) | instskip(NEXT) | instid1(VALU_DEP_1)
	v_add_nc_u64_e32 v[4:5], v[18:19], v[16:17]
	v_mul_u64_e32 v[12:13], s[30:31], v[4:5]
	s_delay_alu instid0(VALU_DEP_1) | instskip(NEXT) | instid1(VALU_DEP_2)
	v_sub_nc_u32_e32 v3, v14, v13
	v_sub_co_u32 v7, vcc_lo, v8, v12
	s_delay_alu instid0(VALU_DEP_1) | instskip(NEXT) | instid1(VALU_DEP_3)
	v_sub_co_ci_u32_e64 v11, null, v14, v13, vcc_lo
	v_subrev_co_ci_u32_e64 v3, null, s31, v3, vcc_lo
	s_delay_alu instid0(VALU_DEP_3) | instskip(SKIP_1) | instid1(VALU_DEP_3)
	v_sub_co_u32 v8, s0, v7, s30
	v_add_nc_u64_e32 v[12:13], 1, v[4:5]
	v_subrev_co_ci_u32_e64 v3, null, 0, v3, s0
	s_delay_alu instid0(VALU_DEP_3) | instskip(SKIP_1) | instid1(VALU_DEP_3)
	v_cmp_le_u32_e32 vcc_lo, s30, v8
	v_cndmask_b32_e64 v8, 0, -1, vcc_lo
	v_cmp_le_u32_e32 vcc_lo, s31, v3
	v_cndmask_b32_e64 v9, 0, -1, vcc_lo
	;; [unrolled: 2-line block ×4, first 2 shown]
	v_cmp_eq_u32_e32 vcc_lo, s31, v3
	v_cndmask_b32_e32 v3, v9, v8, vcc_lo
	v_cmp_eq_u32_e32 vcc_lo, s31, v11
	v_add_nc_u64_e32 v[8:9], 2, v[4:5]
	v_cndmask_b32_e32 v7, v14, v7, vcc_lo
	s_delay_alu instid0(VALU_DEP_4) | instskip(NEXT) | instid1(VALU_DEP_2)
	v_cmp_ne_u32_e32 vcc_lo, 0, v3
	v_cmp_ne_u32_e64 s0, 0, v7
	s_delay_alu instid0(VALU_DEP_4) | instskip(NEXT) | instid1(VALU_DEP_1)
	v_dual_cndmask_b32 v3, v13, v9, vcc_lo :: v_dual_cndmask_b32 v7, v12, v8, vcc_lo
	v_dual_cndmask_b32 v3, v5, v3, s0 :: v_dual_bitop2_b32 v6, s26, v6 bitop3:0x14
	s_delay_alu instid0(VALU_DEP_1) | instskip(NEXT) | instid1(VALU_DEP_2)
	v_dual_cndmask_b32 v4, v4, v7, s0 :: v_dual_mov_b32 v7, v6
	v_xor_b32_e32 v5, v3, v6
	s_delay_alu instid0(VALU_DEP_2) | instskip(NEXT) | instid1(VALU_DEP_1)
	v_xor_b32_e32 v4, v4, v6
	v_sub_nc_u64_e32 v[6:7], v[4:5], v[6:7]
                                        ; implicit-def: $vgpr4_vgpr5
.LBB71_14:                              ;   in Loop: Header=BB71_4 Depth=1
	s_and_not1_saveexec_b32 s0, s35
	s_cbranch_execz .LBB71_2
; %bb.15:                               ;   in Loop: Header=BB71_4 Depth=1
	v_cvt_f32_u32_e32 v3, s20
	s_sub_co_i32 s2, 0, s20
	s_delay_alu instid0(VALU_DEP_1) | instskip(SKIP_1) | instid1(TRANS32_DEP_1)
	v_rcp_iflag_f32_e32 v3, v3
	v_nop
	v_mul_f32_e32 v3, 0x4f7ffffe, v3
	s_delay_alu instid0(VALU_DEP_1) | instskip(NEXT) | instid1(VALU_DEP_1)
	v_cvt_u32_f32_e32 v3, v3
	v_mul_lo_u32 v5, s2, v3
	s_delay_alu instid0(VALU_DEP_1) | instskip(NEXT) | instid1(VALU_DEP_1)
	v_mul_hi_u32 v5, v3, v5
	v_add_nc_u32_e32 v3, v3, v5
	s_delay_alu instid0(VALU_DEP_1) | instskip(NEXT) | instid1(VALU_DEP_1)
	v_mul_hi_u32 v3, v4, v3
	v_mul_lo_u32 v5, v3, s20
	s_delay_alu instid0(VALU_DEP_1) | instskip(NEXT) | instid1(VALU_DEP_1)
	v_dual_sub_nc_u32 v4, v4, v5 :: v_dual_add_nc_u32 v5, 1, v3
	v_subrev_nc_u32_e32 v6, s20, v4
	v_cmp_le_u32_e32 vcc_lo, s20, v4
	s_delay_alu instid0(VALU_DEP_2) | instskip(NEXT) | instid1(VALU_DEP_1)
	v_dual_cndmask_b32 v4, v4, v6 :: v_dual_cndmask_b32 v3, v3, v5
	v_cmp_le_u32_e32 vcc_lo, s20, v4
	s_delay_alu instid0(VALU_DEP_2) | instskip(NEXT) | instid1(VALU_DEP_1)
	v_add_nc_u32_e32 v5, 1, v3
	v_cndmask_b32_e32 v6, v3, v5, vcc_lo
	s_branch .LBB71_2
.LBB71_16:
	s_endpgm
	.section	.rodata,"a",@progbits
	.p2align	6, 0x0
	.amdhsa_kernel _ZN2at4cuda17kernelHistogram1DIiilLi1ELi2ELin1ELNS0_23CUDAHistogramMemoryTypeE1EZNS0_21CUDA_tensor_histogramIiiLb0EEEbNS_6TensorES4_S4_lNS_14AccumulateTypeIT0_Lb1EE4typeES8_NS0_13TensorArgTypeES9_S9_EUllE0_EEvNS0_6detail10TensorInfoIT_T1_EESF_NSC_IKS6_SE_EElS8_S8_SE_T6_
		.amdhsa_group_segment_fixed_size 0
		.amdhsa_private_segment_fixed_size 0
		.amdhsa_kernarg_size 1544
		.amdhsa_user_sgpr_count 2
		.amdhsa_user_sgpr_dispatch_ptr 0
		.amdhsa_user_sgpr_queue_ptr 0
		.amdhsa_user_sgpr_kernarg_segment_ptr 1
		.amdhsa_user_sgpr_dispatch_id 0
		.amdhsa_user_sgpr_kernarg_preload_length 0
		.amdhsa_user_sgpr_kernarg_preload_offset 0
		.amdhsa_user_sgpr_private_segment_size 0
		.amdhsa_wavefront_size32 1
		.amdhsa_uses_dynamic_stack 0
		.amdhsa_enable_private_segment 0
		.amdhsa_system_sgpr_workgroup_id_x 1
		.amdhsa_system_sgpr_workgroup_id_y 0
		.amdhsa_system_sgpr_workgroup_id_z 0
		.amdhsa_system_sgpr_workgroup_info 0
		.amdhsa_system_vgpr_workitem_id 0
		.amdhsa_next_free_vgpr 24
		.amdhsa_next_free_sgpr 51
		.amdhsa_named_barrier_count 0
		.amdhsa_reserve_vcc 1
		.amdhsa_float_round_mode_32 0
		.amdhsa_float_round_mode_16_64 0
		.amdhsa_float_denorm_mode_32 3
		.amdhsa_float_denorm_mode_16_64 3
		.amdhsa_fp16_overflow 0
		.amdhsa_memory_ordered 1
		.amdhsa_forward_progress 1
		.amdhsa_inst_pref_size 16
		.amdhsa_round_robin_scheduling 0
		.amdhsa_exception_fp_ieee_invalid_op 0
		.amdhsa_exception_fp_denorm_src 0
		.amdhsa_exception_fp_ieee_div_zero 0
		.amdhsa_exception_fp_ieee_overflow 0
		.amdhsa_exception_fp_ieee_underflow 0
		.amdhsa_exception_fp_ieee_inexact 0
		.amdhsa_exception_int_div_zero 0
	.end_amdhsa_kernel
	.section	.text._ZN2at4cuda17kernelHistogram1DIiilLi1ELi2ELin1ELNS0_23CUDAHistogramMemoryTypeE1EZNS0_21CUDA_tensor_histogramIiiLb0EEEbNS_6TensorES4_S4_lNS_14AccumulateTypeIT0_Lb1EE4typeES8_NS0_13TensorArgTypeES9_S9_EUllE0_EEvNS0_6detail10TensorInfoIT_T1_EESF_NSC_IKS6_SE_EElS8_S8_SE_T6_,"axG",@progbits,_ZN2at4cuda17kernelHistogram1DIiilLi1ELi2ELin1ELNS0_23CUDAHistogramMemoryTypeE1EZNS0_21CUDA_tensor_histogramIiiLb0EEEbNS_6TensorES4_S4_lNS_14AccumulateTypeIT0_Lb1EE4typeES8_NS0_13TensorArgTypeES9_S9_EUllE0_EEvNS0_6detail10TensorInfoIT_T1_EESF_NSC_IKS6_SE_EElS8_S8_SE_T6_,comdat
.Lfunc_end71:
	.size	_ZN2at4cuda17kernelHistogram1DIiilLi1ELi2ELin1ELNS0_23CUDAHistogramMemoryTypeE1EZNS0_21CUDA_tensor_histogramIiiLb0EEEbNS_6TensorES4_S4_lNS_14AccumulateTypeIT0_Lb1EE4typeES8_NS0_13TensorArgTypeES9_S9_EUllE0_EEvNS0_6detail10TensorInfoIT_T1_EESF_NSC_IKS6_SE_EElS8_S8_SE_T6_, .Lfunc_end71-_ZN2at4cuda17kernelHistogram1DIiilLi1ELi2ELin1ELNS0_23CUDAHistogramMemoryTypeE1EZNS0_21CUDA_tensor_histogramIiiLb0EEEbNS_6TensorES4_S4_lNS_14AccumulateTypeIT0_Lb1EE4typeES8_NS0_13TensorArgTypeES9_S9_EUllE0_EEvNS0_6detail10TensorInfoIT_T1_EESF_NSC_IKS6_SE_EElS8_S8_SE_T6_
                                        ; -- End function
	.set _ZN2at4cuda17kernelHistogram1DIiilLi1ELi2ELin1ELNS0_23CUDAHistogramMemoryTypeE1EZNS0_21CUDA_tensor_histogramIiiLb0EEEbNS_6TensorES4_S4_lNS_14AccumulateTypeIT0_Lb1EE4typeES8_NS0_13TensorArgTypeES9_S9_EUllE0_EEvNS0_6detail10TensorInfoIT_T1_EESF_NSC_IKS6_SE_EElS8_S8_SE_T6_.num_vgpr, 24
	.set _ZN2at4cuda17kernelHistogram1DIiilLi1ELi2ELin1ELNS0_23CUDAHistogramMemoryTypeE1EZNS0_21CUDA_tensor_histogramIiiLb0EEEbNS_6TensorES4_S4_lNS_14AccumulateTypeIT0_Lb1EE4typeES8_NS0_13TensorArgTypeES9_S9_EUllE0_EEvNS0_6detail10TensorInfoIT_T1_EESF_NSC_IKS6_SE_EElS8_S8_SE_T6_.num_agpr, 0
	.set _ZN2at4cuda17kernelHistogram1DIiilLi1ELi2ELin1ELNS0_23CUDAHistogramMemoryTypeE1EZNS0_21CUDA_tensor_histogramIiiLb0EEEbNS_6TensorES4_S4_lNS_14AccumulateTypeIT0_Lb1EE4typeES8_NS0_13TensorArgTypeES9_S9_EUllE0_EEvNS0_6detail10TensorInfoIT_T1_EESF_NSC_IKS6_SE_EElS8_S8_SE_T6_.numbered_sgpr, 51
	.set _ZN2at4cuda17kernelHistogram1DIiilLi1ELi2ELin1ELNS0_23CUDAHistogramMemoryTypeE1EZNS0_21CUDA_tensor_histogramIiiLb0EEEbNS_6TensorES4_S4_lNS_14AccumulateTypeIT0_Lb1EE4typeES8_NS0_13TensorArgTypeES9_S9_EUllE0_EEvNS0_6detail10TensorInfoIT_T1_EESF_NSC_IKS6_SE_EElS8_S8_SE_T6_.num_named_barrier, 0
	.set _ZN2at4cuda17kernelHistogram1DIiilLi1ELi2ELin1ELNS0_23CUDAHistogramMemoryTypeE1EZNS0_21CUDA_tensor_histogramIiiLb0EEEbNS_6TensorES4_S4_lNS_14AccumulateTypeIT0_Lb1EE4typeES8_NS0_13TensorArgTypeES9_S9_EUllE0_EEvNS0_6detail10TensorInfoIT_T1_EESF_NSC_IKS6_SE_EElS8_S8_SE_T6_.private_seg_size, 0
	.set _ZN2at4cuda17kernelHistogram1DIiilLi1ELi2ELin1ELNS0_23CUDAHistogramMemoryTypeE1EZNS0_21CUDA_tensor_histogramIiiLb0EEEbNS_6TensorES4_S4_lNS_14AccumulateTypeIT0_Lb1EE4typeES8_NS0_13TensorArgTypeES9_S9_EUllE0_EEvNS0_6detail10TensorInfoIT_T1_EESF_NSC_IKS6_SE_EElS8_S8_SE_T6_.uses_vcc, 1
	.set _ZN2at4cuda17kernelHistogram1DIiilLi1ELi2ELin1ELNS0_23CUDAHistogramMemoryTypeE1EZNS0_21CUDA_tensor_histogramIiiLb0EEEbNS_6TensorES4_S4_lNS_14AccumulateTypeIT0_Lb1EE4typeES8_NS0_13TensorArgTypeES9_S9_EUllE0_EEvNS0_6detail10TensorInfoIT_T1_EESF_NSC_IKS6_SE_EElS8_S8_SE_T6_.uses_flat_scratch, 0
	.set _ZN2at4cuda17kernelHistogram1DIiilLi1ELi2ELin1ELNS0_23CUDAHistogramMemoryTypeE1EZNS0_21CUDA_tensor_histogramIiiLb0EEEbNS_6TensorES4_S4_lNS_14AccumulateTypeIT0_Lb1EE4typeES8_NS0_13TensorArgTypeES9_S9_EUllE0_EEvNS0_6detail10TensorInfoIT_T1_EESF_NSC_IKS6_SE_EElS8_S8_SE_T6_.has_dyn_sized_stack, 0
	.set _ZN2at4cuda17kernelHistogram1DIiilLi1ELi2ELin1ELNS0_23CUDAHistogramMemoryTypeE1EZNS0_21CUDA_tensor_histogramIiiLb0EEEbNS_6TensorES4_S4_lNS_14AccumulateTypeIT0_Lb1EE4typeES8_NS0_13TensorArgTypeES9_S9_EUllE0_EEvNS0_6detail10TensorInfoIT_T1_EESF_NSC_IKS6_SE_EElS8_S8_SE_T6_.has_recursion, 0
	.set _ZN2at4cuda17kernelHistogram1DIiilLi1ELi2ELin1ELNS0_23CUDAHistogramMemoryTypeE1EZNS0_21CUDA_tensor_histogramIiiLb0EEEbNS_6TensorES4_S4_lNS_14AccumulateTypeIT0_Lb1EE4typeES8_NS0_13TensorArgTypeES9_S9_EUllE0_EEvNS0_6detail10TensorInfoIT_T1_EESF_NSC_IKS6_SE_EElS8_S8_SE_T6_.has_indirect_call, 0
	.section	.AMDGPU.csdata,"",@progbits
; Kernel info:
; codeLenInByte = 2040
; TotalNumSgprs: 53
; NumVgprs: 24
; ScratchSize: 0
; MemoryBound: 0
; FloatMode: 240
; IeeeMode: 1
; LDSByteSize: 0 bytes/workgroup (compile time only)
; SGPRBlocks: 0
; VGPRBlocks: 1
; NumSGPRsForWavesPerEU: 53
; NumVGPRsForWavesPerEU: 24
; NamedBarCnt: 0
; Occupancy: 16
; WaveLimiterHint : 1
; COMPUTE_PGM_RSRC2:SCRATCH_EN: 0
; COMPUTE_PGM_RSRC2:USER_SGPR: 2
; COMPUTE_PGM_RSRC2:TRAP_HANDLER: 0
; COMPUTE_PGM_RSRC2:TGID_X_EN: 1
; COMPUTE_PGM_RSRC2:TGID_Y_EN: 0
; COMPUTE_PGM_RSRC2:TGID_Z_EN: 0
; COMPUTE_PGM_RSRC2:TIDIG_COMP_CNT: 0
	.section	.text._ZN2at4cuda17kernelHistogram1DIsslLi1ELi2ELin1ELNS0_23CUDAHistogramMemoryTypeE0EZNS0_21CUDA_tensor_histogramIssLb0EEEbNS_6TensorES4_S4_lNS_14AccumulateTypeIT0_Lb1EE4typeES8_NS0_13TensorArgTypeES9_S9_EUllE_EEvNS0_6detail10TensorInfoIT_T1_EESF_NSC_IKS6_SE_EElS8_S8_SE_T6_,"axG",@progbits,_ZN2at4cuda17kernelHistogram1DIsslLi1ELi2ELin1ELNS0_23CUDAHistogramMemoryTypeE0EZNS0_21CUDA_tensor_histogramIssLb0EEEbNS_6TensorES4_S4_lNS_14AccumulateTypeIT0_Lb1EE4typeES8_NS0_13TensorArgTypeES9_S9_EUllE_EEvNS0_6detail10TensorInfoIT_T1_EESF_NSC_IKS6_SE_EElS8_S8_SE_T6_,comdat
	.protected	_ZN2at4cuda17kernelHistogram1DIsslLi1ELi2ELin1ELNS0_23CUDAHistogramMemoryTypeE0EZNS0_21CUDA_tensor_histogramIssLb0EEEbNS_6TensorES4_S4_lNS_14AccumulateTypeIT0_Lb1EE4typeES8_NS0_13TensorArgTypeES9_S9_EUllE_EEvNS0_6detail10TensorInfoIT_T1_EESF_NSC_IKS6_SE_EElS8_S8_SE_T6_ ; -- Begin function _ZN2at4cuda17kernelHistogram1DIsslLi1ELi2ELin1ELNS0_23CUDAHistogramMemoryTypeE0EZNS0_21CUDA_tensor_histogramIssLb0EEEbNS_6TensorES4_S4_lNS_14AccumulateTypeIT0_Lb1EE4typeES8_NS0_13TensorArgTypeES9_S9_EUllE_EEvNS0_6detail10TensorInfoIT_T1_EESF_NSC_IKS6_SE_EElS8_S8_SE_T6_
	.globl	_ZN2at4cuda17kernelHistogram1DIsslLi1ELi2ELin1ELNS0_23CUDAHistogramMemoryTypeE0EZNS0_21CUDA_tensor_histogramIssLb0EEEbNS_6TensorES4_S4_lNS_14AccumulateTypeIT0_Lb1EE4typeES8_NS0_13TensorArgTypeES9_S9_EUllE_EEvNS0_6detail10TensorInfoIT_T1_EESF_NSC_IKS6_SE_EElS8_S8_SE_T6_
	.p2align	8
	.type	_ZN2at4cuda17kernelHistogram1DIsslLi1ELi2ELin1ELNS0_23CUDAHistogramMemoryTypeE0EZNS0_21CUDA_tensor_histogramIssLb0EEEbNS_6TensorES4_S4_lNS_14AccumulateTypeIT0_Lb1EE4typeES8_NS0_13TensorArgTypeES9_S9_EUllE_EEvNS0_6detail10TensorInfoIT_T1_EESF_NSC_IKS6_SE_EElS8_S8_SE_T6_,@function
_ZN2at4cuda17kernelHistogram1DIsslLi1ELi2ELin1ELNS0_23CUDAHistogramMemoryTypeE0EZNS0_21CUDA_tensor_histogramIssLb0EEEbNS_6TensorES4_S4_lNS_14AccumulateTypeIT0_Lb1EE4typeES8_NS0_13TensorArgTypeES9_S9_EUllE_EEvNS0_6detail10TensorInfoIT_T1_EESF_NSC_IKS6_SE_EElS8_S8_SE_T6_: ; @_ZN2at4cuda17kernelHistogram1DIsslLi1ELi2ELin1ELNS0_23CUDAHistogramMemoryTypeE0EZNS0_21CUDA_tensor_histogramIssLb0EEEbNS_6TensorES4_S4_lNS_14AccumulateTypeIT0_Lb1EE4typeES8_NS0_13TensorArgTypeES9_S9_EUllE_EEvNS0_6detail10TensorInfoIT_T1_EESF_NSC_IKS6_SE_EElS8_S8_SE_T6_
; %bb.0:
	s_clause 0x2
	s_load_b128 s[16:19], s[0:1], 0x0
	s_load_b64 s[6:7], s[0:1], 0x500
	s_load_b256 s[8:15], s[0:1], 0x4e0
	v_mov_b32_e32 v1, 0
	s_add_nc_u64 s[26:27], s[0:1], 0x6a0
	s_mov_b32 s3, exec_lo
                                        ; implicit-def: $sgpr4
	s_wait_kmcnt 0x0
	s_delay_alu instid0(VALU_DEP_1)
	v_cmp_gt_i64_e64 s2, s[18:19], v[0:1]
	v_cmpx_le_i64_e64 s[18:19], v[0:1]
	s_xor_b32 s3, exec_lo, s3
; %bb.1:
	s_load_b32 s4, s[26:27], 0xc
; %bb.2:
	s_or_saveexec_b32 s3, s3
	s_wait_kmcnt 0x0
	v_mov_b32_e32 v4, s4
	s_xor_b32 exec_lo, exec_lo, s3
	s_cbranch_execz .LBB72_12
; %bb.3:
	v_dual_mov_b32 v4, 0 :: v_dual_add_nc_u32 v2, 1, v0
	s_load_b32 s20, s[26:27], 0xc
	s_mov_b32 s22, -1
	s_delay_alu instid0(VALU_DEP_1) | instskip(NEXT) | instid1(VALU_DEP_1)
	v_mov_b32_e32 v3, v4
	v_max_i64 v[2:3], s[18:19], v[2:3]
	s_wait_kmcnt 0x0
	s_and_b32 s4, s20, 0xffff
	s_delay_alu instid0(SALU_CYCLE_1) | instskip(SKIP_1) | instid1(VALU_DEP_1)
	s_cmp_eq_u32 s4, 1
	s_cselect_b32 s5, -1, 0
	v_sub_nc_u64_e32 v[6:7], v[2:3], v[0:1]
	v_mov_b64_e32 v[2:3], v[0:1]
	s_delay_alu instid0(VALU_DEP_2) | instskip(SKIP_1) | instid1(SALU_CYCLE_1)
	v_cmp_lt_u64_e32 vcc_lo, 3, v[6:7]
	s_and_b32 s21, vcc_lo, s5
	s_and_saveexec_b32 s5, s21
	s_cbranch_execz .LBB72_7
; %bb.4:
	v_dual_mov_b32 v3, v7 :: v_dual_bitop2_b32 v2, -4, v6 bitop3:0x40
	v_lshl_add_u32 v10, v0, 1, 0
	v_mov_b32_e32 v5, v4
	s_mov_b32 s21, 0
	s_delay_alu instid0(VALU_DEP_3)
	v_mov_b64_e32 v[8:9], v[2:3]
.LBB72_5:                               ; =>This Inner Loop Header: Depth=1
	s_delay_alu instid0(VALU_DEP_1) | instskip(SKIP_4) | instid1(SALU_CYCLE_1)
	v_add_nc_u64_e32 v[8:9], -4, v[8:9]
	ds_store_b64 v10, v[4:5]
	v_add_nc_u32_e32 v10, 8, v10
	v_cmp_eq_u64_e32 vcc_lo, 0, v[8:9]
	s_or_b32 s21, vcc_lo, s21
	s_and_not1_b32 exec_lo, exec_lo, s21
	s_cbranch_execnz .LBB72_5
; %bb.6:
	s_or_b32 exec_lo, exec_lo, s21
	v_cmp_ne_u64_e32 vcc_lo, v[6:7], v[2:3]
	v_add_nc_u64_e32 v[2:3], v[2:3], v[0:1]
	s_or_not1_b32 s22, vcc_lo, exec_lo
.LBB72_7:
	s_or_b32 exec_lo, exec_lo, s5
	v_mov_b32_e32 v4, 1
	s_and_saveexec_b32 s21, s22
	s_cbranch_execz .LBB72_11
; %bb.8:
	s_delay_alu instid0(VALU_DEP_2)
	v_lshl_add_u32 v4, v2, 1, 0
	v_mov_b32_e32 v5, 0
	s_mov_b32 s5, 0
	s_lshl_b32 s23, s4, 1
	s_mov_b32 s22, s5
.LBB72_9:                               ; =>This Inner Loop Header: Depth=1
	v_add_nc_u64_e32 v[2:3], s[4:5], v[2:3]
	ds_store_b16 v4, v5
	v_add_nc_u32_e32 v4, s23, v4
	v_cmp_le_i64_e32 vcc_lo, s[18:19], v[2:3]
	s_or_b32 s22, vcc_lo, s22
	s_delay_alu instid0(SALU_CYCLE_1)
	s_and_not1_b32 exec_lo, exec_lo, s22
	s_cbranch_execnz .LBB72_9
; %bb.10:
	s_or_b32 exec_lo, exec_lo, s22
	v_mov_b32_e32 v4, s20
.LBB72_11:
	s_or_b32 exec_lo, exec_lo, s21
.LBB72_12:
	s_delay_alu instid0(SALU_CYCLE_1)
	s_or_b32 exec_lo, exec_lo, s3
	s_bfe_u32 s3, ttmp6, 0x4000c
	s_and_b32 s4, ttmp6, 15
	s_add_co_i32 s3, s3, 1
	s_getreg_b32 s5, hwreg(HW_REG_IB_STS2, 6, 4)
	s_mul_i32 s3, ttmp9, s3
	v_and_b32_e32 v2, 0xffff, v4
	s_add_co_i32 s4, s4, s3
	s_cmp_eq_u32 s5, 0
	v_mov_b32_e32 v6, 0
	s_cselect_b32 s3, ttmp9, s4
	s_mov_b32 s5, 0
	v_mad_u32 v4, s3, v2, v0
	s_mov_b32 s33, exec_lo
	v_mov_b32_e32 v5, v6
	s_wait_dscnt 0x0
	s_barrier_signal -1
	s_barrier_wait -1
	s_delay_alu instid0(VALU_DEP_1)
	v_cmpx_gt_i64_e64 s[14:15], v[4:5]
	s_cbranch_execz .LBB72_33
; %bb.13:
	s_load_b32 s3, s[0:1], 0x4d8
	s_load_b32 s4, s[26:27], 0x0
	s_clause 0x2
	s_load_b64 s[20:21], s[0:1], 0x5d0
	s_load_b64 s[22:23], s[0:1], 0x410
	;; [unrolled: 1-line block ×3, first 2 shown]
	s_add_nc_u64 s[30:31], s[0:1], 0x340
	v_mov_b32_e32 v9, v6
	s_wait_xcnt 0x0
	s_sub_nc_u64 s[26:27], s[12:13], s[10:11]
	s_mov_b64 s[28:29], 0xffffffff
	s_mov_b32 s46, 0
	s_wait_kmcnt 0x0
	s_cmp_gt_i32 s3, 1
	v_mul_lo_u32 v8, s4, v2
	s_cselect_b32 s44, -1, 0
	s_add_co_i32 s4, s3, -1
	s_add_co_i32 s45, s3, 1
	s_lshl_b64 s[34:35], s[4:5], 3
	s_delay_alu instid0(SALU_CYCLE_1)
	s_add_nc_u64 s[30:31], s[30:31], s[34:35]
	s_ashr_i32 s34, s27, 31
	s_add_nc_u64 s[30:31], s[30:31], 8
	s_branch .LBB72_15
.LBB72_14:                              ;   in Loop: Header=BB72_15 Depth=1
	s_or_b32 exec_lo, exec_lo, s38
	v_add_nc_u64_e32 v[4:5], v[4:5], v[8:9]
	s_delay_alu instid0(VALU_DEP_1) | instskip(SKIP_1) | instid1(SALU_CYCLE_1)
	v_cmp_le_i64_e32 vcc_lo, s[14:15], v[4:5]
	s_or_b32 s46, vcc_lo, s46
	s_and_not1_b32 exec_lo, exec_lo, s46
	s_cbranch_execz .LBB72_33
.LBB72_15:                              ; =>This Loop Header: Depth=1
                                        ;     Child Loop BB72_16 Depth 2
                                        ;     Child Loop BB72_29 Depth 2
	v_mov_b64_e32 v[10:11], 0
	v_mov_b64_e32 v[12:13], v[4:5]
	;; [unrolled: 1-line block ×3, first 2 shown]
	s_and_not1_b32 vcc_lo, exec_lo, s44
	s_mov_b64 s[36:37], s[30:31]
	s_mov_b32 s35, s45
	s_cbranch_vccnz .LBB72_22
.LBB72_16:                              ;   Parent Loop BB72_15 Depth=1
                                        ; =>  This Inner Loop Header: Depth=2
	s_load_b64 s[38:39], s[36:37], 0x0
                                        ; implicit-def: $vgpr14_vgpr15
	s_mov_b32 s3, exec_lo
	s_wait_kmcnt 0x0
	s_delay_alu instid0(VALU_DEP_1) | instskip(NEXT) | instid1(VALU_DEP_1)
	v_or_b32_e32 v7, s39, v13
	v_cmpx_ne_u64_e32 0, v[6:7]
	s_xor_b32 s47, exec_lo, s3
	s_cbranch_execz .LBB72_18
; %bb.17:                               ;   in Loop: Header=BB72_16 Depth=2
	s_ashr_i32 s40, s39, 31
	v_dual_mov_b32 v19, v6 :: v_dual_ashrrev_i32 v14, 31, v13
	s_mov_b32 s41, s40
	v_mov_b32_e32 v27, v6
	s_add_nc_u64 s[42:43], s[38:39], s[40:41]
	s_delay_alu instid0(VALU_DEP_2) | instskip(SKIP_1) | instid1(SALU_CYCLE_1)
	v_mov_b32_e32 v15, v14
	s_xor_b64 s[42:43], s[42:43], s[40:41]
	s_cvt_f32_u32 s3, s42
	s_cvt_f32_u32 s4, s43
	s_sub_nc_u64 s[50:51], 0, s[42:43]
	v_add_nc_u64_e32 v[16:17], v[12:13], v[14:15]
	v_mov_b32_e32 v23, v6
	s_fmamk_f32 s3, s4, 0x4f800000, s3
	s_delay_alu instid0(SALU_CYCLE_3) | instskip(NEXT) | instid1(VALU_DEP_2)
	v_s_rcp_f32 s3, s3
	v_xor_b32_e32 v18, v16, v14
	s_delay_alu instid0(VALU_DEP_3) | instskip(SKIP_1) | instid1(TRANS32_DEP_1)
	v_xor_b32_e32 v22, v17, v14
	v_xor_b32_e32 v14, s40, v14
	s_mul_f32 s3, s3, 0x5f7ffffc
	s_delay_alu instid0(SALU_CYCLE_3) | instskip(NEXT) | instid1(SALU_CYCLE_3)
	s_mul_f32 s4, s3, 0x2f800000
	s_trunc_f32 s4, s4
	s_delay_alu instid0(SALU_CYCLE_3) | instskip(SKIP_1) | instid1(SALU_CYCLE_2)
	s_fmamk_f32 s3, s4, 0xcf800000, s3
	s_cvt_u32_f32 s49, s4
	s_cvt_u32_f32 s48, s3
	s_delay_alu instid0(SALU_CYCLE_3) | instskip(NEXT) | instid1(SALU_CYCLE_1)
	s_mul_u64 s[52:53], s[50:51], s[48:49]
	s_mul_hi_u32 s55, s48, s53
	s_mul_i32 s54, s48, s53
	s_mul_hi_u32 s4, s48, s52
	s_mul_i32 s41, s49, s52
	s_add_nc_u64 s[54:55], s[4:5], s[54:55]
	s_mul_hi_u32 s3, s49, s52
	s_mul_hi_u32 s56, s49, s53
	s_add_co_u32 s4, s54, s41
	s_add_co_ci_u32 s4, s55, s3
	s_mul_i32 s52, s49, s53
	s_add_co_ci_u32 s53, s56, 0
	s_delay_alu instid0(SALU_CYCLE_1) | instskip(NEXT) | instid1(SALU_CYCLE_1)
	s_add_nc_u64 s[52:53], s[4:5], s[52:53]
	s_add_co_u32 s48, s48, s52
	s_cselect_b32 s3, -1, 0
	s_delay_alu instid0(SALU_CYCLE_1) | instskip(SKIP_1) | instid1(SALU_CYCLE_1)
	s_cmp_lg_u32 s3, 0
	s_add_co_ci_u32 s49, s49, s53
	s_mul_u64 s[50:51], s[50:51], s[48:49]
	s_delay_alu instid0(SALU_CYCLE_1)
	s_mul_hi_u32 s53, s48, s51
	s_mul_i32 s52, s48, s51
	s_mul_hi_u32 s4, s48, s50
	s_mul_i32 s41, s49, s50
	s_add_nc_u64 s[52:53], s[4:5], s[52:53]
	s_mul_hi_u32 s3, s49, s50
	s_mul_hi_u32 s54, s49, s51
	s_add_co_u32 s4, s52, s41
	s_add_co_ci_u32 s4, s53, s3
	s_mul_i32 s50, s49, s51
	s_add_co_ci_u32 s51, s54, 0
	s_delay_alu instid0(SALU_CYCLE_1) | instskip(NEXT) | instid1(SALU_CYCLE_1)
	s_add_nc_u64 s[50:51], s[4:5], s[50:51]
	s_add_co_u32 s48, s48, s50
	s_cselect_b32 s3, -1, 0
	v_mul_hi_u32 v26, v18, s48
	s_cmp_lg_u32 s3, 0
	s_add_co_ci_u32 s4, s49, s51
	s_and_b64 s[50:51], s[48:49], s[28:29]
	v_mul_u64_e32 v[20:21], s[4:5], v[18:19]
	v_mul_u64_e32 v[16:17], s[50:51], v[22:23]
	;; [unrolled: 1-line block ×3, first 2 shown]
	s_delay_alu instid0(VALU_DEP_3) | instskip(NEXT) | instid1(VALU_DEP_1)
	v_add_nc_u64_e32 v[20:21], v[26:27], v[20:21]
	v_add_co_u32 v3, vcc_lo, v20, v16
	s_delay_alu instid0(VALU_DEP_2) | instskip(NEXT) | instid1(VALU_DEP_4)
	v_add_co_ci_u32_e32 v26, vcc_lo, v21, v17, vcc_lo
	v_add_co_ci_u32_e32 v25, vcc_lo, 0, v25, vcc_lo
	s_delay_alu instid0(VALU_DEP_1) | instskip(NEXT) | instid1(VALU_DEP_1)
	v_add_nc_u64_e32 v[16:17], v[26:27], v[24:25]
	v_mul_u64_e32 v[20:21], s[42:43], v[16:17]
	s_delay_alu instid0(VALU_DEP_1) | instskip(NEXT) | instid1(VALU_DEP_2)
	v_sub_nc_u32_e32 v3, v22, v21
	v_sub_co_u32 v7, vcc_lo, v18, v20
	s_delay_alu instid0(VALU_DEP_1) | instskip(NEXT) | instid1(VALU_DEP_3)
	v_sub_co_ci_u32_e64 v22, null, v22, v21, vcc_lo
	v_subrev_co_ci_u32_e64 v3, null, s43, v3, vcc_lo
	s_delay_alu instid0(VALU_DEP_3) | instskip(SKIP_1) | instid1(VALU_DEP_3)
	v_sub_co_u32 v15, s3, v7, s42
	v_add_nc_u64_e32 v[20:21], 1, v[16:17]
	v_subrev_co_ci_u32_e64 v3, null, 0, v3, s3
	s_delay_alu instid0(VALU_DEP_3) | instskip(SKIP_1) | instid1(VALU_DEP_3)
	v_cmp_le_u32_e32 vcc_lo, s42, v15
	v_cndmask_b32_e64 v15, 0, -1, vcc_lo
	v_cmp_le_u32_e32 vcc_lo, s43, v3
	v_cndmask_b32_e64 v18, 0, -1, vcc_lo
	;; [unrolled: 2-line block ×4, first 2 shown]
	v_cmp_eq_u32_e32 vcc_lo, s43, v3
	v_cndmask_b32_e32 v3, v18, v15, vcc_lo
	v_cmp_eq_u32_e32 vcc_lo, s43, v22
	v_add_nc_u64_e32 v[18:19], 2, v[16:17]
	v_dual_mov_b32 v15, v14 :: v_dual_cndmask_b32 v7, v23, v7, vcc_lo
	s_delay_alu instid0(VALU_DEP_4) | instskip(NEXT) | instid1(VALU_DEP_2)
	v_cmp_ne_u32_e32 vcc_lo, 0, v3
	v_cmp_ne_u32_e64 s3, 0, v7
	s_delay_alu instid0(VALU_DEP_4) | instskip(NEXT) | instid1(VALU_DEP_1)
	v_dual_cndmask_b32 v3, v21, v19, vcc_lo :: v_dual_cndmask_b32 v7, v20, v18, vcc_lo
	v_cndmask_b32_e64 v7, v16, v7, s3
	s_delay_alu instid0(VALU_DEP_1) | instskip(NEXT) | instid1(VALU_DEP_1)
	v_dual_cndmask_b32 v3, v17, v3, s3 :: v_dual_bitop2_b32 v16, v7, v14 bitop3:0x14
	v_xor_b32_e32 v17, v3, v14
	s_delay_alu instid0(VALU_DEP_1)
	v_sub_nc_u64_e32 v[14:15], v[16:17], v[14:15]
.LBB72_18:                              ;   in Loop: Header=BB72_16 Depth=2
	s_and_not1_saveexec_b32 s3, s47
	s_cbranch_execz .LBB72_20
; %bb.19:                               ;   in Loop: Header=BB72_16 Depth=2
	v_cvt_f32_u32_e32 v3, s38
	s_sub_co_i32 s4, 0, s38
	s_delay_alu instid0(VALU_DEP_1) | instskip(SKIP_1) | instid1(TRANS32_DEP_1)
	v_rcp_iflag_f32_e32 v3, v3
	v_nop
	v_mul_f32_e32 v3, 0x4f7ffffe, v3
	s_delay_alu instid0(VALU_DEP_1) | instskip(NEXT) | instid1(VALU_DEP_1)
	v_cvt_u32_f32_e32 v3, v3
	v_mul_lo_u32 v7, s4, v3
	s_delay_alu instid0(VALU_DEP_1) | instskip(NEXT) | instid1(VALU_DEP_1)
	v_mul_hi_u32 v7, v3, v7
	v_add_nc_u32_e32 v3, v3, v7
	s_delay_alu instid0(VALU_DEP_1) | instskip(NEXT) | instid1(VALU_DEP_1)
	v_mul_hi_u32 v3, v12, v3
	v_mul_lo_u32 v7, v3, s38
	v_add_nc_u32_e32 v14, 1, v3
	s_delay_alu instid0(VALU_DEP_2) | instskip(NEXT) | instid1(VALU_DEP_1)
	v_sub_nc_u32_e32 v7, v12, v7
	v_subrev_nc_u32_e32 v15, s38, v7
	v_cmp_le_u32_e32 vcc_lo, s38, v7
	s_delay_alu instid0(VALU_DEP_2) | instskip(SKIP_1) | instid1(VALU_DEP_2)
	v_dual_cndmask_b32 v7, v7, v15, vcc_lo :: v_dual_mov_b32 v15, v6
	v_cndmask_b32_e32 v3, v3, v14, vcc_lo
	v_cmp_le_u32_e32 vcc_lo, s38, v7
	s_delay_alu instid0(VALU_DEP_2) | instskip(NEXT) | instid1(VALU_DEP_1)
	v_add_nc_u32_e32 v14, 1, v3
	v_cndmask_b32_e32 v14, v3, v14, vcc_lo
.LBB72_20:                              ;   in Loop: Header=BB72_16 Depth=2
	s_or_b32 exec_lo, exec_lo, s3
	s_delay_alu instid0(VALU_DEP_1)
	v_mul_u64_e32 v[16:17], s[38:39], v[14:15]
	s_load_b64 s[38:39], s[36:37], 0xc8
	s_add_co_i32 s35, s35, -1
	s_wait_xcnt 0x0
	s_add_nc_u64 s[36:37], s[36:37], -8
	s_cmp_gt_u32 s35, 2
	s_delay_alu instid0(VALU_DEP_1) | instskip(SKIP_1) | instid1(VALU_DEP_1)
	v_sub_nc_u64_e32 v[12:13], v[12:13], v[16:17]
	s_wait_kmcnt 0x0
	v_mad_nc_u64_u32 v[10:11], s38, v12, v[10:11]
	s_delay_alu instid0(VALU_DEP_1) | instskip(NEXT) | instid1(VALU_DEP_1)
	v_mad_u32 v3, s39, v12, v11
	v_mad_u32 v11, s38, v13, v3
	s_cbranch_scc0 .LBB72_22
; %bb.21:                               ;   in Loop: Header=BB72_16 Depth=2
	v_mov_b64_e32 v[12:13], v[14:15]
	s_branch .LBB72_16
.LBB72_22:                              ;   in Loop: Header=BB72_15 Depth=1
	s_delay_alu instid0(VALU_DEP_1) | instskip(NEXT) | instid1(VALU_DEP_1)
	v_mul_u64_e32 v[12:13], s[22:23], v[14:15]
	v_lshl_add_u64 v[12:13], v[12:13], 1, s[24:25]
	s_delay_alu instid0(VALU_DEP_1) | instskip(SKIP_3) | instid1(VALU_DEP_1)
	v_lshl_add_u64 v[10:11], v[10:11], 1, v[12:13]
	global_load_u16 v3, v[10:11], off
	s_wait_loadcnt 0x0
	v_bfe_i32 v10, v3, 0, 16
	v_ashrrev_i32_e32 v11, 31, v10
	s_delay_alu instid0(VALU_DEP_1) | instskip(SKIP_2) | instid1(SALU_CYCLE_1)
	v_cmp_le_i64_e32 vcc_lo, s[10:11], v[10:11]
	v_cmp_ge_i64_e64 s3, s[12:13], v[10:11]
	s_and_b32 s3, vcc_lo, s3
	s_and_saveexec_b32 s38, s3
	s_cbranch_execz .LBB72_14
; %bb.23:                               ;   in Loop: Header=BB72_15 Depth=1
	v_sub_nc_u64_e64 v[10:11], v[10:11], s[10:11]
                                        ; implicit-def: $vgpr12_vgpr13
	s_mov_b32 s3, exec_lo
	s_delay_alu instid0(VALU_DEP_1) | instskip(NEXT) | instid1(VALU_DEP_1)
	v_mul_u64_e32 v[10:11], s[8:9], v[10:11]
	v_or_b32_e32 v7, s27, v11
	s_delay_alu instid0(VALU_DEP_1)
	v_cmpx_ne_u64_e32 0, v[6:7]
	s_xor_b32 s39, exec_lo, s3
	s_cbranch_execz .LBB72_25
; %bb.24:                               ;   in Loop: Header=BB72_15 Depth=1
	s_mov_b32 s35, s34
	v_dual_mov_b32 v15, v6 :: v_dual_ashrrev_i32 v12, 31, v11
	s_add_nc_u64 s[36:37], s[26:27], s[34:35]
	v_mov_b32_e32 v23, v6
	s_xor_b64 s[36:37], s[36:37], s[34:35]
	s_delay_alu instid0(VALU_DEP_2) | instskip(SKIP_3) | instid1(VALU_DEP_1)
	v_mov_b32_e32 v13, v12
	s_cvt_f32_u32 s3, s36
	s_cvt_f32_u32 s4, s37
	s_sub_nc_u64 s[42:43], 0, s[36:37]
	v_add_nc_u64_e32 v[10:11], v[10:11], v[12:13]
	s_delay_alu instid0(SALU_CYCLE_1) | instskip(SKIP_1) | instid1(SALU_CYCLE_2)
	s_fmamk_f32 s3, s4, 0x4f800000, s3
	v_mov_b32_e32 v19, v6
	v_s_rcp_f32 s3, s3
	s_delay_alu instid0(VALU_DEP_2) | instskip(NEXT) | instid1(VALU_DEP_3)
	v_xor_b32_e32 v14, v10, v12
	v_xor_b32_e32 v18, v11, v12
	;; [unrolled: 1-line block ×3, first 2 shown]
	s_delay_alu instid0(TRANS32_DEP_1) | instskip(NEXT) | instid1(SALU_CYCLE_3)
	s_mul_f32 s3, s3, 0x5f7ffffc
	s_mul_f32 s4, s3, 0x2f800000
	s_delay_alu instid0(SALU_CYCLE_3) | instskip(NEXT) | instid1(SALU_CYCLE_3)
	s_trunc_f32 s4, s4
	s_fmamk_f32 s3, s4, 0xcf800000, s3
	s_cvt_u32_f32 s41, s4
	s_delay_alu instid0(SALU_CYCLE_2) | instskip(NEXT) | instid1(SALU_CYCLE_3)
	s_cvt_u32_f32 s40, s3
	s_mul_u64 s[48:49], s[42:43], s[40:41]
	s_delay_alu instid0(SALU_CYCLE_1)
	s_mul_hi_u32 s51, s40, s49
	s_mul_i32 s50, s40, s49
	s_mul_hi_u32 s4, s40, s48
	s_mul_i32 s35, s41, s48
	s_add_nc_u64 s[50:51], s[4:5], s[50:51]
	s_mul_hi_u32 s3, s41, s48
	s_mul_hi_u32 s47, s41, s49
	s_add_co_u32 s4, s50, s35
	s_add_co_ci_u32 s4, s51, s3
	s_mul_i32 s48, s41, s49
	s_add_co_ci_u32 s49, s47, 0
	s_delay_alu instid0(SALU_CYCLE_1) | instskip(NEXT) | instid1(SALU_CYCLE_1)
	s_add_nc_u64 s[48:49], s[4:5], s[48:49]
	s_add_co_u32 s40, s40, s48
	s_cselect_b32 s3, -1, 0
	s_delay_alu instid0(SALU_CYCLE_1) | instskip(SKIP_1) | instid1(SALU_CYCLE_1)
	s_cmp_lg_u32 s3, 0
	s_add_co_ci_u32 s41, s41, s49
	s_mul_u64 s[42:43], s[42:43], s[40:41]
	s_delay_alu instid0(SALU_CYCLE_1)
	s_mul_hi_u32 s49, s40, s43
	s_mul_i32 s48, s40, s43
	s_mul_hi_u32 s4, s40, s42
	s_mul_i32 s35, s41, s42
	s_add_nc_u64 s[48:49], s[4:5], s[48:49]
	s_mul_hi_u32 s3, s41, s42
	s_mul_hi_u32 s47, s41, s43
	s_add_co_u32 s4, s48, s35
	s_add_co_ci_u32 s4, s49, s3
	s_mul_i32 s42, s41, s43
	s_add_co_ci_u32 s43, s47, 0
	s_delay_alu instid0(SALU_CYCLE_1) | instskip(NEXT) | instid1(SALU_CYCLE_1)
	s_add_nc_u64 s[42:43], s[4:5], s[42:43]
	s_add_co_u32 s40, s40, s42
	s_cselect_b32 s3, -1, 0
	v_mul_hi_u32 v22, v14, s40
	s_cmp_lg_u32 s3, 0
	s_add_co_ci_u32 s4, s41, s43
	s_and_b64 s[42:43], s[40:41], s[28:29]
	v_mul_u64_e32 v[16:17], s[4:5], v[14:15]
	v_mul_u64_e32 v[10:11], s[42:43], v[18:19]
	;; [unrolled: 1-line block ×3, first 2 shown]
	s_delay_alu instid0(VALU_DEP_3) | instskip(NEXT) | instid1(VALU_DEP_1)
	v_add_nc_u64_e32 v[16:17], v[22:23], v[16:17]
	v_add_co_u32 v3, vcc_lo, v16, v10
	s_delay_alu instid0(VALU_DEP_2) | instskip(NEXT) | instid1(VALU_DEP_4)
	v_add_co_ci_u32_e32 v22, vcc_lo, v17, v11, vcc_lo
	v_add_co_ci_u32_e32 v21, vcc_lo, 0, v21, vcc_lo
	s_delay_alu instid0(VALU_DEP_1) | instskip(NEXT) | instid1(VALU_DEP_1)
	v_add_nc_u64_e32 v[10:11], v[22:23], v[20:21]
	v_mul_u64_e32 v[16:17], s[36:37], v[10:11]
	s_delay_alu instid0(VALU_DEP_1) | instskip(NEXT) | instid1(VALU_DEP_2)
	v_sub_nc_u32_e32 v3, v18, v17
	v_sub_co_u32 v7, vcc_lo, v14, v16
	s_delay_alu instid0(VALU_DEP_1) | instskip(NEXT) | instid1(VALU_DEP_3)
	v_sub_co_ci_u32_e64 v18, null, v18, v17, vcc_lo
	v_subrev_co_ci_u32_e64 v3, null, s37, v3, vcc_lo
	s_delay_alu instid0(VALU_DEP_3) | instskip(SKIP_1) | instid1(VALU_DEP_3)
	v_sub_co_u32 v13, s3, v7, s36
	v_add_nc_u64_e32 v[16:17], 1, v[10:11]
	v_subrev_co_ci_u32_e64 v3, null, 0, v3, s3
	s_delay_alu instid0(VALU_DEP_3) | instskip(SKIP_1) | instid1(VALU_DEP_3)
	v_cmp_le_u32_e32 vcc_lo, s36, v13
	v_cndmask_b32_e64 v13, 0, -1, vcc_lo
	v_cmp_le_u32_e32 vcc_lo, s37, v3
	v_cndmask_b32_e64 v14, 0, -1, vcc_lo
	;; [unrolled: 2-line block ×4, first 2 shown]
	v_cmp_eq_u32_e32 vcc_lo, s37, v3
	v_cndmask_b32_e32 v3, v14, v13, vcc_lo
	v_cmp_eq_u32_e32 vcc_lo, s37, v18
	v_add_nc_u64_e32 v[14:15], 2, v[10:11]
	v_dual_mov_b32 v13, v12 :: v_dual_cndmask_b32 v7, v19, v7, vcc_lo
	s_delay_alu instid0(VALU_DEP_4) | instskip(NEXT) | instid1(VALU_DEP_2)
	v_cmp_ne_u32_e32 vcc_lo, 0, v3
	v_cmp_ne_u32_e64 s3, 0, v7
	s_delay_alu instid0(VALU_DEP_4) | instskip(NEXT) | instid1(VALU_DEP_1)
	v_dual_cndmask_b32 v3, v17, v15, vcc_lo :: v_dual_cndmask_b32 v7, v16, v14, vcc_lo
	v_cndmask_b32_e64 v3, v11, v3, s3
	s_delay_alu instid0(VALU_DEP_1) | instskip(NEXT) | instid1(VALU_DEP_1)
	v_dual_cndmask_b32 v7, v10, v7, s3 :: v_dual_bitop2_b32 v11, v3, v12 bitop3:0x14
	v_xor_b32_e32 v10, v7, v12
	s_delay_alu instid0(VALU_DEP_1)
	v_sub_nc_u64_e32 v[12:13], v[10:11], v[12:13]
                                        ; implicit-def: $vgpr10_vgpr11
.LBB72_25:                              ;   in Loop: Header=BB72_15 Depth=1
	s_and_not1_saveexec_b32 s3, s39
	s_cbranch_execz .LBB72_27
; %bb.26:                               ;   in Loop: Header=BB72_15 Depth=1
	v_cvt_f32_u32_e32 v3, s26
	s_sub_co_i32 s4, 0, s26
	s_delay_alu instid0(VALU_DEP_1) | instskip(SKIP_1) | instid1(TRANS32_DEP_1)
	v_rcp_iflag_f32_e32 v3, v3
	v_nop
	v_mul_f32_e32 v3, 0x4f7ffffe, v3
	s_delay_alu instid0(VALU_DEP_1) | instskip(NEXT) | instid1(VALU_DEP_1)
	v_cvt_u32_f32_e32 v3, v3
	v_mul_lo_u32 v7, s4, v3
	s_delay_alu instid0(VALU_DEP_1) | instskip(NEXT) | instid1(VALU_DEP_1)
	v_mul_hi_u32 v7, v3, v7
	v_add_nc_u32_e32 v3, v3, v7
	s_delay_alu instid0(VALU_DEP_1) | instskip(NEXT) | instid1(VALU_DEP_1)
	v_mul_hi_u32 v3, v10, v3
	v_mul_lo_u32 v7, v3, s26
	s_delay_alu instid0(VALU_DEP_1) | instskip(SKIP_1) | instid1(VALU_DEP_2)
	v_sub_nc_u32_e32 v7, v10, v7
	v_add_nc_u32_e32 v10, 1, v3
	v_subrev_nc_u32_e32 v11, s26, v7
	v_cmp_le_u32_e32 vcc_lo, s26, v7
	s_delay_alu instid0(VALU_DEP_2) | instskip(NEXT) | instid1(VALU_DEP_4)
	v_cndmask_b32_e32 v7, v7, v11, vcc_lo
	v_cndmask_b32_e32 v3, v3, v10, vcc_lo
	s_delay_alu instid0(VALU_DEP_2) | instskip(NEXT) | instid1(VALU_DEP_2)
	v_cmp_le_u32_e32 vcc_lo, s26, v7
	v_add_nc_u32_e32 v10, 1, v3
	s_delay_alu instid0(VALU_DEP_1)
	v_cndmask_b32_e32 v12, v3, v10, vcc_lo
.LBB72_27:                              ;   in Loop: Header=BB72_15 Depth=1
	s_or_b32 exec_lo, exec_lo, s3
	v_mul_u64_e32 v[10:11], s[20:21], v[4:5]
	s_delay_alu instid0(VALU_DEP_2) | instskip(SKIP_1) | instid1(VALU_DEP_1)
	v_ashrrev_i32_e32 v13, 31, v12
	s_mov_b32 s35, 0
	v_cmp_eq_u64_e32 vcc_lo, s[8:9], v[12:13]
	v_subrev_co_ci_u32_e64 v7, null, 0, v12, vcc_lo
	s_delay_alu instid0(VALU_DEP_1) | instskip(NEXT) | instid1(VALU_DEP_1)
	v_lshl_add_u32 v12, v7, 1, 0
	v_and_b32_e32 v7, -3, v12
	ds_load_b32 v7, v7
	v_lshl_add_u64 v[10:11], v[10:11], 1, s[6:7]
	global_load_u16 v3, v[10:11], off
	s_wait_xcnt 0x0
	v_dual_mov_b32 v11, v6 :: v_dual_bitop2_b32 v10, 2, v12 bitop3:0x40
	s_delay_alu instid0(VALU_DEP_1) | instskip(NEXT) | instid1(VALU_DEP_2)
	v_sub_nc_u32_e32 v13, 0, v10
	v_cmp_eq_u64_e32 vcc_lo, 0, v[10:11]
	v_cmp_ne_u32_e64 s3, 0, v10
	s_delay_alu instid0(VALU_DEP_3)
	v_add_nc_u32_e32 v10, v12, v13
	s_branch .LBB72_29
.LBB72_28:                              ;   in Loop: Header=BB72_29 Depth=2
	s_or_b32 exec_lo, exec_lo, s4
	ds_cmpstore_rtn_b32 v11, v10, v11, v7
	s_wait_dscnt 0x0
	v_cmp_eq_u32_e64 s4, v7, v11
	v_mov_b32_e32 v7, v11
	s_or_b32 s35, s4, s35
	s_delay_alu instid0(SALU_CYCLE_1)
	s_and_not1_b32 exec_lo, exec_lo, s35
	s_cbranch_execz .LBB72_14
.LBB72_29:                              ;   Parent Loop BB72_15 Depth=1
                                        ; =>  This Inner Loop Header: Depth=2
	s_wait_dscnt 0x0
	v_lshrrev_b32_e32 v11, 16, v7
	s_delay_alu instid0(VALU_DEP_1) | instskip(SKIP_1) | instid1(VALU_DEP_1)
	v_cndmask_b32_e32 v11, v11, v7, vcc_lo
	s_wait_loadcnt 0x0
	v_add_nc_u16 v11, v3, v11
	s_delay_alu instid0(VALU_DEP_1) | instskip(SKIP_1) | instid1(SALU_CYCLE_1)
	v_and_b32_e32 v12, 0xffff, v11
                                        ; implicit-def: $vgpr11
	s_and_saveexec_b32 s4, s3
	s_xor_b32 s4, exec_lo, s4
; %bb.30:                               ;   in Loop: Header=BB72_29 Depth=2
	v_and_b32_e32 v11, 0xffff, v7
	s_delay_alu instid0(VALU_DEP_1)
	v_lshl_or_b32 v11, v12, 16, v11
                                        ; implicit-def: $vgpr12
; %bb.31:                               ;   in Loop: Header=BB72_29 Depth=2
	s_and_not1_saveexec_b32 s4, s4
	s_cbranch_execz .LBB72_28
; %bb.32:                               ;   in Loop: Header=BB72_29 Depth=2
	v_and_or_b32 v11, 0xffff0000, v7, v12
	s_branch .LBB72_28
.LBB72_33:
	s_or_b32 exec_lo, exec_lo, s33
	s_load_b64 s[4:5], s[0:1], 0xd0
; %bb.34:
	s_barrier_signal -1
	s_barrier_wait -1
	s_wait_xcnt 0x0
	s_and_saveexec_b32 s0, s2
	s_cbranch_execz .LBB72_43
; %bb.35:
	v_mov_b32_e32 v5, 0
	s_mov_b32 s2, 0
	s_delay_alu instid0(VALU_DEP_1)
	v_mov_b32_e32 v3, v5
	s_branch .LBB72_37
.LBB72_36:                              ;   in Loop: Header=BB72_37 Depth=1
	s_or_b32 exec_lo, exec_lo, s3
	v_add_nc_u64_e32 v[0:1], v[0:1], v[2:3]
	s_delay_alu instid0(VALU_DEP_1) | instskip(SKIP_1) | instid1(SALU_CYCLE_1)
	v_cmp_le_i64_e32 vcc_lo, s[18:19], v[0:1]
	s_or_b32 s2, vcc_lo, s2
	s_and_not1_b32 exec_lo, exec_lo, s2
	s_cbranch_execz .LBB72_43
.LBB72_37:                              ; =>This Loop Header: Depth=1
                                        ;     Child Loop BB72_39 Depth 2
	s_wait_kmcnt 0x0
	v_mul_u64_e32 v[6:7], s[4:5], v[0:1]
	s_mov_b32 s3, 0
	s_delay_alu instid0(VALU_DEP_1) | instskip(NEXT) | instid1(VALU_DEP_1)
	v_lshl_add_u64 v[6:7], v[6:7], 1, s[16:17]
	v_and_b32_e32 v4, 2, v6
	s_delay_alu instid0(VALU_DEP_1) | instskip(SKIP_2) | instid1(VALU_DEP_3)
	v_sub_nc_u64_e32 v[8:9], 0, v[4:5]
	v_cmp_ne_u32_e64 s0, 0, v4
	v_cmp_eq_u64_e32 vcc_lo, 0, v[4:5]
	v_add_nc_u64_e32 v[6:7], v[6:7], v[8:9]
	v_lshl_add_u32 v8, v0, 1, 0
	ds_load_u16 v10, v8
	global_load_b32 v9, v[6:7], off
	s_branch .LBB72_39
.LBB72_38:                              ;   in Loop: Header=BB72_39 Depth=2
	s_or_b32 exec_lo, exec_lo, s1
	global_atomic_cmpswap_b32 v4, v[6:7], v[8:9], off th:TH_ATOMIC_RETURN scope:SCOPE_DEV
	s_wait_loadcnt 0x0
	v_cmp_eq_u32_e64 s1, v9, v4
	v_mov_b32_e32 v9, v4
	s_or_b32 s3, s1, s3
	s_delay_alu instid0(SALU_CYCLE_1)
	s_and_not1_b32 exec_lo, exec_lo, s3
	s_cbranch_execz .LBB72_36
.LBB72_39:                              ;   Parent Loop BB72_37 Depth=1
                                        ; =>  This Inner Loop Header: Depth=2
	s_wait_loadcnt 0x0
	v_lshrrev_b32_e32 v4, 16, v9
	s_delay_alu instid0(VALU_DEP_1) | instskip(SKIP_1) | instid1(VALU_DEP_1)
	v_cndmask_b32_e32 v4, v4, v9, vcc_lo
	s_wait_dscnt 0x0
	v_add_nc_u16 v4, v10, v4
	s_delay_alu instid0(VALU_DEP_1) | instskip(SKIP_1) | instid1(SALU_CYCLE_1)
	v_and_b32_e32 v4, 0xffff, v4
	s_and_saveexec_b32 s1, s0
	s_xor_b32 s1, exec_lo, s1
; %bb.40:                               ;   in Loop: Header=BB72_39 Depth=2
	v_and_b32_e32 v8, 0xffff, v9
	s_delay_alu instid0(VALU_DEP_1)
	v_lshl_or_b32 v8, v4, 16, v8
                                        ; implicit-def: $vgpr4
; %bb.41:                               ;   in Loop: Header=BB72_39 Depth=2
	s_and_not1_saveexec_b32 s1, s1
	s_cbranch_execz .LBB72_38
; %bb.42:                               ;   in Loop: Header=BB72_39 Depth=2
	v_and_or_b32 v8, 0xffff0000, v9, v4
	s_branch .LBB72_38
.LBB72_43:
	s_endpgm
	.section	.rodata,"a",@progbits
	.p2align	6, 0x0
	.amdhsa_kernel _ZN2at4cuda17kernelHistogram1DIsslLi1ELi2ELin1ELNS0_23CUDAHistogramMemoryTypeE0EZNS0_21CUDA_tensor_histogramIssLb0EEEbNS_6TensorES4_S4_lNS_14AccumulateTypeIT0_Lb1EE4typeES8_NS0_13TensorArgTypeES9_S9_EUllE_EEvNS0_6detail10TensorInfoIT_T1_EESF_NSC_IKS6_SE_EElS8_S8_SE_T6_
		.amdhsa_group_segment_fixed_size 0
		.amdhsa_private_segment_fixed_size 0
		.amdhsa_kernarg_size 1952
		.amdhsa_user_sgpr_count 2
		.amdhsa_user_sgpr_dispatch_ptr 0
		.amdhsa_user_sgpr_queue_ptr 0
		.amdhsa_user_sgpr_kernarg_segment_ptr 1
		.amdhsa_user_sgpr_dispatch_id 0
		.amdhsa_user_sgpr_kernarg_preload_length 0
		.amdhsa_user_sgpr_kernarg_preload_offset 0
		.amdhsa_user_sgpr_private_segment_size 0
		.amdhsa_wavefront_size32 1
		.amdhsa_uses_dynamic_stack 0
		.amdhsa_enable_private_segment 0
		.amdhsa_system_sgpr_workgroup_id_x 1
		.amdhsa_system_sgpr_workgroup_id_y 0
		.amdhsa_system_sgpr_workgroup_id_z 0
		.amdhsa_system_sgpr_workgroup_info 0
		.amdhsa_system_vgpr_workitem_id 0
		.amdhsa_next_free_vgpr 28
		.amdhsa_next_free_sgpr 57
		.amdhsa_named_barrier_count 0
		.amdhsa_reserve_vcc 1
		.amdhsa_float_round_mode_32 0
		.amdhsa_float_round_mode_16_64 0
		.amdhsa_float_denorm_mode_32 3
		.amdhsa_float_denorm_mode_16_64 3
		.amdhsa_fp16_overflow 0
		.amdhsa_memory_ordered 1
		.amdhsa_forward_progress 1
		.amdhsa_inst_pref_size 23
		.amdhsa_round_robin_scheduling 0
		.amdhsa_exception_fp_ieee_invalid_op 0
		.amdhsa_exception_fp_denorm_src 0
		.amdhsa_exception_fp_ieee_div_zero 0
		.amdhsa_exception_fp_ieee_overflow 0
		.amdhsa_exception_fp_ieee_underflow 0
		.amdhsa_exception_fp_ieee_inexact 0
		.amdhsa_exception_int_div_zero 0
	.end_amdhsa_kernel
	.section	.text._ZN2at4cuda17kernelHistogram1DIsslLi1ELi2ELin1ELNS0_23CUDAHistogramMemoryTypeE0EZNS0_21CUDA_tensor_histogramIssLb0EEEbNS_6TensorES4_S4_lNS_14AccumulateTypeIT0_Lb1EE4typeES8_NS0_13TensorArgTypeES9_S9_EUllE_EEvNS0_6detail10TensorInfoIT_T1_EESF_NSC_IKS6_SE_EElS8_S8_SE_T6_,"axG",@progbits,_ZN2at4cuda17kernelHistogram1DIsslLi1ELi2ELin1ELNS0_23CUDAHistogramMemoryTypeE0EZNS0_21CUDA_tensor_histogramIssLb0EEEbNS_6TensorES4_S4_lNS_14AccumulateTypeIT0_Lb1EE4typeES8_NS0_13TensorArgTypeES9_S9_EUllE_EEvNS0_6detail10TensorInfoIT_T1_EESF_NSC_IKS6_SE_EElS8_S8_SE_T6_,comdat
.Lfunc_end72:
	.size	_ZN2at4cuda17kernelHistogram1DIsslLi1ELi2ELin1ELNS0_23CUDAHistogramMemoryTypeE0EZNS0_21CUDA_tensor_histogramIssLb0EEEbNS_6TensorES4_S4_lNS_14AccumulateTypeIT0_Lb1EE4typeES8_NS0_13TensorArgTypeES9_S9_EUllE_EEvNS0_6detail10TensorInfoIT_T1_EESF_NSC_IKS6_SE_EElS8_S8_SE_T6_, .Lfunc_end72-_ZN2at4cuda17kernelHistogram1DIsslLi1ELi2ELin1ELNS0_23CUDAHistogramMemoryTypeE0EZNS0_21CUDA_tensor_histogramIssLb0EEEbNS_6TensorES4_S4_lNS_14AccumulateTypeIT0_Lb1EE4typeES8_NS0_13TensorArgTypeES9_S9_EUllE_EEvNS0_6detail10TensorInfoIT_T1_EESF_NSC_IKS6_SE_EElS8_S8_SE_T6_
                                        ; -- End function
	.set _ZN2at4cuda17kernelHistogram1DIsslLi1ELi2ELin1ELNS0_23CUDAHistogramMemoryTypeE0EZNS0_21CUDA_tensor_histogramIssLb0EEEbNS_6TensorES4_S4_lNS_14AccumulateTypeIT0_Lb1EE4typeES8_NS0_13TensorArgTypeES9_S9_EUllE_EEvNS0_6detail10TensorInfoIT_T1_EESF_NSC_IKS6_SE_EElS8_S8_SE_T6_.num_vgpr, 28
	.set _ZN2at4cuda17kernelHistogram1DIsslLi1ELi2ELin1ELNS0_23CUDAHistogramMemoryTypeE0EZNS0_21CUDA_tensor_histogramIssLb0EEEbNS_6TensorES4_S4_lNS_14AccumulateTypeIT0_Lb1EE4typeES8_NS0_13TensorArgTypeES9_S9_EUllE_EEvNS0_6detail10TensorInfoIT_T1_EESF_NSC_IKS6_SE_EElS8_S8_SE_T6_.num_agpr, 0
	.set _ZN2at4cuda17kernelHistogram1DIsslLi1ELi2ELin1ELNS0_23CUDAHistogramMemoryTypeE0EZNS0_21CUDA_tensor_histogramIssLb0EEEbNS_6TensorES4_S4_lNS_14AccumulateTypeIT0_Lb1EE4typeES8_NS0_13TensorArgTypeES9_S9_EUllE_EEvNS0_6detail10TensorInfoIT_T1_EESF_NSC_IKS6_SE_EElS8_S8_SE_T6_.numbered_sgpr, 57
	.set _ZN2at4cuda17kernelHistogram1DIsslLi1ELi2ELin1ELNS0_23CUDAHistogramMemoryTypeE0EZNS0_21CUDA_tensor_histogramIssLb0EEEbNS_6TensorES4_S4_lNS_14AccumulateTypeIT0_Lb1EE4typeES8_NS0_13TensorArgTypeES9_S9_EUllE_EEvNS0_6detail10TensorInfoIT_T1_EESF_NSC_IKS6_SE_EElS8_S8_SE_T6_.num_named_barrier, 0
	.set _ZN2at4cuda17kernelHistogram1DIsslLi1ELi2ELin1ELNS0_23CUDAHistogramMemoryTypeE0EZNS0_21CUDA_tensor_histogramIssLb0EEEbNS_6TensorES4_S4_lNS_14AccumulateTypeIT0_Lb1EE4typeES8_NS0_13TensorArgTypeES9_S9_EUllE_EEvNS0_6detail10TensorInfoIT_T1_EESF_NSC_IKS6_SE_EElS8_S8_SE_T6_.private_seg_size, 0
	.set _ZN2at4cuda17kernelHistogram1DIsslLi1ELi2ELin1ELNS0_23CUDAHistogramMemoryTypeE0EZNS0_21CUDA_tensor_histogramIssLb0EEEbNS_6TensorES4_S4_lNS_14AccumulateTypeIT0_Lb1EE4typeES8_NS0_13TensorArgTypeES9_S9_EUllE_EEvNS0_6detail10TensorInfoIT_T1_EESF_NSC_IKS6_SE_EElS8_S8_SE_T6_.uses_vcc, 1
	.set _ZN2at4cuda17kernelHistogram1DIsslLi1ELi2ELin1ELNS0_23CUDAHistogramMemoryTypeE0EZNS0_21CUDA_tensor_histogramIssLb0EEEbNS_6TensorES4_S4_lNS_14AccumulateTypeIT0_Lb1EE4typeES8_NS0_13TensorArgTypeES9_S9_EUllE_EEvNS0_6detail10TensorInfoIT_T1_EESF_NSC_IKS6_SE_EElS8_S8_SE_T6_.uses_flat_scratch, 0
	.set _ZN2at4cuda17kernelHistogram1DIsslLi1ELi2ELin1ELNS0_23CUDAHistogramMemoryTypeE0EZNS0_21CUDA_tensor_histogramIssLb0EEEbNS_6TensorES4_S4_lNS_14AccumulateTypeIT0_Lb1EE4typeES8_NS0_13TensorArgTypeES9_S9_EUllE_EEvNS0_6detail10TensorInfoIT_T1_EESF_NSC_IKS6_SE_EElS8_S8_SE_T6_.has_dyn_sized_stack, 0
	.set _ZN2at4cuda17kernelHistogram1DIsslLi1ELi2ELin1ELNS0_23CUDAHistogramMemoryTypeE0EZNS0_21CUDA_tensor_histogramIssLb0EEEbNS_6TensorES4_S4_lNS_14AccumulateTypeIT0_Lb1EE4typeES8_NS0_13TensorArgTypeES9_S9_EUllE_EEvNS0_6detail10TensorInfoIT_T1_EESF_NSC_IKS6_SE_EElS8_S8_SE_T6_.has_recursion, 0
	.set _ZN2at4cuda17kernelHistogram1DIsslLi1ELi2ELin1ELNS0_23CUDAHistogramMemoryTypeE0EZNS0_21CUDA_tensor_histogramIssLb0EEEbNS_6TensorES4_S4_lNS_14AccumulateTypeIT0_Lb1EE4typeES8_NS0_13TensorArgTypeES9_S9_EUllE_EEvNS0_6detail10TensorInfoIT_T1_EESF_NSC_IKS6_SE_EElS8_S8_SE_T6_.has_indirect_call, 0
	.section	.AMDGPU.csdata,"",@progbits
; Kernel info:
; codeLenInByte = 2888
; TotalNumSgprs: 59
; NumVgprs: 28
; ScratchSize: 0
; MemoryBound: 0
; FloatMode: 240
; IeeeMode: 1
; LDSByteSize: 0 bytes/workgroup (compile time only)
; SGPRBlocks: 0
; VGPRBlocks: 1
; NumSGPRsForWavesPerEU: 59
; NumVGPRsForWavesPerEU: 28
; NamedBarCnt: 0
; Occupancy: 16
; WaveLimiterHint : 1
; COMPUTE_PGM_RSRC2:SCRATCH_EN: 0
; COMPUTE_PGM_RSRC2:USER_SGPR: 2
; COMPUTE_PGM_RSRC2:TRAP_HANDLER: 0
; COMPUTE_PGM_RSRC2:TGID_X_EN: 1
; COMPUTE_PGM_RSRC2:TGID_Y_EN: 0
; COMPUTE_PGM_RSRC2:TGID_Z_EN: 0
; COMPUTE_PGM_RSRC2:TIDIG_COMP_CNT: 0
	.section	.text._ZN2at4cuda17kernelHistogram1DIsslLi1ELi2ELin1ELNS0_23CUDAHistogramMemoryTypeE1EZNS0_21CUDA_tensor_histogramIssLb0EEEbNS_6TensorES4_S4_lNS_14AccumulateTypeIT0_Lb1EE4typeES8_NS0_13TensorArgTypeES9_S9_EUllE_EEvNS0_6detail10TensorInfoIT_T1_EESF_NSC_IKS6_SE_EElS8_S8_SE_T6_,"axG",@progbits,_ZN2at4cuda17kernelHistogram1DIsslLi1ELi2ELin1ELNS0_23CUDAHistogramMemoryTypeE1EZNS0_21CUDA_tensor_histogramIssLb0EEEbNS_6TensorES4_S4_lNS_14AccumulateTypeIT0_Lb1EE4typeES8_NS0_13TensorArgTypeES9_S9_EUllE_EEvNS0_6detail10TensorInfoIT_T1_EESF_NSC_IKS6_SE_EElS8_S8_SE_T6_,comdat
	.protected	_ZN2at4cuda17kernelHistogram1DIsslLi1ELi2ELin1ELNS0_23CUDAHistogramMemoryTypeE1EZNS0_21CUDA_tensor_histogramIssLb0EEEbNS_6TensorES4_S4_lNS_14AccumulateTypeIT0_Lb1EE4typeES8_NS0_13TensorArgTypeES9_S9_EUllE_EEvNS0_6detail10TensorInfoIT_T1_EESF_NSC_IKS6_SE_EElS8_S8_SE_T6_ ; -- Begin function _ZN2at4cuda17kernelHistogram1DIsslLi1ELi2ELin1ELNS0_23CUDAHistogramMemoryTypeE1EZNS0_21CUDA_tensor_histogramIssLb0EEEbNS_6TensorES4_S4_lNS_14AccumulateTypeIT0_Lb1EE4typeES8_NS0_13TensorArgTypeES9_S9_EUllE_EEvNS0_6detail10TensorInfoIT_T1_EESF_NSC_IKS6_SE_EElS8_S8_SE_T6_
	.globl	_ZN2at4cuda17kernelHistogram1DIsslLi1ELi2ELin1ELNS0_23CUDAHistogramMemoryTypeE1EZNS0_21CUDA_tensor_histogramIssLb0EEEbNS_6TensorES4_S4_lNS_14AccumulateTypeIT0_Lb1EE4typeES8_NS0_13TensorArgTypeES9_S9_EUllE_EEvNS0_6detail10TensorInfoIT_T1_EESF_NSC_IKS6_SE_EElS8_S8_SE_T6_
	.p2align	8
	.type	_ZN2at4cuda17kernelHistogram1DIsslLi1ELi2ELin1ELNS0_23CUDAHistogramMemoryTypeE1EZNS0_21CUDA_tensor_histogramIssLb0EEEbNS_6TensorES4_S4_lNS_14AccumulateTypeIT0_Lb1EE4typeES8_NS0_13TensorArgTypeES9_S9_EUllE_EEvNS0_6detail10TensorInfoIT_T1_EESF_NSC_IKS6_SE_EElS8_S8_SE_T6_,@function
_ZN2at4cuda17kernelHistogram1DIsslLi1ELi2ELin1ELNS0_23CUDAHistogramMemoryTypeE1EZNS0_21CUDA_tensor_histogramIssLb0EEEbNS_6TensorES4_S4_lNS_14AccumulateTypeIT0_Lb1EE4typeES8_NS0_13TensorArgTypeES9_S9_EUllE_EEvNS0_6detail10TensorInfoIT_T1_EESF_NSC_IKS6_SE_EElS8_S8_SE_T6_: ; @_ZN2at4cuda17kernelHistogram1DIsslLi1ELi2ELin1ELNS0_23CUDAHistogramMemoryTypeE1EZNS0_21CUDA_tensor_histogramIssLb0EEEbNS_6TensorES4_S4_lNS_14AccumulateTypeIT0_Lb1EE4typeES8_NS0_13TensorArgTypeES9_S9_EUllE_EEvNS0_6detail10TensorInfoIT_T1_EESF_NSC_IKS6_SE_EElS8_S8_SE_T6_
; %bb.0:
	s_load_b32 s2, s[0:1], 0x6ac
	s_bfe_u32 s12, ttmp6, 0x4000c
	s_load_b256 s[4:11], s[0:1], 0x4e0
	s_add_co_i32 s12, s12, 1
	s_and_b32 s3, ttmp6, 15
	s_mul_i32 s12, ttmp9, s12
	s_getreg_b32 s13, hwreg(HW_REG_IB_STS2, 6, 4)
	s_add_co_i32 s3, s3, s12
	v_mov_b32_e32 v2, 0
	s_mov_b32 s12, exec_lo
	s_delay_alu instid0(VALU_DEP_1) | instskip(SKIP_4) | instid1(SALU_CYCLE_1)
	v_mov_b32_e32 v1, v2
	s_wait_kmcnt 0x0
	s_and_b32 s2, s2, 0xffff
	s_cmp_eq_u32 s13, 0
	s_cselect_b32 s3, ttmp9, s3
	v_mad_u32 v0, s3, s2, v0
	s_mov_b32 s3, 0
	s_delay_alu instid0(VALU_DEP_1)
	v_cmpx_gt_i64_e64 s[10:11], v[0:1]
	s_cbranch_execz .LBB73_21
; %bb.1:
	s_clause 0x1
	s_load_b64 s[12:13], s[0:1], 0x5d0
	s_load_b32 s30, s[0:1], 0x4d8
	s_add_nc_u64 s[24:25], s[0:1], 0x6a0
	s_load_b32 s26, s[24:25], 0x0
	s_clause 0x4
	s_load_b64 s[14:15], s[0:1], 0x500
	s_load_b64 s[16:17], s[0:1], 0x0
	;; [unrolled: 1-line block ×5, first 2 shown]
	s_wait_xcnt 0x0
	s_add_nc_u64 s[0:1], s[0:1], 0x340
	s_sub_nc_u64 s[24:25], s[8:9], s[6:7]
	s_mov_b32 s27, s3
	s_mov_b64 s[28:29], 0xffffffff
	s_mov_b32 s45, 0
	s_wait_kmcnt 0x0
	s_mul_i32 s26, s26, s2
	s_cmp_gt_i32 s30, 1
	s_cselect_b32 s33, -1, 0
	s_add_co_i32 s2, s30, -1
	s_add_co_i32 s44, s30, 1
	s_lshl_b64 s[30:31], s[2:3], 3
	s_delay_alu instid0(SALU_CYCLE_1)
	s_add_nc_u64 s[0:1], s[0:1], s[30:31]
	s_ashr_i32 s30, s25, 31
	s_add_nc_u64 s[34:35], s[0:1], 8
	s_branch .LBB73_3
.LBB73_2:                               ;   in Loop: Header=BB73_3 Depth=1
	s_or_b32 exec_lo, exec_lo, s38
	v_add_nc_u64_e32 v[0:1], s[26:27], v[0:1]
	s_delay_alu instid0(VALU_DEP_1) | instskip(SKIP_1) | instid1(SALU_CYCLE_1)
	v_cmp_le_i64_e32 vcc_lo, s[10:11], v[0:1]
	s_or_b32 s45, vcc_lo, s45
	s_and_not1_b32 exec_lo, exec_lo, s45
	s_cbranch_execz .LBB73_21
.LBB73_3:                               ; =>This Loop Header: Depth=1
                                        ;     Child Loop BB73_4 Depth 2
                                        ;     Child Loop BB73_17 Depth 2
	v_mov_b64_e32 v[4:5], 0
	v_mov_b64_e32 v[6:7], v[0:1]
	;; [unrolled: 1-line block ×3, first 2 shown]
	s_and_not1_b32 vcc_lo, exec_lo, s33
	s_mov_b64 s[36:37], s[34:35]
	s_mov_b32 s1, s44
	s_cbranch_vccnz .LBB73_10
.LBB73_4:                               ;   Parent Loop BB73_3 Depth=1
                                        ; =>  This Inner Loop Header: Depth=2
	s_load_b64 s[38:39], s[36:37], 0x0
                                        ; implicit-def: $vgpr8_vgpr9
	s_mov_b32 s0, exec_lo
	s_wait_kmcnt 0x0
	s_delay_alu instid0(VALU_DEP_1) | instskip(NEXT) | instid1(VALU_DEP_1)
	v_or_b32_e32 v3, s39, v7
	v_cmpx_ne_u64_e32 0, v[2:3]
	s_xor_b32 s31, exec_lo, s0
	s_cbranch_execz .LBB73_6
; %bb.5:                                ;   in Loop: Header=BB73_4 Depth=2
	s_ashr_i32 s40, s39, 31
	v_dual_mov_b32 v13, v2 :: v_dual_ashrrev_i32 v8, 31, v7
	s_mov_b32 s41, s40
	s_delay_alu instid0(SALU_CYCLE_1) | instskip(NEXT) | instid1(VALU_DEP_1)
	s_add_nc_u64 s[42:43], s[38:39], s[40:41]
	v_mov_b32_e32 v9, v8
	s_xor_b64 s[42:43], s[42:43], s[40:41]
	s_delay_alu instid0(SALU_CYCLE_1)
	s_cvt_f32_u32 s0, s42
	s_cvt_f32_u32 s2, s43
	s_sub_nc_u64 s[48:49], 0, s[42:43]
	v_add_nc_u64_e32 v[10:11], v[6:7], v[8:9]
	v_mov_b32_e32 v17, v2
	s_fmamk_f32 s0, s2, 0x4f800000, s0
	s_delay_alu instid0(SALU_CYCLE_3) | instskip(NEXT) | instid1(VALU_DEP_2)
	v_s_rcp_f32 s0, s0
	v_xor_b32_e32 v12, v10, v8
	s_delay_alu instid0(VALU_DEP_3) | instskip(SKIP_1) | instid1(TRANS32_DEP_1)
	v_dual_mov_b32 v21, v2 :: v_dual_bitop2_b32 v16, v11, v8 bitop3:0x14
	v_xor_b32_e32 v8, s40, v8
	s_mul_f32 s0, s0, 0x5f7ffffc
	s_delay_alu instid0(SALU_CYCLE_3) | instskip(NEXT) | instid1(SALU_CYCLE_3)
	s_mul_f32 s2, s0, 0x2f800000
	s_trunc_f32 s2, s2
	s_delay_alu instid0(SALU_CYCLE_3) | instskip(SKIP_1) | instid1(SALU_CYCLE_2)
	s_fmamk_f32 s0, s2, 0xcf800000, s0
	s_cvt_u32_f32 s47, s2
	s_cvt_u32_f32 s46, s0
	s_delay_alu instid0(SALU_CYCLE_3) | instskip(NEXT) | instid1(SALU_CYCLE_1)
	s_mul_u64 s[50:51], s[48:49], s[46:47]
	s_mul_hi_u32 s53, s46, s51
	s_mul_i32 s52, s46, s51
	s_mul_hi_u32 s2, s46, s50
	s_mul_i32 s41, s47, s50
	s_add_nc_u64 s[52:53], s[2:3], s[52:53]
	s_mul_hi_u32 s0, s47, s50
	s_mul_hi_u32 s54, s47, s51
	s_add_co_u32 s2, s52, s41
	s_add_co_ci_u32 s2, s53, s0
	s_mul_i32 s50, s47, s51
	s_add_co_ci_u32 s51, s54, 0
	s_delay_alu instid0(SALU_CYCLE_1) | instskip(NEXT) | instid1(SALU_CYCLE_1)
	s_add_nc_u64 s[50:51], s[2:3], s[50:51]
	s_add_co_u32 s46, s46, s50
	s_cselect_b32 s0, -1, 0
	s_delay_alu instid0(SALU_CYCLE_1) | instskip(SKIP_1) | instid1(SALU_CYCLE_1)
	s_cmp_lg_u32 s0, 0
	s_add_co_ci_u32 s47, s47, s51
	s_mul_u64 s[48:49], s[48:49], s[46:47]
	s_delay_alu instid0(SALU_CYCLE_1)
	s_mul_hi_u32 s51, s46, s49
	s_mul_i32 s50, s46, s49
	s_mul_hi_u32 s2, s46, s48
	s_mul_i32 s41, s47, s48
	s_add_nc_u64 s[50:51], s[2:3], s[50:51]
	s_mul_hi_u32 s0, s47, s48
	s_mul_hi_u32 s52, s47, s49
	s_add_co_u32 s2, s50, s41
	s_add_co_ci_u32 s2, s51, s0
	s_mul_i32 s48, s47, s49
	s_add_co_ci_u32 s49, s52, 0
	s_delay_alu instid0(SALU_CYCLE_1) | instskip(NEXT) | instid1(SALU_CYCLE_1)
	s_add_nc_u64 s[48:49], s[2:3], s[48:49]
	s_add_co_u32 s0, s46, s48
	s_cselect_b32 s2, -1, 0
	v_mul_hi_u32 v20, v12, s0
	s_cmp_lg_u32 s2, 0
	s_add_co_ci_u32 s2, s47, s49
	s_and_b64 s[46:47], s[0:1], s[28:29]
	v_mul_u64_e32 v[14:15], s[2:3], v[12:13]
	v_mul_u64_e32 v[10:11], s[46:47], v[16:17]
	;; [unrolled: 1-line block ×3, first 2 shown]
	s_delay_alu instid0(VALU_DEP_3) | instskip(NEXT) | instid1(VALU_DEP_1)
	v_add_nc_u64_e32 v[14:15], v[20:21], v[14:15]
	v_add_co_u32 v3, vcc_lo, v14, v10
	s_delay_alu instid0(VALU_DEP_2) | instskip(NEXT) | instid1(VALU_DEP_4)
	v_add_co_ci_u32_e32 v20, vcc_lo, v15, v11, vcc_lo
	v_add_co_ci_u32_e32 v19, vcc_lo, 0, v19, vcc_lo
	s_delay_alu instid0(VALU_DEP_1) | instskip(NEXT) | instid1(VALU_DEP_1)
	v_add_nc_u64_e32 v[10:11], v[20:21], v[18:19]
	v_mul_u64_e32 v[14:15], s[42:43], v[10:11]
	s_delay_alu instid0(VALU_DEP_1) | instskip(NEXT) | instid1(VALU_DEP_2)
	v_sub_nc_u32_e32 v3, v16, v15
	v_sub_co_u32 v9, vcc_lo, v12, v14
	s_delay_alu instid0(VALU_DEP_1) | instskip(NEXT) | instid1(VALU_DEP_3)
	v_sub_co_ci_u32_e64 v16, null, v16, v15, vcc_lo
	v_subrev_co_ci_u32_e64 v3, null, s43, v3, vcc_lo
	s_delay_alu instid0(VALU_DEP_3) | instskip(SKIP_1) | instid1(VALU_DEP_3)
	v_sub_co_u32 v12, s0, v9, s42
	v_add_nc_u64_e32 v[14:15], 1, v[10:11]
	v_subrev_co_ci_u32_e64 v3, null, 0, v3, s0
	s_delay_alu instid0(VALU_DEP_3) | instskip(SKIP_1) | instid1(VALU_DEP_3)
	v_cmp_le_u32_e32 vcc_lo, s42, v12
	v_cndmask_b32_e64 v12, 0, -1, vcc_lo
	v_cmp_le_u32_e32 vcc_lo, s43, v3
	v_cndmask_b32_e64 v13, 0, -1, vcc_lo
	;; [unrolled: 2-line block ×4, first 2 shown]
	v_cmp_eq_u32_e32 vcc_lo, s43, v3
	v_cndmask_b32_e32 v3, v13, v12, vcc_lo
	v_cmp_eq_u32_e32 vcc_lo, s43, v16
	v_add_nc_u64_e32 v[12:13], 2, v[10:11]
	v_cndmask_b32_e32 v9, v17, v9, vcc_lo
	s_delay_alu instid0(VALU_DEP_4) | instskip(NEXT) | instid1(VALU_DEP_2)
	v_cmp_ne_u32_e32 vcc_lo, 0, v3
	v_cmp_ne_u32_e64 s0, 0, v9
	s_delay_alu instid0(VALU_DEP_4) | instskip(NEXT) | instid1(VALU_DEP_1)
	v_dual_cndmask_b32 v3, v15, v13, vcc_lo :: v_dual_cndmask_b32 v9, v14, v12, vcc_lo
	v_dual_cndmask_b32 v10, v10, v9, s0 :: v_dual_mov_b32 v9, v8
	s_delay_alu instid0(VALU_DEP_1) | instskip(NEXT) | instid1(VALU_DEP_1)
	v_dual_cndmask_b32 v3, v11, v3, s0 :: v_dual_bitop2_b32 v10, v10, v8 bitop3:0x14
	v_xor_b32_e32 v11, v3, v8
	s_delay_alu instid0(VALU_DEP_1)
	v_sub_nc_u64_e32 v[8:9], v[10:11], v[8:9]
.LBB73_6:                               ;   in Loop: Header=BB73_4 Depth=2
	s_and_not1_saveexec_b32 s0, s31
	s_cbranch_execz .LBB73_8
; %bb.7:                                ;   in Loop: Header=BB73_4 Depth=2
	v_cvt_f32_u32_e32 v3, s38
	s_sub_co_i32 s2, 0, s38
	s_delay_alu instid0(VALU_DEP_1) | instskip(SKIP_1) | instid1(TRANS32_DEP_1)
	v_rcp_iflag_f32_e32 v3, v3
	v_nop
	v_mul_f32_e32 v3, 0x4f7ffffe, v3
	s_delay_alu instid0(VALU_DEP_1) | instskip(NEXT) | instid1(VALU_DEP_1)
	v_cvt_u32_f32_e32 v3, v3
	v_mul_lo_u32 v8, s2, v3
	s_delay_alu instid0(VALU_DEP_1) | instskip(NEXT) | instid1(VALU_DEP_1)
	v_mul_hi_u32 v8, v3, v8
	v_add_nc_u32_e32 v3, v3, v8
	s_delay_alu instid0(VALU_DEP_1) | instskip(NEXT) | instid1(VALU_DEP_1)
	v_mul_hi_u32 v3, v6, v3
	v_mul_lo_u32 v8, v3, s38
	s_delay_alu instid0(VALU_DEP_1) | instskip(NEXT) | instid1(VALU_DEP_1)
	v_dual_add_nc_u32 v9, 1, v3 :: v_dual_sub_nc_u32 v8, v6, v8
	v_subrev_nc_u32_e32 v10, s38, v8
	v_cmp_le_u32_e32 vcc_lo, s38, v8
	s_delay_alu instid0(VALU_DEP_2) | instskip(NEXT) | instid1(VALU_DEP_1)
	v_dual_cndmask_b32 v8, v8, v10 :: v_dual_cndmask_b32 v3, v3, v9
	v_cmp_le_u32_e32 vcc_lo, s38, v8
	s_delay_alu instid0(VALU_DEP_2) | instskip(NEXT) | instid1(VALU_DEP_1)
	v_add_nc_u32_e32 v9, 1, v3
	v_dual_cndmask_b32 v8, v3, v9 :: v_dual_mov_b32 v9, v2
.LBB73_8:                               ;   in Loop: Header=BB73_4 Depth=2
	s_or_b32 exec_lo, exec_lo, s0
	s_delay_alu instid0(VALU_DEP_1)
	v_mul_u64_e32 v[10:11], s[38:39], v[8:9]
	s_load_b64 s[38:39], s[36:37], 0xc8
	s_add_co_i32 s1, s1, -1
	s_wait_xcnt 0x0
	s_add_nc_u64 s[36:37], s[36:37], -8
	s_cmp_gt_u32 s1, 2
	s_delay_alu instid0(VALU_DEP_1) | instskip(SKIP_1) | instid1(VALU_DEP_1)
	v_sub_nc_u64_e32 v[6:7], v[6:7], v[10:11]
	s_wait_kmcnt 0x0
	v_mad_nc_u64_u32 v[4:5], s38, v6, v[4:5]
	s_delay_alu instid0(VALU_DEP_1) | instskip(NEXT) | instid1(VALU_DEP_1)
	v_mad_u32 v3, s39, v6, v5
	v_mad_u32 v5, s38, v7, v3
	s_cbranch_scc0 .LBB73_10
; %bb.9:                                ;   in Loop: Header=BB73_4 Depth=2
	v_mov_b64_e32 v[6:7], v[8:9]
	s_branch .LBB73_4
.LBB73_10:                              ;   in Loop: Header=BB73_3 Depth=1
	s_delay_alu instid0(VALU_DEP_1) | instskip(NEXT) | instid1(VALU_DEP_1)
	v_mul_u64_e32 v[6:7], s[20:21], v[8:9]
	v_lshl_add_u64 v[6:7], v[6:7], 1, s[22:23]
	s_delay_alu instid0(VALU_DEP_1) | instskip(SKIP_3) | instid1(VALU_DEP_1)
	v_lshl_add_u64 v[4:5], v[4:5], 1, v[6:7]
	global_load_u16 v3, v[4:5], off
	s_wait_loadcnt 0x0
	v_bfe_i32 v4, v3, 0, 16
	v_ashrrev_i32_e32 v5, 31, v4
	s_delay_alu instid0(VALU_DEP_1) | instskip(SKIP_2) | instid1(SALU_CYCLE_1)
	v_cmp_le_i64_e32 vcc_lo, s[6:7], v[4:5]
	v_cmp_ge_i64_e64 s0, s[8:9], v[4:5]
	s_and_b32 s0, vcc_lo, s0
	s_and_saveexec_b32 s38, s0
	s_cbranch_execz .LBB73_2
; %bb.11:                               ;   in Loop: Header=BB73_3 Depth=1
	v_sub_nc_u64_e64 v[4:5], v[4:5], s[6:7]
                                        ; implicit-def: $vgpr6_vgpr7
	s_mov_b32 s0, exec_lo
	s_delay_alu instid0(VALU_DEP_1) | instskip(NEXT) | instid1(VALU_DEP_1)
	v_mul_u64_e32 v[4:5], s[4:5], v[4:5]
	v_or_b32_e32 v3, s25, v5
	s_delay_alu instid0(VALU_DEP_1)
	v_cmpx_ne_u64_e32 0, v[2:3]
	s_xor_b32 s1, exec_lo, s0
	s_cbranch_execz .LBB73_13
; %bb.12:                               ;   in Loop: Header=BB73_3 Depth=1
	s_mov_b32 s31, s30
	v_dual_mov_b32 v9, v2 :: v_dual_ashrrev_i32 v6, 31, v5
	s_add_nc_u64 s[36:37], s[24:25], s[30:31]
	s_delay_alu instid0(SALU_CYCLE_1) | instskip(NEXT) | instid1(VALU_DEP_1)
	s_xor_b64 s[36:37], s[36:37], s[30:31]
	v_mov_b32_e32 v7, v6
	s_cvt_f32_u32 s0, s36
	s_cvt_f32_u32 s2, s37
	s_sub_nc_u64 s[42:43], 0, s[36:37]
	s_delay_alu instid0(VALU_DEP_1) | instskip(NEXT) | instid1(SALU_CYCLE_1)
	v_add_nc_u64_e32 v[4:5], v[4:5], v[6:7]
	s_fmamk_f32 s0, s2, 0x4f800000, s0
	v_mov_b32_e32 v13, v2
	s_delay_alu instid0(SALU_CYCLE_2) | instskip(NEXT) | instid1(VALU_DEP_2)
	v_s_rcp_f32 s0, s0
	v_xor_b32_e32 v8, v4, v6
	s_delay_alu instid0(VALU_DEP_3) | instskip(NEXT) | instid1(TRANS32_DEP_1)
	v_dual_mov_b32 v17, v2 :: v_dual_bitop2_b32 v12, v5, v6 bitop3:0x14
	s_mul_f32 s0, s0, 0x5f7ffffc
	s_delay_alu instid0(SALU_CYCLE_3) | instskip(NEXT) | instid1(SALU_CYCLE_3)
	s_mul_f32 s2, s0, 0x2f800000
	s_trunc_f32 s2, s2
	s_delay_alu instid0(SALU_CYCLE_3) | instskip(SKIP_1) | instid1(SALU_CYCLE_2)
	s_fmamk_f32 s0, s2, 0xcf800000, s0
	s_cvt_u32_f32 s41, s2
	s_cvt_u32_f32 s40, s0
	s_delay_alu instid0(SALU_CYCLE_3) | instskip(NEXT) | instid1(SALU_CYCLE_1)
	s_mul_u64 s[46:47], s[42:43], s[40:41]
	s_mul_hi_u32 s49, s40, s47
	s_mul_i32 s48, s40, s47
	s_mul_hi_u32 s2, s40, s46
	s_mul_i32 s31, s41, s46
	s_add_nc_u64 s[48:49], s[2:3], s[48:49]
	s_mul_hi_u32 s0, s41, s46
	s_mul_hi_u32 s39, s41, s47
	s_add_co_u32 s2, s48, s31
	s_add_co_ci_u32 s2, s49, s0
	s_mul_i32 s46, s41, s47
	s_add_co_ci_u32 s47, s39, 0
	s_delay_alu instid0(SALU_CYCLE_1) | instskip(NEXT) | instid1(SALU_CYCLE_1)
	s_add_nc_u64 s[46:47], s[2:3], s[46:47]
	s_add_co_u32 s40, s40, s46
	s_cselect_b32 s0, -1, 0
	s_delay_alu instid0(SALU_CYCLE_1) | instskip(SKIP_1) | instid1(SALU_CYCLE_1)
	s_cmp_lg_u32 s0, 0
	s_add_co_ci_u32 s41, s41, s47
	s_mul_u64 s[42:43], s[42:43], s[40:41]
	s_delay_alu instid0(SALU_CYCLE_1)
	s_mul_hi_u32 s47, s40, s43
	s_mul_i32 s46, s40, s43
	s_mul_hi_u32 s2, s40, s42
	s_mul_i32 s31, s41, s42
	s_add_nc_u64 s[46:47], s[2:3], s[46:47]
	s_mul_hi_u32 s0, s41, s42
	s_mul_hi_u32 s39, s41, s43
	s_add_co_u32 s2, s46, s31
	s_add_co_ci_u32 s2, s47, s0
	s_mul_i32 s42, s41, s43
	s_add_co_ci_u32 s43, s39, 0
	s_delay_alu instid0(SALU_CYCLE_1) | instskip(NEXT) | instid1(SALU_CYCLE_1)
	s_add_nc_u64 s[42:43], s[2:3], s[42:43]
	s_add_co_u32 s0, s40, s42
	s_cselect_b32 s2, -1, 0
	v_mul_hi_u32 v16, v8, s0
	s_cmp_lg_u32 s2, 0
	s_add_co_ci_u32 s2, s41, s43
	s_and_b64 s[40:41], s[0:1], s[28:29]
	v_mul_u64_e32 v[10:11], s[2:3], v[8:9]
	v_mul_u64_e32 v[4:5], s[40:41], v[12:13]
	;; [unrolled: 1-line block ×3, first 2 shown]
	s_delay_alu instid0(VALU_DEP_3) | instskip(NEXT) | instid1(VALU_DEP_1)
	v_add_nc_u64_e32 v[10:11], v[16:17], v[10:11]
	v_add_co_u32 v3, vcc_lo, v10, v4
	s_delay_alu instid0(VALU_DEP_2) | instskip(NEXT) | instid1(VALU_DEP_4)
	v_add_co_ci_u32_e32 v16, vcc_lo, v11, v5, vcc_lo
	v_add_co_ci_u32_e32 v15, vcc_lo, 0, v15, vcc_lo
	s_delay_alu instid0(VALU_DEP_1) | instskip(NEXT) | instid1(VALU_DEP_1)
	v_add_nc_u64_e32 v[4:5], v[16:17], v[14:15]
	v_mul_u64_e32 v[10:11], s[36:37], v[4:5]
	s_delay_alu instid0(VALU_DEP_1) | instskip(NEXT) | instid1(VALU_DEP_2)
	v_sub_nc_u32_e32 v3, v12, v11
	v_sub_co_u32 v7, vcc_lo, v8, v10
	s_delay_alu instid0(VALU_DEP_1) | instskip(NEXT) | instid1(VALU_DEP_3)
	v_sub_co_ci_u32_e64 v12, null, v12, v11, vcc_lo
	v_subrev_co_ci_u32_e64 v3, null, s37, v3, vcc_lo
	s_delay_alu instid0(VALU_DEP_3) | instskip(SKIP_1) | instid1(VALU_DEP_3)
	v_sub_co_u32 v8, s0, v7, s36
	v_add_nc_u64_e32 v[10:11], 1, v[4:5]
	v_subrev_co_ci_u32_e64 v3, null, 0, v3, s0
	s_delay_alu instid0(VALU_DEP_3) | instskip(SKIP_1) | instid1(VALU_DEP_3)
	v_cmp_le_u32_e32 vcc_lo, s36, v8
	v_cndmask_b32_e64 v8, 0, -1, vcc_lo
	v_cmp_le_u32_e32 vcc_lo, s37, v3
	v_cndmask_b32_e64 v9, 0, -1, vcc_lo
	;; [unrolled: 2-line block ×4, first 2 shown]
	v_cmp_eq_u32_e32 vcc_lo, s37, v3
	v_cndmask_b32_e32 v3, v9, v8, vcc_lo
	v_cmp_eq_u32_e32 vcc_lo, s37, v12
	v_add_nc_u64_e32 v[8:9], 2, v[4:5]
	v_cndmask_b32_e32 v7, v13, v7, vcc_lo
	s_delay_alu instid0(VALU_DEP_4) | instskip(NEXT) | instid1(VALU_DEP_3)
	v_cmp_ne_u32_e32 vcc_lo, 0, v3
	v_cndmask_b32_e32 v3, v11, v9, vcc_lo
	s_delay_alu instid0(VALU_DEP_3) | instskip(SKIP_1) | instid1(VALU_DEP_2)
	v_cmp_ne_u32_e64 s0, 0, v7
	v_dual_cndmask_b32 v7, v10, v8, vcc_lo :: v_dual_bitop2_b32 v6, s30, v6 bitop3:0x14
	v_cndmask_b32_e64 v3, v5, v3, s0
	s_delay_alu instid0(VALU_DEP_2) | instskip(NEXT) | instid1(VALU_DEP_2)
	v_dual_cndmask_b32 v4, v4, v7, s0 :: v_dual_mov_b32 v7, v6
	v_xor_b32_e32 v5, v3, v6
	s_delay_alu instid0(VALU_DEP_2) | instskip(NEXT) | instid1(VALU_DEP_1)
	v_xor_b32_e32 v4, v4, v6
	v_sub_nc_u64_e32 v[6:7], v[4:5], v[6:7]
                                        ; implicit-def: $vgpr4_vgpr5
.LBB73_13:                              ;   in Loop: Header=BB73_3 Depth=1
	s_and_not1_saveexec_b32 s0, s1
	s_cbranch_execz .LBB73_15
; %bb.14:                               ;   in Loop: Header=BB73_3 Depth=1
	v_cvt_f32_u32_e32 v3, s24
	s_sub_co_i32 s1, 0, s24
	s_delay_alu instid0(VALU_DEP_1) | instskip(SKIP_1) | instid1(TRANS32_DEP_1)
	v_rcp_iflag_f32_e32 v3, v3
	v_nop
	v_mul_f32_e32 v3, 0x4f7ffffe, v3
	s_delay_alu instid0(VALU_DEP_1) | instskip(NEXT) | instid1(VALU_DEP_1)
	v_cvt_u32_f32_e32 v3, v3
	v_mul_lo_u32 v5, s1, v3
	s_delay_alu instid0(VALU_DEP_1) | instskip(NEXT) | instid1(VALU_DEP_1)
	v_mul_hi_u32 v5, v3, v5
	v_add_nc_u32_e32 v3, v3, v5
	s_delay_alu instid0(VALU_DEP_1) | instskip(NEXT) | instid1(VALU_DEP_1)
	v_mul_hi_u32 v3, v4, v3
	v_mul_lo_u32 v5, v3, s24
	s_delay_alu instid0(VALU_DEP_1) | instskip(NEXT) | instid1(VALU_DEP_1)
	v_dual_sub_nc_u32 v4, v4, v5 :: v_dual_add_nc_u32 v5, 1, v3
	v_subrev_nc_u32_e32 v6, s24, v4
	v_cmp_le_u32_e32 vcc_lo, s24, v4
	s_delay_alu instid0(VALU_DEP_2) | instskip(NEXT) | instid1(VALU_DEP_1)
	v_dual_cndmask_b32 v4, v4, v6 :: v_dual_cndmask_b32 v3, v3, v5
	v_cmp_le_u32_e32 vcc_lo, s24, v4
	s_delay_alu instid0(VALU_DEP_2) | instskip(NEXT) | instid1(VALU_DEP_1)
	v_add_nc_u32_e32 v5, 1, v3
	v_cndmask_b32_e32 v6, v3, v5, vcc_lo
.LBB73_15:                              ;   in Loop: Header=BB73_3 Depth=1
	s_or_b32 exec_lo, exec_lo, s0
	s_delay_alu instid0(VALU_DEP_1) | instskip(SKIP_2) | instid1(VALU_DEP_2)
	v_dual_ashrrev_i32 v7, 31, v6 :: v_dual_mov_b32 v5, s3
	s_mov_b32 s2, 0
	v_mov_b32_e32 v9, v2
	v_cmp_eq_u64_e32 vcc_lo, s[4:5], v[6:7]
	v_cndmask_b32_e64 v4, 0, 1, vcc_lo
	s_delay_alu instid0(VALU_DEP_1) | instskip(SKIP_1) | instid1(VALU_DEP_2)
	v_sub_nc_u64_e32 v[4:5], v[6:7], v[4:5]
	v_mul_u64_e32 v[6:7], s[12:13], v[0:1]
	v_mul_u64_e32 v[4:5], s[18:19], v[4:5]
	s_delay_alu instid0(VALU_DEP_1) | instskip(NEXT) | instid1(VALU_DEP_1)
	v_lshl_add_u64 v[4:5], v[4:5], 1, s[16:17]
	v_and_b32_e32 v8, 2, v4
	s_delay_alu instid0(VALU_DEP_1) | instskip(SKIP_2) | instid1(VALU_DEP_3)
	v_sub_nc_u64_e32 v[10:11], 0, v[8:9]
	v_cmp_ne_u32_e64 s0, 0, v8
	v_cmp_eq_u64_e32 vcc_lo, 0, v[8:9]
	v_add_nc_u64_e32 v[4:5], v[4:5], v[10:11]
	v_lshl_add_u64 v[10:11], v[6:7], 1, s[14:15]
	global_load_u16 v3, v[10:11], off
	global_load_b32 v7, v[4:5], off
	s_branch .LBB73_17
.LBB73_16:                              ;   in Loop: Header=BB73_17 Depth=2
	s_or_b32 exec_lo, exec_lo, s1
	global_atomic_cmpswap_b32 v6, v[4:5], v[6:7], off th:TH_ATOMIC_RETURN scope:SCOPE_DEV
	s_wait_loadcnt 0x0
	v_cmp_eq_u32_e64 s1, v7, v6
	v_mov_b32_e32 v7, v6
	s_or_b32 s2, s1, s2
	s_delay_alu instid0(SALU_CYCLE_1)
	s_and_not1_b32 exec_lo, exec_lo, s2
	s_cbranch_execz .LBB73_2
.LBB73_17:                              ;   Parent Loop BB73_3 Depth=1
                                        ; =>  This Inner Loop Header: Depth=2
	s_wait_loadcnt 0x0
	v_lshrrev_b32_e32 v6, 16, v7
	s_delay_alu instid0(VALU_DEP_1) | instskip(NEXT) | instid1(VALU_DEP_1)
	v_cndmask_b32_e32 v6, v6, v7, vcc_lo
	v_add_nc_u16 v6, v3, v6
	s_delay_alu instid0(VALU_DEP_1) | instskip(SKIP_1) | instid1(SALU_CYCLE_1)
	v_and_b32_e32 v8, 0xffff, v6
	s_and_saveexec_b32 s1, s0
	s_xor_b32 s1, exec_lo, s1
; %bb.18:                               ;   in Loop: Header=BB73_17 Depth=2
	v_and_b32_e32 v6, 0xffff, v7
	s_delay_alu instid0(VALU_DEP_1)
	v_lshl_or_b32 v6, v8, 16, v6
                                        ; implicit-def: $vgpr8
; %bb.19:                               ;   in Loop: Header=BB73_17 Depth=2
	s_and_not1_saveexec_b32 s1, s1
	s_cbranch_execz .LBB73_16
; %bb.20:                               ;   in Loop: Header=BB73_17 Depth=2
	v_and_or_b32 v6, 0xffff0000, v7, v8
	s_branch .LBB73_16
.LBB73_21:
	s_endpgm
	.section	.rodata,"a",@progbits
	.p2align	6, 0x0
	.amdhsa_kernel _ZN2at4cuda17kernelHistogram1DIsslLi1ELi2ELin1ELNS0_23CUDAHistogramMemoryTypeE1EZNS0_21CUDA_tensor_histogramIssLb0EEEbNS_6TensorES4_S4_lNS_14AccumulateTypeIT0_Lb1EE4typeES8_NS0_13TensorArgTypeES9_S9_EUllE_EEvNS0_6detail10TensorInfoIT_T1_EESF_NSC_IKS6_SE_EElS8_S8_SE_T6_
		.amdhsa_group_segment_fixed_size 0
		.amdhsa_private_segment_fixed_size 0
		.amdhsa_kernarg_size 1952
		.amdhsa_user_sgpr_count 2
		.amdhsa_user_sgpr_dispatch_ptr 0
		.amdhsa_user_sgpr_queue_ptr 0
		.amdhsa_user_sgpr_kernarg_segment_ptr 1
		.amdhsa_user_sgpr_dispatch_id 0
		.amdhsa_user_sgpr_kernarg_preload_length 0
		.amdhsa_user_sgpr_kernarg_preload_offset 0
		.amdhsa_user_sgpr_private_segment_size 0
		.amdhsa_wavefront_size32 1
		.amdhsa_uses_dynamic_stack 0
		.amdhsa_enable_private_segment 0
		.amdhsa_system_sgpr_workgroup_id_x 1
		.amdhsa_system_sgpr_workgroup_id_y 0
		.amdhsa_system_sgpr_workgroup_id_z 0
		.amdhsa_system_sgpr_workgroup_info 0
		.amdhsa_system_vgpr_workitem_id 0
		.amdhsa_next_free_vgpr 22
		.amdhsa_next_free_sgpr 55
		.amdhsa_named_barrier_count 0
		.amdhsa_reserve_vcc 1
		.amdhsa_float_round_mode_32 0
		.amdhsa_float_round_mode_16_64 0
		.amdhsa_float_denorm_mode_32 3
		.amdhsa_float_denorm_mode_16_64 3
		.amdhsa_fp16_overflow 0
		.amdhsa_memory_ordered 1
		.amdhsa_forward_progress 1
		.amdhsa_inst_pref_size 18
		.amdhsa_round_robin_scheduling 0
		.amdhsa_exception_fp_ieee_invalid_op 0
		.amdhsa_exception_fp_denorm_src 0
		.amdhsa_exception_fp_ieee_div_zero 0
		.amdhsa_exception_fp_ieee_overflow 0
		.amdhsa_exception_fp_ieee_underflow 0
		.amdhsa_exception_fp_ieee_inexact 0
		.amdhsa_exception_int_div_zero 0
	.end_amdhsa_kernel
	.section	.text._ZN2at4cuda17kernelHistogram1DIsslLi1ELi2ELin1ELNS0_23CUDAHistogramMemoryTypeE1EZNS0_21CUDA_tensor_histogramIssLb0EEEbNS_6TensorES4_S4_lNS_14AccumulateTypeIT0_Lb1EE4typeES8_NS0_13TensorArgTypeES9_S9_EUllE_EEvNS0_6detail10TensorInfoIT_T1_EESF_NSC_IKS6_SE_EElS8_S8_SE_T6_,"axG",@progbits,_ZN2at4cuda17kernelHistogram1DIsslLi1ELi2ELin1ELNS0_23CUDAHistogramMemoryTypeE1EZNS0_21CUDA_tensor_histogramIssLb0EEEbNS_6TensorES4_S4_lNS_14AccumulateTypeIT0_Lb1EE4typeES8_NS0_13TensorArgTypeES9_S9_EUllE_EEvNS0_6detail10TensorInfoIT_T1_EESF_NSC_IKS6_SE_EElS8_S8_SE_T6_,comdat
.Lfunc_end73:
	.size	_ZN2at4cuda17kernelHistogram1DIsslLi1ELi2ELin1ELNS0_23CUDAHistogramMemoryTypeE1EZNS0_21CUDA_tensor_histogramIssLb0EEEbNS_6TensorES4_S4_lNS_14AccumulateTypeIT0_Lb1EE4typeES8_NS0_13TensorArgTypeES9_S9_EUllE_EEvNS0_6detail10TensorInfoIT_T1_EESF_NSC_IKS6_SE_EElS8_S8_SE_T6_, .Lfunc_end73-_ZN2at4cuda17kernelHistogram1DIsslLi1ELi2ELin1ELNS0_23CUDAHistogramMemoryTypeE1EZNS0_21CUDA_tensor_histogramIssLb0EEEbNS_6TensorES4_S4_lNS_14AccumulateTypeIT0_Lb1EE4typeES8_NS0_13TensorArgTypeES9_S9_EUllE_EEvNS0_6detail10TensorInfoIT_T1_EESF_NSC_IKS6_SE_EElS8_S8_SE_T6_
                                        ; -- End function
	.set _ZN2at4cuda17kernelHistogram1DIsslLi1ELi2ELin1ELNS0_23CUDAHistogramMemoryTypeE1EZNS0_21CUDA_tensor_histogramIssLb0EEEbNS_6TensorES4_S4_lNS_14AccumulateTypeIT0_Lb1EE4typeES8_NS0_13TensorArgTypeES9_S9_EUllE_EEvNS0_6detail10TensorInfoIT_T1_EESF_NSC_IKS6_SE_EElS8_S8_SE_T6_.num_vgpr, 22
	.set _ZN2at4cuda17kernelHistogram1DIsslLi1ELi2ELin1ELNS0_23CUDAHistogramMemoryTypeE1EZNS0_21CUDA_tensor_histogramIssLb0EEEbNS_6TensorES4_S4_lNS_14AccumulateTypeIT0_Lb1EE4typeES8_NS0_13TensorArgTypeES9_S9_EUllE_EEvNS0_6detail10TensorInfoIT_T1_EESF_NSC_IKS6_SE_EElS8_S8_SE_T6_.num_agpr, 0
	.set _ZN2at4cuda17kernelHistogram1DIsslLi1ELi2ELin1ELNS0_23CUDAHistogramMemoryTypeE1EZNS0_21CUDA_tensor_histogramIssLb0EEEbNS_6TensorES4_S4_lNS_14AccumulateTypeIT0_Lb1EE4typeES8_NS0_13TensorArgTypeES9_S9_EUllE_EEvNS0_6detail10TensorInfoIT_T1_EESF_NSC_IKS6_SE_EElS8_S8_SE_T6_.numbered_sgpr, 55
	.set _ZN2at4cuda17kernelHistogram1DIsslLi1ELi2ELin1ELNS0_23CUDAHistogramMemoryTypeE1EZNS0_21CUDA_tensor_histogramIssLb0EEEbNS_6TensorES4_S4_lNS_14AccumulateTypeIT0_Lb1EE4typeES8_NS0_13TensorArgTypeES9_S9_EUllE_EEvNS0_6detail10TensorInfoIT_T1_EESF_NSC_IKS6_SE_EElS8_S8_SE_T6_.num_named_barrier, 0
	.set _ZN2at4cuda17kernelHistogram1DIsslLi1ELi2ELin1ELNS0_23CUDAHistogramMemoryTypeE1EZNS0_21CUDA_tensor_histogramIssLb0EEEbNS_6TensorES4_S4_lNS_14AccumulateTypeIT0_Lb1EE4typeES8_NS0_13TensorArgTypeES9_S9_EUllE_EEvNS0_6detail10TensorInfoIT_T1_EESF_NSC_IKS6_SE_EElS8_S8_SE_T6_.private_seg_size, 0
	.set _ZN2at4cuda17kernelHistogram1DIsslLi1ELi2ELin1ELNS0_23CUDAHistogramMemoryTypeE1EZNS0_21CUDA_tensor_histogramIssLb0EEEbNS_6TensorES4_S4_lNS_14AccumulateTypeIT0_Lb1EE4typeES8_NS0_13TensorArgTypeES9_S9_EUllE_EEvNS0_6detail10TensorInfoIT_T1_EESF_NSC_IKS6_SE_EElS8_S8_SE_T6_.uses_vcc, 1
	.set _ZN2at4cuda17kernelHistogram1DIsslLi1ELi2ELin1ELNS0_23CUDAHistogramMemoryTypeE1EZNS0_21CUDA_tensor_histogramIssLb0EEEbNS_6TensorES4_S4_lNS_14AccumulateTypeIT0_Lb1EE4typeES8_NS0_13TensorArgTypeES9_S9_EUllE_EEvNS0_6detail10TensorInfoIT_T1_EESF_NSC_IKS6_SE_EElS8_S8_SE_T6_.uses_flat_scratch, 0
	.set _ZN2at4cuda17kernelHistogram1DIsslLi1ELi2ELin1ELNS0_23CUDAHistogramMemoryTypeE1EZNS0_21CUDA_tensor_histogramIssLb0EEEbNS_6TensorES4_S4_lNS_14AccumulateTypeIT0_Lb1EE4typeES8_NS0_13TensorArgTypeES9_S9_EUllE_EEvNS0_6detail10TensorInfoIT_T1_EESF_NSC_IKS6_SE_EElS8_S8_SE_T6_.has_dyn_sized_stack, 0
	.set _ZN2at4cuda17kernelHistogram1DIsslLi1ELi2ELin1ELNS0_23CUDAHistogramMemoryTypeE1EZNS0_21CUDA_tensor_histogramIssLb0EEEbNS_6TensorES4_S4_lNS_14AccumulateTypeIT0_Lb1EE4typeES8_NS0_13TensorArgTypeES9_S9_EUllE_EEvNS0_6detail10TensorInfoIT_T1_EESF_NSC_IKS6_SE_EElS8_S8_SE_T6_.has_recursion, 0
	.set _ZN2at4cuda17kernelHistogram1DIsslLi1ELi2ELin1ELNS0_23CUDAHistogramMemoryTypeE1EZNS0_21CUDA_tensor_histogramIssLb0EEEbNS_6TensorES4_S4_lNS_14AccumulateTypeIT0_Lb1EE4typeES8_NS0_13TensorArgTypeES9_S9_EUllE_EEvNS0_6detail10TensorInfoIT_T1_EESF_NSC_IKS6_SE_EElS8_S8_SE_T6_.has_indirect_call, 0
	.section	.AMDGPU.csdata,"",@progbits
; Kernel info:
; codeLenInByte = 2260
; TotalNumSgprs: 57
; NumVgprs: 22
; ScratchSize: 0
; MemoryBound: 0
; FloatMode: 240
; IeeeMode: 1
; LDSByteSize: 0 bytes/workgroup (compile time only)
; SGPRBlocks: 0
; VGPRBlocks: 1
; NumSGPRsForWavesPerEU: 57
; NumVGPRsForWavesPerEU: 22
; NamedBarCnt: 0
; Occupancy: 16
; WaveLimiterHint : 1
; COMPUTE_PGM_RSRC2:SCRATCH_EN: 0
; COMPUTE_PGM_RSRC2:USER_SGPR: 2
; COMPUTE_PGM_RSRC2:TRAP_HANDLER: 0
; COMPUTE_PGM_RSRC2:TGID_X_EN: 1
; COMPUTE_PGM_RSRC2:TGID_Y_EN: 0
; COMPUTE_PGM_RSRC2:TGID_Z_EN: 0
; COMPUTE_PGM_RSRC2:TIDIG_COMP_CNT: 0
	.section	.text._ZN2at4cuda17kernelHistogram1DIsslLi1ELi2ELin1ELNS0_23CUDAHistogramMemoryTypeE0EZNS0_21CUDA_tensor_histogramIssLb0EEEbNS_6TensorES4_S4_lNS_14AccumulateTypeIT0_Lb1EE4typeES8_NS0_13TensorArgTypeES9_S9_EUllE0_EEvNS0_6detail10TensorInfoIT_T1_EESF_NSC_IKS6_SE_EElS8_S8_SE_T6_,"axG",@progbits,_ZN2at4cuda17kernelHistogram1DIsslLi1ELi2ELin1ELNS0_23CUDAHistogramMemoryTypeE0EZNS0_21CUDA_tensor_histogramIssLb0EEEbNS_6TensorES4_S4_lNS_14AccumulateTypeIT0_Lb1EE4typeES8_NS0_13TensorArgTypeES9_S9_EUllE0_EEvNS0_6detail10TensorInfoIT_T1_EESF_NSC_IKS6_SE_EElS8_S8_SE_T6_,comdat
	.protected	_ZN2at4cuda17kernelHistogram1DIsslLi1ELi2ELin1ELNS0_23CUDAHistogramMemoryTypeE0EZNS0_21CUDA_tensor_histogramIssLb0EEEbNS_6TensorES4_S4_lNS_14AccumulateTypeIT0_Lb1EE4typeES8_NS0_13TensorArgTypeES9_S9_EUllE0_EEvNS0_6detail10TensorInfoIT_T1_EESF_NSC_IKS6_SE_EElS8_S8_SE_T6_ ; -- Begin function _ZN2at4cuda17kernelHistogram1DIsslLi1ELi2ELin1ELNS0_23CUDAHistogramMemoryTypeE0EZNS0_21CUDA_tensor_histogramIssLb0EEEbNS_6TensorES4_S4_lNS_14AccumulateTypeIT0_Lb1EE4typeES8_NS0_13TensorArgTypeES9_S9_EUllE0_EEvNS0_6detail10TensorInfoIT_T1_EESF_NSC_IKS6_SE_EElS8_S8_SE_T6_
	.globl	_ZN2at4cuda17kernelHistogram1DIsslLi1ELi2ELin1ELNS0_23CUDAHistogramMemoryTypeE0EZNS0_21CUDA_tensor_histogramIssLb0EEEbNS_6TensorES4_S4_lNS_14AccumulateTypeIT0_Lb1EE4typeES8_NS0_13TensorArgTypeES9_S9_EUllE0_EEvNS0_6detail10TensorInfoIT_T1_EESF_NSC_IKS6_SE_EElS8_S8_SE_T6_
	.p2align	8
	.type	_ZN2at4cuda17kernelHistogram1DIsslLi1ELi2ELin1ELNS0_23CUDAHistogramMemoryTypeE0EZNS0_21CUDA_tensor_histogramIssLb0EEEbNS_6TensorES4_S4_lNS_14AccumulateTypeIT0_Lb1EE4typeES8_NS0_13TensorArgTypeES9_S9_EUllE0_EEvNS0_6detail10TensorInfoIT_T1_EESF_NSC_IKS6_SE_EElS8_S8_SE_T6_,@function
_ZN2at4cuda17kernelHistogram1DIsslLi1ELi2ELin1ELNS0_23CUDAHistogramMemoryTypeE0EZNS0_21CUDA_tensor_histogramIssLb0EEEbNS_6TensorES4_S4_lNS_14AccumulateTypeIT0_Lb1EE4typeES8_NS0_13TensorArgTypeES9_S9_EUllE0_EEvNS0_6detail10TensorInfoIT_T1_EESF_NSC_IKS6_SE_EElS8_S8_SE_T6_: ; @_ZN2at4cuda17kernelHistogram1DIsslLi1ELi2ELin1ELNS0_23CUDAHistogramMemoryTypeE0EZNS0_21CUDA_tensor_histogramIssLb0EEEbNS_6TensorES4_S4_lNS_14AccumulateTypeIT0_Lb1EE4typeES8_NS0_13TensorArgTypeES9_S9_EUllE0_EEvNS0_6detail10TensorInfoIT_T1_EESF_NSC_IKS6_SE_EElS8_S8_SE_T6_
; %bb.0:
	s_load_b128 s[16:19], s[0:1], 0x0
	v_mov_b32_e32 v1, 0
	s_add_nc_u64 s[22:23], s[0:1], 0x508
	s_mov_b32 s3, exec_lo
                                        ; implicit-def: $sgpr4
	s_wait_kmcnt 0x0
	s_delay_alu instid0(VALU_DEP_1)
	v_cmp_gt_i64_e64 s2, s[18:19], v[0:1]
	v_cmpx_le_i64_e64 s[18:19], v[0:1]
	s_xor_b32 s3, exec_lo, s3
; %bb.1:
	s_load_b32 s4, s[22:23], 0xc
; %bb.2:
	s_or_saveexec_b32 s3, s3
	s_wait_kmcnt 0x0
	v_mov_b32_e32 v4, s4
	s_xor_b32 exec_lo, exec_lo, s3
	s_cbranch_execz .LBB74_12
; %bb.3:
	v_dual_mov_b32 v4, 0 :: v_dual_add_nc_u32 v2, 1, v0
	s_load_b32 s6, s[22:23], 0xc
	s_mov_b32 s8, -1
	s_delay_alu instid0(VALU_DEP_1) | instskip(NEXT) | instid1(VALU_DEP_1)
	v_mov_b32_e32 v3, v4
	v_max_i64 v[2:3], s[18:19], v[2:3]
	s_wait_kmcnt 0x0
	s_and_b32 s4, s6, 0xffff
	s_delay_alu instid0(SALU_CYCLE_1) | instskip(SKIP_1) | instid1(VALU_DEP_1)
	s_cmp_eq_u32 s4, 1
	s_cselect_b32 s5, -1, 0
	v_sub_nc_u64_e32 v[6:7], v[2:3], v[0:1]
	v_mov_b64_e32 v[2:3], v[0:1]
	s_delay_alu instid0(VALU_DEP_2) | instskip(SKIP_1) | instid1(SALU_CYCLE_1)
	v_cmp_lt_u64_e32 vcc_lo, 3, v[6:7]
	s_and_b32 s7, vcc_lo, s5
	s_and_saveexec_b32 s5, s7
	s_cbranch_execz .LBB74_7
; %bb.4:
	v_dual_mov_b32 v3, v7 :: v_dual_bitop2_b32 v2, -4, v6 bitop3:0x40
	v_lshl_add_u32 v10, v0, 1, 0
	v_mov_b32_e32 v5, v4
	s_mov_b32 s7, 0
	s_delay_alu instid0(VALU_DEP_3)
	v_mov_b64_e32 v[8:9], v[2:3]
.LBB74_5:                               ; =>This Inner Loop Header: Depth=1
	s_delay_alu instid0(VALU_DEP_1) | instskip(SKIP_4) | instid1(SALU_CYCLE_1)
	v_add_nc_u64_e32 v[8:9], -4, v[8:9]
	ds_store_b64 v10, v[4:5]
	v_add_nc_u32_e32 v10, 8, v10
	v_cmp_eq_u64_e32 vcc_lo, 0, v[8:9]
	s_or_b32 s7, vcc_lo, s7
	s_and_not1_b32 exec_lo, exec_lo, s7
	s_cbranch_execnz .LBB74_5
; %bb.6:
	s_or_b32 exec_lo, exec_lo, s7
	v_cmp_ne_u64_e32 vcc_lo, v[6:7], v[2:3]
	v_add_nc_u64_e32 v[2:3], v[2:3], v[0:1]
	s_or_not1_b32 s8, vcc_lo, exec_lo
.LBB74_7:
	s_or_b32 exec_lo, exec_lo, s5
	v_mov_b32_e32 v4, 1
	s_and_saveexec_b32 s7, s8
	s_cbranch_execz .LBB74_11
; %bb.8:
	s_delay_alu instid0(VALU_DEP_2)
	v_lshl_add_u32 v4, v2, 1, 0
	v_mov_b32_e32 v5, 0
	s_mov_b32 s5, 0
	s_lshl_b32 s9, s4, 1
	s_mov_b32 s8, s5
.LBB74_9:                               ; =>This Inner Loop Header: Depth=1
	v_add_nc_u64_e32 v[2:3], s[4:5], v[2:3]
	ds_store_b16 v4, v5
	v_add_nc_u32_e32 v4, s9, v4
	v_cmp_le_i64_e32 vcc_lo, s[18:19], v[2:3]
	s_or_b32 s8, vcc_lo, s8
	s_delay_alu instid0(SALU_CYCLE_1)
	s_and_not1_b32 exec_lo, exec_lo, s8
	s_cbranch_execnz .LBB74_9
; %bb.10:
	s_or_b32 exec_lo, exec_lo, s8
	v_mov_b32_e32 v4, s6
.LBB74_11:
	s_or_b32 exec_lo, exec_lo, s7
.LBB74_12:
	s_delay_alu instid0(SALU_CYCLE_1)
	s_or_b32 exec_lo, exec_lo, s3
	s_bfe_u32 s3, ttmp6, 0x4000c
	s_load_b256 s[8:15], s[0:1], 0x4e0
	s_add_co_i32 s3, s3, 1
	s_and_b32 s4, ttmp6, 15
	s_mul_i32 s3, ttmp9, s3
	s_getreg_b32 s5, hwreg(HW_REG_IB_STS2, 6, 4)
	v_and_b32_e32 v2, 0xffff, v4
	s_add_co_i32 s4, s4, s3
	s_cmp_eq_u32 s5, 0
	v_mov_b32_e32 v6, 0
	s_cselect_b32 s3, ttmp9, s4
	s_mov_b32 s5, 0
	v_mad_u32 v4, s3, v2, v0
	s_mov_b32 s33, exec_lo
	v_mov_b32_e32 v5, v6
	s_wait_dscnt 0x0
	s_barrier_signal -1
	s_barrier_wait -1
	s_wait_kmcnt 0x0
	s_delay_alu instid0(VALU_DEP_2)
	v_cmpx_gt_i64_e64 s[14:15], v[4:5]
	s_cbranch_execz .LBB74_33
; %bb.13:
	s_load_b32 s3, s[0:1], 0x4d8
	s_load_b32 s4, s[22:23], 0x0
	s_clause 0x1
	s_load_b64 s[6:7], s[0:1], 0x410
	s_load_b64 s[20:21], s[0:1], 0x340
	s_add_nc_u64 s[26:27], s[0:1], 0x340
	v_mov_b32_e32 v9, v6
	s_wait_xcnt 0x0
	s_sub_nc_u64 s[22:23], s[12:13], s[10:11]
	s_mov_b64 s[24:25], 0xffffffff
	s_mov_b32 s42, 0
	s_wait_kmcnt 0x0
	s_cmp_gt_i32 s3, 1
	v_mul_lo_u32 v8, s4, v2
	s_cselect_b32 s40, -1, 0
	s_add_co_i32 s4, s3, -1
	s_add_co_i32 s41, s3, 1
	s_lshl_b64 s[28:29], s[4:5], 3
	s_delay_alu instid0(SALU_CYCLE_1)
	s_add_nc_u64 s[26:27], s[26:27], s[28:29]
	s_ashr_i32 s28, s23, 31
	s_add_nc_u64 s[26:27], s[26:27], 8
	s_branch .LBB74_15
.LBB74_14:                              ;   in Loop: Header=BB74_15 Depth=1
	s_or_b32 exec_lo, exec_lo, s34
	v_add_nc_u64_e32 v[4:5], v[4:5], v[8:9]
	s_delay_alu instid0(VALU_DEP_1) | instskip(SKIP_1) | instid1(SALU_CYCLE_1)
	v_cmp_le_i64_e32 vcc_lo, s[14:15], v[4:5]
	s_or_b32 s42, vcc_lo, s42
	s_and_not1_b32 exec_lo, exec_lo, s42
	s_cbranch_execz .LBB74_33
.LBB74_15:                              ; =>This Loop Header: Depth=1
                                        ;     Child Loop BB74_16 Depth 2
                                        ;     Child Loop BB74_29 Depth 2
	v_mov_b64_e32 v[10:11], 0
	v_mov_b64_e32 v[12:13], v[4:5]
	;; [unrolled: 1-line block ×3, first 2 shown]
	s_and_not1_b32 vcc_lo, exec_lo, s40
	s_mov_b64 s[30:31], s[26:27]
	s_mov_b32 s29, s41
	s_cbranch_vccnz .LBB74_22
.LBB74_16:                              ;   Parent Loop BB74_15 Depth=1
                                        ; =>  This Inner Loop Header: Depth=2
	s_load_b64 s[34:35], s[30:31], 0x0
                                        ; implicit-def: $vgpr14_vgpr15
	s_mov_b32 s3, exec_lo
	s_wait_kmcnt 0x0
	s_delay_alu instid0(VALU_DEP_1) | instskip(NEXT) | instid1(VALU_DEP_1)
	v_or_b32_e32 v7, s35, v13
	v_cmpx_ne_u64_e32 0, v[6:7]
	s_xor_b32 s43, exec_lo, s3
	s_cbranch_execz .LBB74_18
; %bb.17:                               ;   in Loop: Header=BB74_16 Depth=2
	s_ashr_i32 s36, s35, 31
	v_dual_mov_b32 v19, v6 :: v_dual_ashrrev_i32 v14, 31, v13
	s_mov_b32 s37, s36
	v_mov_b32_e32 v27, v6
	s_add_nc_u64 s[38:39], s[34:35], s[36:37]
	s_delay_alu instid0(VALU_DEP_2) | instskip(SKIP_1) | instid1(SALU_CYCLE_1)
	v_mov_b32_e32 v15, v14
	s_xor_b64 s[38:39], s[38:39], s[36:37]
	s_cvt_f32_u32 s3, s38
	s_cvt_f32_u32 s4, s39
	s_sub_nc_u64 s[46:47], 0, s[38:39]
	v_add_nc_u64_e32 v[16:17], v[12:13], v[14:15]
	v_mov_b32_e32 v23, v6
	s_fmamk_f32 s3, s4, 0x4f800000, s3
	s_delay_alu instid0(SALU_CYCLE_3) | instskip(NEXT) | instid1(VALU_DEP_2)
	v_s_rcp_f32 s3, s3
	v_xor_b32_e32 v18, v16, v14
	s_delay_alu instid0(VALU_DEP_3) | instskip(SKIP_1) | instid1(TRANS32_DEP_1)
	v_xor_b32_e32 v22, v17, v14
	v_xor_b32_e32 v14, s36, v14
	s_mul_f32 s3, s3, 0x5f7ffffc
	s_delay_alu instid0(SALU_CYCLE_3) | instskip(NEXT) | instid1(SALU_CYCLE_3)
	s_mul_f32 s4, s3, 0x2f800000
	s_trunc_f32 s4, s4
	s_delay_alu instid0(SALU_CYCLE_3) | instskip(SKIP_1) | instid1(SALU_CYCLE_2)
	s_fmamk_f32 s3, s4, 0xcf800000, s3
	s_cvt_u32_f32 s45, s4
	s_cvt_u32_f32 s44, s3
	s_delay_alu instid0(SALU_CYCLE_3) | instskip(NEXT) | instid1(SALU_CYCLE_1)
	s_mul_u64 s[48:49], s[46:47], s[44:45]
	s_mul_hi_u32 s51, s44, s49
	s_mul_i32 s50, s44, s49
	s_mul_hi_u32 s4, s44, s48
	s_mul_i32 s37, s45, s48
	s_add_nc_u64 s[50:51], s[4:5], s[50:51]
	s_mul_hi_u32 s3, s45, s48
	s_mul_hi_u32 s52, s45, s49
	s_add_co_u32 s4, s50, s37
	s_add_co_ci_u32 s4, s51, s3
	s_mul_i32 s48, s45, s49
	s_add_co_ci_u32 s49, s52, 0
	s_delay_alu instid0(SALU_CYCLE_1) | instskip(NEXT) | instid1(SALU_CYCLE_1)
	s_add_nc_u64 s[48:49], s[4:5], s[48:49]
	s_add_co_u32 s44, s44, s48
	s_cselect_b32 s3, -1, 0
	s_delay_alu instid0(SALU_CYCLE_1) | instskip(SKIP_1) | instid1(SALU_CYCLE_1)
	s_cmp_lg_u32 s3, 0
	s_add_co_ci_u32 s45, s45, s49
	s_mul_u64 s[46:47], s[46:47], s[44:45]
	s_delay_alu instid0(SALU_CYCLE_1)
	s_mul_hi_u32 s49, s44, s47
	s_mul_i32 s48, s44, s47
	s_mul_hi_u32 s4, s44, s46
	s_mul_i32 s37, s45, s46
	s_add_nc_u64 s[48:49], s[4:5], s[48:49]
	s_mul_hi_u32 s3, s45, s46
	s_mul_hi_u32 s50, s45, s47
	s_add_co_u32 s4, s48, s37
	s_add_co_ci_u32 s4, s49, s3
	s_mul_i32 s46, s45, s47
	s_add_co_ci_u32 s47, s50, 0
	s_delay_alu instid0(SALU_CYCLE_1) | instskip(NEXT) | instid1(SALU_CYCLE_1)
	s_add_nc_u64 s[46:47], s[4:5], s[46:47]
	s_add_co_u32 s44, s44, s46
	s_cselect_b32 s3, -1, 0
	v_mul_hi_u32 v26, v18, s44
	s_cmp_lg_u32 s3, 0
	s_add_co_ci_u32 s4, s45, s47
	s_and_b64 s[46:47], s[44:45], s[24:25]
	v_mul_u64_e32 v[20:21], s[4:5], v[18:19]
	v_mul_u64_e32 v[16:17], s[46:47], v[22:23]
	;; [unrolled: 1-line block ×3, first 2 shown]
	s_delay_alu instid0(VALU_DEP_3) | instskip(NEXT) | instid1(VALU_DEP_1)
	v_add_nc_u64_e32 v[20:21], v[26:27], v[20:21]
	v_add_co_u32 v3, vcc_lo, v20, v16
	s_delay_alu instid0(VALU_DEP_2) | instskip(NEXT) | instid1(VALU_DEP_4)
	v_add_co_ci_u32_e32 v26, vcc_lo, v21, v17, vcc_lo
	v_add_co_ci_u32_e32 v25, vcc_lo, 0, v25, vcc_lo
	s_delay_alu instid0(VALU_DEP_1) | instskip(NEXT) | instid1(VALU_DEP_1)
	v_add_nc_u64_e32 v[16:17], v[26:27], v[24:25]
	v_mul_u64_e32 v[20:21], s[38:39], v[16:17]
	s_delay_alu instid0(VALU_DEP_1) | instskip(NEXT) | instid1(VALU_DEP_2)
	v_sub_nc_u32_e32 v3, v22, v21
	v_sub_co_u32 v7, vcc_lo, v18, v20
	s_delay_alu instid0(VALU_DEP_1) | instskip(NEXT) | instid1(VALU_DEP_3)
	v_sub_co_ci_u32_e64 v22, null, v22, v21, vcc_lo
	v_subrev_co_ci_u32_e64 v3, null, s39, v3, vcc_lo
	s_delay_alu instid0(VALU_DEP_3) | instskip(SKIP_1) | instid1(VALU_DEP_3)
	v_sub_co_u32 v15, s3, v7, s38
	v_add_nc_u64_e32 v[20:21], 1, v[16:17]
	v_subrev_co_ci_u32_e64 v3, null, 0, v3, s3
	s_delay_alu instid0(VALU_DEP_3) | instskip(SKIP_1) | instid1(VALU_DEP_3)
	v_cmp_le_u32_e32 vcc_lo, s38, v15
	v_cndmask_b32_e64 v15, 0, -1, vcc_lo
	v_cmp_le_u32_e32 vcc_lo, s39, v3
	v_cndmask_b32_e64 v18, 0, -1, vcc_lo
	v_cmp_le_u32_e32 vcc_lo, s38, v7
	v_cndmask_b32_e64 v7, 0, -1, vcc_lo
	v_cmp_le_u32_e32 vcc_lo, s39, v22
	v_cndmask_b32_e64 v23, 0, -1, vcc_lo
	v_cmp_eq_u32_e32 vcc_lo, s39, v3
	v_cndmask_b32_e32 v3, v18, v15, vcc_lo
	v_cmp_eq_u32_e32 vcc_lo, s39, v22
	v_add_nc_u64_e32 v[18:19], 2, v[16:17]
	v_dual_mov_b32 v15, v14 :: v_dual_cndmask_b32 v7, v23, v7, vcc_lo
	s_delay_alu instid0(VALU_DEP_4) | instskip(NEXT) | instid1(VALU_DEP_2)
	v_cmp_ne_u32_e32 vcc_lo, 0, v3
	v_cmp_ne_u32_e64 s3, 0, v7
	s_delay_alu instid0(VALU_DEP_4) | instskip(NEXT) | instid1(VALU_DEP_1)
	v_dual_cndmask_b32 v3, v21, v19, vcc_lo :: v_dual_cndmask_b32 v7, v20, v18, vcc_lo
	v_cndmask_b32_e64 v7, v16, v7, s3
	s_delay_alu instid0(VALU_DEP_1) | instskip(NEXT) | instid1(VALU_DEP_1)
	v_dual_cndmask_b32 v3, v17, v3, s3 :: v_dual_bitop2_b32 v16, v7, v14 bitop3:0x14
	v_xor_b32_e32 v17, v3, v14
	s_delay_alu instid0(VALU_DEP_1)
	v_sub_nc_u64_e32 v[14:15], v[16:17], v[14:15]
.LBB74_18:                              ;   in Loop: Header=BB74_16 Depth=2
	s_and_not1_saveexec_b32 s3, s43
	s_cbranch_execz .LBB74_20
; %bb.19:                               ;   in Loop: Header=BB74_16 Depth=2
	v_cvt_f32_u32_e32 v3, s34
	s_sub_co_i32 s4, 0, s34
	s_delay_alu instid0(VALU_DEP_1) | instskip(SKIP_1) | instid1(TRANS32_DEP_1)
	v_rcp_iflag_f32_e32 v3, v3
	v_nop
	v_mul_f32_e32 v3, 0x4f7ffffe, v3
	s_delay_alu instid0(VALU_DEP_1) | instskip(NEXT) | instid1(VALU_DEP_1)
	v_cvt_u32_f32_e32 v3, v3
	v_mul_lo_u32 v7, s4, v3
	s_delay_alu instid0(VALU_DEP_1) | instskip(NEXT) | instid1(VALU_DEP_1)
	v_mul_hi_u32 v7, v3, v7
	v_add_nc_u32_e32 v3, v3, v7
	s_delay_alu instid0(VALU_DEP_1) | instskip(NEXT) | instid1(VALU_DEP_1)
	v_mul_hi_u32 v3, v12, v3
	v_mul_lo_u32 v7, v3, s34
	v_add_nc_u32_e32 v14, 1, v3
	s_delay_alu instid0(VALU_DEP_2) | instskip(NEXT) | instid1(VALU_DEP_1)
	v_sub_nc_u32_e32 v7, v12, v7
	v_subrev_nc_u32_e32 v15, s34, v7
	v_cmp_le_u32_e32 vcc_lo, s34, v7
	s_delay_alu instid0(VALU_DEP_2) | instskip(SKIP_1) | instid1(VALU_DEP_2)
	v_dual_cndmask_b32 v7, v7, v15, vcc_lo :: v_dual_mov_b32 v15, v6
	v_cndmask_b32_e32 v3, v3, v14, vcc_lo
	v_cmp_le_u32_e32 vcc_lo, s34, v7
	s_delay_alu instid0(VALU_DEP_2) | instskip(NEXT) | instid1(VALU_DEP_1)
	v_add_nc_u32_e32 v14, 1, v3
	v_cndmask_b32_e32 v14, v3, v14, vcc_lo
.LBB74_20:                              ;   in Loop: Header=BB74_16 Depth=2
	s_or_b32 exec_lo, exec_lo, s3
	s_delay_alu instid0(VALU_DEP_1)
	v_mul_u64_e32 v[16:17], s[34:35], v[14:15]
	s_load_b64 s[34:35], s[30:31], 0xc8
	s_add_co_i32 s29, s29, -1
	s_wait_xcnt 0x0
	s_add_nc_u64 s[30:31], s[30:31], -8
	s_cmp_gt_u32 s29, 2
	s_delay_alu instid0(VALU_DEP_1) | instskip(SKIP_1) | instid1(VALU_DEP_1)
	v_sub_nc_u64_e32 v[12:13], v[12:13], v[16:17]
	s_wait_kmcnt 0x0
	v_mad_nc_u64_u32 v[10:11], s34, v12, v[10:11]
	s_delay_alu instid0(VALU_DEP_1) | instskip(NEXT) | instid1(VALU_DEP_1)
	v_mad_u32 v3, s35, v12, v11
	v_mad_u32 v11, s34, v13, v3
	s_cbranch_scc0 .LBB74_22
; %bb.21:                               ;   in Loop: Header=BB74_16 Depth=2
	v_mov_b64_e32 v[12:13], v[14:15]
	s_branch .LBB74_16
.LBB74_22:                              ;   in Loop: Header=BB74_15 Depth=1
	s_delay_alu instid0(VALU_DEP_1) | instskip(NEXT) | instid1(VALU_DEP_1)
	v_mul_u64_e32 v[12:13], s[6:7], v[14:15]
	v_lshl_add_u64 v[12:13], v[12:13], 1, s[20:21]
	s_delay_alu instid0(VALU_DEP_1) | instskip(SKIP_3) | instid1(VALU_DEP_1)
	v_lshl_add_u64 v[10:11], v[10:11], 1, v[12:13]
	global_load_u16 v3, v[10:11], off
	s_wait_loadcnt 0x0
	v_bfe_i32 v10, v3, 0, 16
	v_ashrrev_i32_e32 v11, 31, v10
	s_delay_alu instid0(VALU_DEP_1) | instskip(SKIP_2) | instid1(SALU_CYCLE_1)
	v_cmp_le_i64_e32 vcc_lo, s[10:11], v[10:11]
	v_cmp_ge_i64_e64 s3, s[12:13], v[10:11]
	s_and_b32 s3, vcc_lo, s3
	s_and_saveexec_b32 s34, s3
	s_cbranch_execz .LBB74_14
; %bb.23:                               ;   in Loop: Header=BB74_15 Depth=1
	v_sub_nc_u64_e64 v[10:11], v[10:11], s[10:11]
                                        ; implicit-def: $vgpr12_vgpr13
	s_mov_b32 s3, exec_lo
	s_delay_alu instid0(VALU_DEP_1) | instskip(NEXT) | instid1(VALU_DEP_1)
	v_mul_u64_e32 v[10:11], s[8:9], v[10:11]
	v_or_b32_e32 v7, s23, v11
	s_delay_alu instid0(VALU_DEP_1)
	v_cmpx_ne_u64_e32 0, v[6:7]
	s_xor_b32 s35, exec_lo, s3
	s_cbranch_execz .LBB74_25
; %bb.24:                               ;   in Loop: Header=BB74_15 Depth=1
	s_mov_b32 s29, s28
	v_dual_mov_b32 v15, v6 :: v_dual_ashrrev_i32 v12, 31, v11
	s_add_nc_u64 s[30:31], s[22:23], s[28:29]
	v_mov_b32_e32 v23, v6
	s_xor_b64 s[30:31], s[30:31], s[28:29]
	s_delay_alu instid0(VALU_DEP_2) | instskip(SKIP_3) | instid1(VALU_DEP_1)
	v_mov_b32_e32 v13, v12
	s_cvt_f32_u32 s3, s30
	s_cvt_f32_u32 s4, s31
	s_sub_nc_u64 s[38:39], 0, s[30:31]
	v_add_nc_u64_e32 v[10:11], v[10:11], v[12:13]
	s_delay_alu instid0(SALU_CYCLE_1) | instskip(SKIP_1) | instid1(SALU_CYCLE_2)
	s_fmamk_f32 s3, s4, 0x4f800000, s3
	v_mov_b32_e32 v19, v6
	v_s_rcp_f32 s3, s3
	s_delay_alu instid0(VALU_DEP_2) | instskip(NEXT) | instid1(VALU_DEP_3)
	v_xor_b32_e32 v14, v10, v12
	v_xor_b32_e32 v18, v11, v12
	;; [unrolled: 1-line block ×3, first 2 shown]
	s_delay_alu instid0(TRANS32_DEP_1) | instskip(NEXT) | instid1(SALU_CYCLE_3)
	s_mul_f32 s3, s3, 0x5f7ffffc
	s_mul_f32 s4, s3, 0x2f800000
	s_delay_alu instid0(SALU_CYCLE_3) | instskip(NEXT) | instid1(SALU_CYCLE_3)
	s_trunc_f32 s4, s4
	s_fmamk_f32 s3, s4, 0xcf800000, s3
	s_cvt_u32_f32 s37, s4
	s_delay_alu instid0(SALU_CYCLE_2) | instskip(NEXT) | instid1(SALU_CYCLE_3)
	s_cvt_u32_f32 s36, s3
	s_mul_u64 s[44:45], s[38:39], s[36:37]
	s_delay_alu instid0(SALU_CYCLE_1)
	s_mul_hi_u32 s47, s36, s45
	s_mul_i32 s46, s36, s45
	s_mul_hi_u32 s4, s36, s44
	s_mul_i32 s29, s37, s44
	s_add_nc_u64 s[46:47], s[4:5], s[46:47]
	s_mul_hi_u32 s3, s37, s44
	s_mul_hi_u32 s43, s37, s45
	s_add_co_u32 s4, s46, s29
	s_add_co_ci_u32 s4, s47, s3
	s_mul_i32 s44, s37, s45
	s_add_co_ci_u32 s45, s43, 0
	s_delay_alu instid0(SALU_CYCLE_1) | instskip(NEXT) | instid1(SALU_CYCLE_1)
	s_add_nc_u64 s[44:45], s[4:5], s[44:45]
	s_add_co_u32 s36, s36, s44
	s_cselect_b32 s3, -1, 0
	s_delay_alu instid0(SALU_CYCLE_1) | instskip(SKIP_1) | instid1(SALU_CYCLE_1)
	s_cmp_lg_u32 s3, 0
	s_add_co_ci_u32 s37, s37, s45
	s_mul_u64 s[38:39], s[38:39], s[36:37]
	s_delay_alu instid0(SALU_CYCLE_1)
	s_mul_hi_u32 s45, s36, s39
	s_mul_i32 s44, s36, s39
	s_mul_hi_u32 s4, s36, s38
	s_mul_i32 s29, s37, s38
	s_add_nc_u64 s[44:45], s[4:5], s[44:45]
	s_mul_hi_u32 s3, s37, s38
	s_mul_hi_u32 s43, s37, s39
	s_add_co_u32 s4, s44, s29
	s_add_co_ci_u32 s4, s45, s3
	s_mul_i32 s38, s37, s39
	s_add_co_ci_u32 s39, s43, 0
	s_delay_alu instid0(SALU_CYCLE_1) | instskip(NEXT) | instid1(SALU_CYCLE_1)
	s_add_nc_u64 s[38:39], s[4:5], s[38:39]
	s_add_co_u32 s36, s36, s38
	s_cselect_b32 s3, -1, 0
	v_mul_hi_u32 v22, v14, s36
	s_cmp_lg_u32 s3, 0
	s_add_co_ci_u32 s4, s37, s39
	s_and_b64 s[38:39], s[36:37], s[24:25]
	v_mul_u64_e32 v[16:17], s[4:5], v[14:15]
	v_mul_u64_e32 v[10:11], s[38:39], v[18:19]
	;; [unrolled: 1-line block ×3, first 2 shown]
	s_delay_alu instid0(VALU_DEP_3) | instskip(NEXT) | instid1(VALU_DEP_1)
	v_add_nc_u64_e32 v[16:17], v[22:23], v[16:17]
	v_add_co_u32 v3, vcc_lo, v16, v10
	s_delay_alu instid0(VALU_DEP_2) | instskip(NEXT) | instid1(VALU_DEP_4)
	v_add_co_ci_u32_e32 v22, vcc_lo, v17, v11, vcc_lo
	v_add_co_ci_u32_e32 v21, vcc_lo, 0, v21, vcc_lo
	s_delay_alu instid0(VALU_DEP_1) | instskip(NEXT) | instid1(VALU_DEP_1)
	v_add_nc_u64_e32 v[10:11], v[22:23], v[20:21]
	v_mul_u64_e32 v[16:17], s[30:31], v[10:11]
	s_delay_alu instid0(VALU_DEP_1) | instskip(NEXT) | instid1(VALU_DEP_2)
	v_sub_nc_u32_e32 v3, v18, v17
	v_sub_co_u32 v7, vcc_lo, v14, v16
	s_delay_alu instid0(VALU_DEP_1) | instskip(NEXT) | instid1(VALU_DEP_3)
	v_sub_co_ci_u32_e64 v18, null, v18, v17, vcc_lo
	v_subrev_co_ci_u32_e64 v3, null, s31, v3, vcc_lo
	s_delay_alu instid0(VALU_DEP_3) | instskip(SKIP_1) | instid1(VALU_DEP_3)
	v_sub_co_u32 v13, s3, v7, s30
	v_add_nc_u64_e32 v[16:17], 1, v[10:11]
	v_subrev_co_ci_u32_e64 v3, null, 0, v3, s3
	s_delay_alu instid0(VALU_DEP_3) | instskip(SKIP_1) | instid1(VALU_DEP_3)
	v_cmp_le_u32_e32 vcc_lo, s30, v13
	v_cndmask_b32_e64 v13, 0, -1, vcc_lo
	v_cmp_le_u32_e32 vcc_lo, s31, v3
	v_cndmask_b32_e64 v14, 0, -1, vcc_lo
	;; [unrolled: 2-line block ×4, first 2 shown]
	v_cmp_eq_u32_e32 vcc_lo, s31, v3
	v_cndmask_b32_e32 v3, v14, v13, vcc_lo
	v_cmp_eq_u32_e32 vcc_lo, s31, v18
	v_add_nc_u64_e32 v[14:15], 2, v[10:11]
	v_dual_mov_b32 v13, v12 :: v_dual_cndmask_b32 v7, v19, v7, vcc_lo
	s_delay_alu instid0(VALU_DEP_4) | instskip(NEXT) | instid1(VALU_DEP_2)
	v_cmp_ne_u32_e32 vcc_lo, 0, v3
	v_cmp_ne_u32_e64 s3, 0, v7
	s_delay_alu instid0(VALU_DEP_4) | instskip(NEXT) | instid1(VALU_DEP_1)
	v_dual_cndmask_b32 v3, v17, v15, vcc_lo :: v_dual_cndmask_b32 v7, v16, v14, vcc_lo
	v_cndmask_b32_e64 v3, v11, v3, s3
	s_delay_alu instid0(VALU_DEP_1) | instskip(NEXT) | instid1(VALU_DEP_1)
	v_dual_cndmask_b32 v7, v10, v7, s3 :: v_dual_bitop2_b32 v11, v3, v12 bitop3:0x14
	v_xor_b32_e32 v10, v7, v12
	s_delay_alu instid0(VALU_DEP_1)
	v_sub_nc_u64_e32 v[12:13], v[10:11], v[12:13]
                                        ; implicit-def: $vgpr10_vgpr11
.LBB74_25:                              ;   in Loop: Header=BB74_15 Depth=1
	s_and_not1_saveexec_b32 s3, s35
	s_cbranch_execz .LBB74_27
; %bb.26:                               ;   in Loop: Header=BB74_15 Depth=1
	v_cvt_f32_u32_e32 v3, s22
	s_sub_co_i32 s4, 0, s22
	s_delay_alu instid0(VALU_DEP_1) | instskip(SKIP_1) | instid1(TRANS32_DEP_1)
	v_rcp_iflag_f32_e32 v3, v3
	v_nop
	v_mul_f32_e32 v3, 0x4f7ffffe, v3
	s_delay_alu instid0(VALU_DEP_1) | instskip(NEXT) | instid1(VALU_DEP_1)
	v_cvt_u32_f32_e32 v3, v3
	v_mul_lo_u32 v7, s4, v3
	s_delay_alu instid0(VALU_DEP_1) | instskip(NEXT) | instid1(VALU_DEP_1)
	v_mul_hi_u32 v7, v3, v7
	v_add_nc_u32_e32 v3, v3, v7
	s_delay_alu instid0(VALU_DEP_1) | instskip(NEXT) | instid1(VALU_DEP_1)
	v_mul_hi_u32 v3, v10, v3
	v_mul_lo_u32 v7, v3, s22
	s_delay_alu instid0(VALU_DEP_1) | instskip(SKIP_1) | instid1(VALU_DEP_2)
	v_sub_nc_u32_e32 v7, v10, v7
	v_add_nc_u32_e32 v10, 1, v3
	v_subrev_nc_u32_e32 v11, s22, v7
	v_cmp_le_u32_e32 vcc_lo, s22, v7
	s_delay_alu instid0(VALU_DEP_2) | instskip(NEXT) | instid1(VALU_DEP_4)
	v_cndmask_b32_e32 v7, v7, v11, vcc_lo
	v_cndmask_b32_e32 v3, v3, v10, vcc_lo
	s_delay_alu instid0(VALU_DEP_2) | instskip(NEXT) | instid1(VALU_DEP_2)
	v_cmp_le_u32_e32 vcc_lo, s22, v7
	v_add_nc_u32_e32 v10, 1, v3
	s_delay_alu instid0(VALU_DEP_1)
	v_cndmask_b32_e32 v12, v3, v10, vcc_lo
.LBB74_27:                              ;   in Loop: Header=BB74_15 Depth=1
	s_or_b32 exec_lo, exec_lo, s3
	s_delay_alu instid0(VALU_DEP_1) | instskip(SKIP_2) | instid1(VALU_DEP_2)
	v_ashrrev_i32_e32 v13, 31, v12
	s_mov_b32 s29, 0
	v_mov_b32_e32 v11, v6
	v_cmp_eq_u64_e32 vcc_lo, s[8:9], v[12:13]
	v_subrev_co_ci_u32_e64 v3, null, 0, v12, vcc_lo
	s_delay_alu instid0(VALU_DEP_1) | instskip(NEXT) | instid1(VALU_DEP_1)
	v_lshl_add_u32 v7, v3, 1, 0
	v_and_b32_e32 v3, -3, v7
	v_and_b32_e32 v10, 2, v7
	ds_load_b32 v3, v3
	v_sub_nc_u32_e32 v12, 0, v10
	v_cmp_ne_u32_e64 s3, 0, v10
	v_cmp_eq_u64_e32 vcc_lo, 0, v[10:11]
	s_delay_alu instid0(VALU_DEP_3)
	v_add_nc_u32_e32 v7, v7, v12
	s_branch .LBB74_29
.LBB74_28:                              ;   in Loop: Header=BB74_29 Depth=2
	s_or_b32 exec_lo, exec_lo, s4
	ds_cmpstore_rtn_b32 v10, v7, v10, v3
	s_wait_dscnt 0x0
	v_cmp_eq_u32_e64 s4, v3, v10
	v_mov_b32_e32 v3, v10
	s_or_b32 s29, s4, s29
	s_delay_alu instid0(SALU_CYCLE_1)
	s_and_not1_b32 exec_lo, exec_lo, s29
	s_cbranch_execz .LBB74_14
.LBB74_29:                              ;   Parent Loop BB74_15 Depth=1
                                        ; =>  This Inner Loop Header: Depth=2
	s_wait_dscnt 0x0
	v_lshrrev_b32_e32 v10, 16, v3
	s_delay_alu instid0(VALU_DEP_1) | instskip(NEXT) | instid1(VALU_DEP_1)
	v_cndmask_b32_e32 v10, v10, v3, vcc_lo
	v_add_nc_u32_e32 v10, 1, v10
	s_delay_alu instid0(VALU_DEP_1) | instskip(SKIP_1) | instid1(SALU_CYCLE_1)
	v_and_b32_e32 v11, 0xffff, v10
                                        ; implicit-def: $vgpr10
	s_and_saveexec_b32 s4, s3
	s_xor_b32 s4, exec_lo, s4
; %bb.30:                               ;   in Loop: Header=BB74_29 Depth=2
	v_and_b32_e32 v10, 0xffff, v3
	s_delay_alu instid0(VALU_DEP_1)
	v_lshl_or_b32 v10, v11, 16, v10
                                        ; implicit-def: $vgpr11
; %bb.31:                               ;   in Loop: Header=BB74_29 Depth=2
	s_and_not1_saveexec_b32 s4, s4
	s_cbranch_execz .LBB74_28
; %bb.32:                               ;   in Loop: Header=BB74_29 Depth=2
	v_and_or_b32 v10, 0xffff0000, v3, v11
	s_branch .LBB74_28
.LBB74_33:
	s_or_b32 exec_lo, exec_lo, s33
	s_load_b64 s[4:5], s[0:1], 0xd0
; %bb.34:
	s_barrier_signal -1
	s_barrier_wait -1
	s_wait_xcnt 0x0
	s_and_saveexec_b32 s0, s2
	s_cbranch_execz .LBB74_43
; %bb.35:
	v_mov_b32_e32 v5, 0
	s_mov_b32 s2, 0
	s_delay_alu instid0(VALU_DEP_1)
	v_mov_b32_e32 v3, v5
	s_branch .LBB74_37
.LBB74_36:                              ;   in Loop: Header=BB74_37 Depth=1
	s_or_b32 exec_lo, exec_lo, s3
	v_add_nc_u64_e32 v[0:1], v[0:1], v[2:3]
	s_delay_alu instid0(VALU_DEP_1) | instskip(SKIP_1) | instid1(SALU_CYCLE_1)
	v_cmp_le_i64_e32 vcc_lo, s[18:19], v[0:1]
	s_or_b32 s2, vcc_lo, s2
	s_and_not1_b32 exec_lo, exec_lo, s2
	s_cbranch_execz .LBB74_43
.LBB74_37:                              ; =>This Loop Header: Depth=1
                                        ;     Child Loop BB74_39 Depth 2
	s_wait_kmcnt 0x0
	v_mul_u64_e32 v[6:7], s[4:5], v[0:1]
	s_mov_b32 s3, 0
	s_delay_alu instid0(VALU_DEP_1) | instskip(NEXT) | instid1(VALU_DEP_1)
	v_lshl_add_u64 v[6:7], v[6:7], 1, s[16:17]
	v_and_b32_e32 v4, 2, v6
	s_delay_alu instid0(VALU_DEP_1) | instskip(SKIP_2) | instid1(VALU_DEP_3)
	v_sub_nc_u64_e32 v[8:9], 0, v[4:5]
	v_cmp_ne_u32_e64 s0, 0, v4
	v_cmp_eq_u64_e32 vcc_lo, 0, v[4:5]
	v_add_nc_u64_e32 v[6:7], v[6:7], v[8:9]
	v_lshl_add_u32 v8, v0, 1, 0
	ds_load_u16 v10, v8
	global_load_b32 v9, v[6:7], off
	s_branch .LBB74_39
.LBB74_38:                              ;   in Loop: Header=BB74_39 Depth=2
	s_or_b32 exec_lo, exec_lo, s1
	global_atomic_cmpswap_b32 v4, v[6:7], v[8:9], off th:TH_ATOMIC_RETURN scope:SCOPE_DEV
	s_wait_loadcnt 0x0
	v_cmp_eq_u32_e64 s1, v9, v4
	v_mov_b32_e32 v9, v4
	s_or_b32 s3, s1, s3
	s_delay_alu instid0(SALU_CYCLE_1)
	s_and_not1_b32 exec_lo, exec_lo, s3
	s_cbranch_execz .LBB74_36
.LBB74_39:                              ;   Parent Loop BB74_37 Depth=1
                                        ; =>  This Inner Loop Header: Depth=2
	s_wait_loadcnt 0x0
	v_lshrrev_b32_e32 v4, 16, v9
	s_delay_alu instid0(VALU_DEP_1) | instskip(SKIP_1) | instid1(VALU_DEP_1)
	v_cndmask_b32_e32 v4, v4, v9, vcc_lo
	s_wait_dscnt 0x0
	v_add_nc_u16 v4, v10, v4
	s_delay_alu instid0(VALU_DEP_1) | instskip(SKIP_1) | instid1(SALU_CYCLE_1)
	v_and_b32_e32 v4, 0xffff, v4
	s_and_saveexec_b32 s1, s0
	s_xor_b32 s1, exec_lo, s1
; %bb.40:                               ;   in Loop: Header=BB74_39 Depth=2
	v_and_b32_e32 v8, 0xffff, v9
	s_delay_alu instid0(VALU_DEP_1)
	v_lshl_or_b32 v8, v4, 16, v8
                                        ; implicit-def: $vgpr4
; %bb.41:                               ;   in Loop: Header=BB74_39 Depth=2
	s_and_not1_saveexec_b32 s1, s1
	s_cbranch_execz .LBB74_38
; %bb.42:                               ;   in Loop: Header=BB74_39 Depth=2
	v_and_or_b32 v8, 0xffff0000, v9, v4
	s_branch .LBB74_38
.LBB74_43:
	s_endpgm
	.section	.rodata,"a",@progbits
	.p2align	6, 0x0
	.amdhsa_kernel _ZN2at4cuda17kernelHistogram1DIsslLi1ELi2ELin1ELNS0_23CUDAHistogramMemoryTypeE0EZNS0_21CUDA_tensor_histogramIssLb0EEEbNS_6TensorES4_S4_lNS_14AccumulateTypeIT0_Lb1EE4typeES8_NS0_13TensorArgTypeES9_S9_EUllE0_EEvNS0_6detail10TensorInfoIT_T1_EESF_NSC_IKS6_SE_EElS8_S8_SE_T6_
		.amdhsa_group_segment_fixed_size 0
		.amdhsa_private_segment_fixed_size 0
		.amdhsa_kernarg_size 1544
		.amdhsa_user_sgpr_count 2
		.amdhsa_user_sgpr_dispatch_ptr 0
		.amdhsa_user_sgpr_queue_ptr 0
		.amdhsa_user_sgpr_kernarg_segment_ptr 1
		.amdhsa_user_sgpr_dispatch_id 0
		.amdhsa_user_sgpr_kernarg_preload_length 0
		.amdhsa_user_sgpr_kernarg_preload_offset 0
		.amdhsa_user_sgpr_private_segment_size 0
		.amdhsa_wavefront_size32 1
		.amdhsa_uses_dynamic_stack 0
		.amdhsa_enable_private_segment 0
		.amdhsa_system_sgpr_workgroup_id_x 1
		.amdhsa_system_sgpr_workgroup_id_y 0
		.amdhsa_system_sgpr_workgroup_id_z 0
		.amdhsa_system_sgpr_workgroup_info 0
		.amdhsa_system_vgpr_workitem_id 0
		.amdhsa_next_free_vgpr 28
		.amdhsa_next_free_sgpr 53
		.amdhsa_named_barrier_count 0
		.amdhsa_reserve_vcc 1
		.amdhsa_float_round_mode_32 0
		.amdhsa_float_round_mode_16_64 0
		.amdhsa_float_denorm_mode_32 3
		.amdhsa_float_denorm_mode_16_64 3
		.amdhsa_fp16_overflow 0
		.amdhsa_memory_ordered 1
		.amdhsa_forward_progress 1
		.amdhsa_inst_pref_size 23
		.amdhsa_round_robin_scheduling 0
		.amdhsa_exception_fp_ieee_invalid_op 0
		.amdhsa_exception_fp_denorm_src 0
		.amdhsa_exception_fp_ieee_div_zero 0
		.amdhsa_exception_fp_ieee_overflow 0
		.amdhsa_exception_fp_ieee_underflow 0
		.amdhsa_exception_fp_ieee_inexact 0
		.amdhsa_exception_int_div_zero 0
	.end_amdhsa_kernel
	.section	.text._ZN2at4cuda17kernelHistogram1DIsslLi1ELi2ELin1ELNS0_23CUDAHistogramMemoryTypeE0EZNS0_21CUDA_tensor_histogramIssLb0EEEbNS_6TensorES4_S4_lNS_14AccumulateTypeIT0_Lb1EE4typeES8_NS0_13TensorArgTypeES9_S9_EUllE0_EEvNS0_6detail10TensorInfoIT_T1_EESF_NSC_IKS6_SE_EElS8_S8_SE_T6_,"axG",@progbits,_ZN2at4cuda17kernelHistogram1DIsslLi1ELi2ELin1ELNS0_23CUDAHistogramMemoryTypeE0EZNS0_21CUDA_tensor_histogramIssLb0EEEbNS_6TensorES4_S4_lNS_14AccumulateTypeIT0_Lb1EE4typeES8_NS0_13TensorArgTypeES9_S9_EUllE0_EEvNS0_6detail10TensorInfoIT_T1_EESF_NSC_IKS6_SE_EElS8_S8_SE_T6_,comdat
.Lfunc_end74:
	.size	_ZN2at4cuda17kernelHistogram1DIsslLi1ELi2ELin1ELNS0_23CUDAHistogramMemoryTypeE0EZNS0_21CUDA_tensor_histogramIssLb0EEEbNS_6TensorES4_S4_lNS_14AccumulateTypeIT0_Lb1EE4typeES8_NS0_13TensorArgTypeES9_S9_EUllE0_EEvNS0_6detail10TensorInfoIT_T1_EESF_NSC_IKS6_SE_EElS8_S8_SE_T6_, .Lfunc_end74-_ZN2at4cuda17kernelHistogram1DIsslLi1ELi2ELin1ELNS0_23CUDAHistogramMemoryTypeE0EZNS0_21CUDA_tensor_histogramIssLb0EEEbNS_6TensorES4_S4_lNS_14AccumulateTypeIT0_Lb1EE4typeES8_NS0_13TensorArgTypeES9_S9_EUllE0_EEvNS0_6detail10TensorInfoIT_T1_EESF_NSC_IKS6_SE_EElS8_S8_SE_T6_
                                        ; -- End function
	.set _ZN2at4cuda17kernelHistogram1DIsslLi1ELi2ELin1ELNS0_23CUDAHistogramMemoryTypeE0EZNS0_21CUDA_tensor_histogramIssLb0EEEbNS_6TensorES4_S4_lNS_14AccumulateTypeIT0_Lb1EE4typeES8_NS0_13TensorArgTypeES9_S9_EUllE0_EEvNS0_6detail10TensorInfoIT_T1_EESF_NSC_IKS6_SE_EElS8_S8_SE_T6_.num_vgpr, 28
	.set _ZN2at4cuda17kernelHistogram1DIsslLi1ELi2ELin1ELNS0_23CUDAHistogramMemoryTypeE0EZNS0_21CUDA_tensor_histogramIssLb0EEEbNS_6TensorES4_S4_lNS_14AccumulateTypeIT0_Lb1EE4typeES8_NS0_13TensorArgTypeES9_S9_EUllE0_EEvNS0_6detail10TensorInfoIT_T1_EESF_NSC_IKS6_SE_EElS8_S8_SE_T6_.num_agpr, 0
	.set _ZN2at4cuda17kernelHistogram1DIsslLi1ELi2ELin1ELNS0_23CUDAHistogramMemoryTypeE0EZNS0_21CUDA_tensor_histogramIssLb0EEEbNS_6TensorES4_S4_lNS_14AccumulateTypeIT0_Lb1EE4typeES8_NS0_13TensorArgTypeES9_S9_EUllE0_EEvNS0_6detail10TensorInfoIT_T1_EESF_NSC_IKS6_SE_EElS8_S8_SE_T6_.numbered_sgpr, 53
	.set _ZN2at4cuda17kernelHistogram1DIsslLi1ELi2ELin1ELNS0_23CUDAHistogramMemoryTypeE0EZNS0_21CUDA_tensor_histogramIssLb0EEEbNS_6TensorES4_S4_lNS_14AccumulateTypeIT0_Lb1EE4typeES8_NS0_13TensorArgTypeES9_S9_EUllE0_EEvNS0_6detail10TensorInfoIT_T1_EESF_NSC_IKS6_SE_EElS8_S8_SE_T6_.num_named_barrier, 0
	.set _ZN2at4cuda17kernelHistogram1DIsslLi1ELi2ELin1ELNS0_23CUDAHistogramMemoryTypeE0EZNS0_21CUDA_tensor_histogramIssLb0EEEbNS_6TensorES4_S4_lNS_14AccumulateTypeIT0_Lb1EE4typeES8_NS0_13TensorArgTypeES9_S9_EUllE0_EEvNS0_6detail10TensorInfoIT_T1_EESF_NSC_IKS6_SE_EElS8_S8_SE_T6_.private_seg_size, 0
	.set _ZN2at4cuda17kernelHistogram1DIsslLi1ELi2ELin1ELNS0_23CUDAHistogramMemoryTypeE0EZNS0_21CUDA_tensor_histogramIssLb0EEEbNS_6TensorES4_S4_lNS_14AccumulateTypeIT0_Lb1EE4typeES8_NS0_13TensorArgTypeES9_S9_EUllE0_EEvNS0_6detail10TensorInfoIT_T1_EESF_NSC_IKS6_SE_EElS8_S8_SE_T6_.uses_vcc, 1
	.set _ZN2at4cuda17kernelHistogram1DIsslLi1ELi2ELin1ELNS0_23CUDAHistogramMemoryTypeE0EZNS0_21CUDA_tensor_histogramIssLb0EEEbNS_6TensorES4_S4_lNS_14AccumulateTypeIT0_Lb1EE4typeES8_NS0_13TensorArgTypeES9_S9_EUllE0_EEvNS0_6detail10TensorInfoIT_T1_EESF_NSC_IKS6_SE_EElS8_S8_SE_T6_.uses_flat_scratch, 0
	.set _ZN2at4cuda17kernelHistogram1DIsslLi1ELi2ELin1ELNS0_23CUDAHistogramMemoryTypeE0EZNS0_21CUDA_tensor_histogramIssLb0EEEbNS_6TensorES4_S4_lNS_14AccumulateTypeIT0_Lb1EE4typeES8_NS0_13TensorArgTypeES9_S9_EUllE0_EEvNS0_6detail10TensorInfoIT_T1_EESF_NSC_IKS6_SE_EElS8_S8_SE_T6_.has_dyn_sized_stack, 0
	.set _ZN2at4cuda17kernelHistogram1DIsslLi1ELi2ELin1ELNS0_23CUDAHistogramMemoryTypeE0EZNS0_21CUDA_tensor_histogramIssLb0EEEbNS_6TensorES4_S4_lNS_14AccumulateTypeIT0_Lb1EE4typeES8_NS0_13TensorArgTypeES9_S9_EUllE0_EEvNS0_6detail10TensorInfoIT_T1_EESF_NSC_IKS6_SE_EElS8_S8_SE_T6_.has_recursion, 0
	.set _ZN2at4cuda17kernelHistogram1DIsslLi1ELi2ELin1ELNS0_23CUDAHistogramMemoryTypeE0EZNS0_21CUDA_tensor_histogramIssLb0EEEbNS_6TensorES4_S4_lNS_14AccumulateTypeIT0_Lb1EE4typeES8_NS0_13TensorArgTypeES9_S9_EUllE0_EEvNS0_6detail10TensorInfoIT_T1_EESF_NSC_IKS6_SE_EElS8_S8_SE_T6_.has_indirect_call, 0
	.section	.AMDGPU.csdata,"",@progbits
; Kernel info:
; codeLenInByte = 2828
; TotalNumSgprs: 55
; NumVgprs: 28
; ScratchSize: 0
; MemoryBound: 0
; FloatMode: 240
; IeeeMode: 1
; LDSByteSize: 0 bytes/workgroup (compile time only)
; SGPRBlocks: 0
; VGPRBlocks: 1
; NumSGPRsForWavesPerEU: 55
; NumVGPRsForWavesPerEU: 28
; NamedBarCnt: 0
; Occupancy: 16
; WaveLimiterHint : 1
; COMPUTE_PGM_RSRC2:SCRATCH_EN: 0
; COMPUTE_PGM_RSRC2:USER_SGPR: 2
; COMPUTE_PGM_RSRC2:TRAP_HANDLER: 0
; COMPUTE_PGM_RSRC2:TGID_X_EN: 1
; COMPUTE_PGM_RSRC2:TGID_Y_EN: 0
; COMPUTE_PGM_RSRC2:TGID_Z_EN: 0
; COMPUTE_PGM_RSRC2:TIDIG_COMP_CNT: 0
	.section	.text._ZN2at4cuda17kernelHistogram1DIsslLi1ELi2ELin1ELNS0_23CUDAHistogramMemoryTypeE1EZNS0_21CUDA_tensor_histogramIssLb0EEEbNS_6TensorES4_S4_lNS_14AccumulateTypeIT0_Lb1EE4typeES8_NS0_13TensorArgTypeES9_S9_EUllE0_EEvNS0_6detail10TensorInfoIT_T1_EESF_NSC_IKS6_SE_EElS8_S8_SE_T6_,"axG",@progbits,_ZN2at4cuda17kernelHistogram1DIsslLi1ELi2ELin1ELNS0_23CUDAHistogramMemoryTypeE1EZNS0_21CUDA_tensor_histogramIssLb0EEEbNS_6TensorES4_S4_lNS_14AccumulateTypeIT0_Lb1EE4typeES8_NS0_13TensorArgTypeES9_S9_EUllE0_EEvNS0_6detail10TensorInfoIT_T1_EESF_NSC_IKS6_SE_EElS8_S8_SE_T6_,comdat
	.protected	_ZN2at4cuda17kernelHistogram1DIsslLi1ELi2ELin1ELNS0_23CUDAHistogramMemoryTypeE1EZNS0_21CUDA_tensor_histogramIssLb0EEEbNS_6TensorES4_S4_lNS_14AccumulateTypeIT0_Lb1EE4typeES8_NS0_13TensorArgTypeES9_S9_EUllE0_EEvNS0_6detail10TensorInfoIT_T1_EESF_NSC_IKS6_SE_EElS8_S8_SE_T6_ ; -- Begin function _ZN2at4cuda17kernelHistogram1DIsslLi1ELi2ELin1ELNS0_23CUDAHistogramMemoryTypeE1EZNS0_21CUDA_tensor_histogramIssLb0EEEbNS_6TensorES4_S4_lNS_14AccumulateTypeIT0_Lb1EE4typeES8_NS0_13TensorArgTypeES9_S9_EUllE0_EEvNS0_6detail10TensorInfoIT_T1_EESF_NSC_IKS6_SE_EElS8_S8_SE_T6_
	.globl	_ZN2at4cuda17kernelHistogram1DIsslLi1ELi2ELin1ELNS0_23CUDAHistogramMemoryTypeE1EZNS0_21CUDA_tensor_histogramIssLb0EEEbNS_6TensorES4_S4_lNS_14AccumulateTypeIT0_Lb1EE4typeES8_NS0_13TensorArgTypeES9_S9_EUllE0_EEvNS0_6detail10TensorInfoIT_T1_EESF_NSC_IKS6_SE_EElS8_S8_SE_T6_
	.p2align	8
	.type	_ZN2at4cuda17kernelHistogram1DIsslLi1ELi2ELin1ELNS0_23CUDAHistogramMemoryTypeE1EZNS0_21CUDA_tensor_histogramIssLb0EEEbNS_6TensorES4_S4_lNS_14AccumulateTypeIT0_Lb1EE4typeES8_NS0_13TensorArgTypeES9_S9_EUllE0_EEvNS0_6detail10TensorInfoIT_T1_EESF_NSC_IKS6_SE_EElS8_S8_SE_T6_,@function
_ZN2at4cuda17kernelHistogram1DIsslLi1ELi2ELin1ELNS0_23CUDAHistogramMemoryTypeE1EZNS0_21CUDA_tensor_histogramIssLb0EEEbNS_6TensorES4_S4_lNS_14AccumulateTypeIT0_Lb1EE4typeES8_NS0_13TensorArgTypeES9_S9_EUllE0_EEvNS0_6detail10TensorInfoIT_T1_EESF_NSC_IKS6_SE_EElS8_S8_SE_T6_: ; @_ZN2at4cuda17kernelHistogram1DIsslLi1ELi2ELin1ELNS0_23CUDAHistogramMemoryTypeE1EZNS0_21CUDA_tensor_histogramIssLb0EEEbNS_6TensorES4_S4_lNS_14AccumulateTypeIT0_Lb1EE4typeES8_NS0_13TensorArgTypeES9_S9_EUllE0_EEvNS0_6detail10TensorInfoIT_T1_EESF_NSC_IKS6_SE_EElS8_S8_SE_T6_
; %bb.0:
	s_load_b32 s2, s[0:1], 0x514
	s_bfe_u32 s12, ttmp6, 0x4000c
	s_load_b256 s[4:11], s[0:1], 0x4e0
	s_add_co_i32 s12, s12, 1
	s_and_b32 s3, ttmp6, 15
	s_mul_i32 s12, ttmp9, s12
	s_getreg_b32 s13, hwreg(HW_REG_IB_STS2, 6, 4)
	s_add_co_i32 s3, s3, s12
	v_mov_b32_e32 v2, 0
	s_mov_b32 s12, exec_lo
	s_delay_alu instid0(VALU_DEP_1) | instskip(SKIP_4) | instid1(SALU_CYCLE_1)
	v_mov_b32_e32 v1, v2
	s_wait_kmcnt 0x0
	s_and_b32 s2, s2, 0xffff
	s_cmp_eq_u32 s13, 0
	s_cselect_b32 s3, ttmp9, s3
	v_mad_u32 v0, s3, s2, v0
	s_mov_b32 s3, 0
	s_delay_alu instid0(VALU_DEP_1)
	v_cmpx_gt_i64_e64 s[10:11], v[0:1]
	s_cbranch_execz .LBB75_21
; %bb.1:
	s_load_b32 s26, s[0:1], 0x4d8
	s_add_nc_u64 s[20:21], s[0:1], 0x508
	s_load_b32 s22, s[20:21], 0x0
	s_clause 0x3
	s_load_b64 s[12:13], s[0:1], 0x0
	s_load_b64 s[14:15], s[0:1], 0xd0
	;; [unrolled: 1-line block ×4, first 2 shown]
	s_wait_xcnt 0x0
	s_add_nc_u64 s[0:1], s[0:1], 0x340
	s_sub_nc_u64 s[20:21], s[8:9], s[6:7]
	s_mov_b32 s23, s3
	s_mov_b64 s[24:25], 0xffffffff
	s_mov_b32 s41, 0
	s_wait_kmcnt 0x0
	s_mul_i32 s22, s22, s2
	s_cmp_gt_i32 s26, 1
	s_cselect_b32 s33, -1, 0
	s_add_co_i32 s2, s26, -1
	s_add_co_i32 s40, s26, 1
	s_lshl_b64 s[26:27], s[2:3], 3
	s_delay_alu instid0(SALU_CYCLE_1)
	s_add_nc_u64 s[0:1], s[0:1], s[26:27]
	s_ashr_i32 s26, s21, 31
	s_add_nc_u64 s[28:29], s[0:1], 8
	s_branch .LBB75_3
.LBB75_2:                               ;   in Loop: Header=BB75_3 Depth=1
	s_or_b32 exec_lo, exec_lo, s34
	v_add_nc_u64_e32 v[0:1], s[22:23], v[0:1]
	s_delay_alu instid0(VALU_DEP_1) | instskip(SKIP_1) | instid1(SALU_CYCLE_1)
	v_cmp_le_i64_e32 vcc_lo, s[10:11], v[0:1]
	s_or_b32 s41, vcc_lo, s41
	s_and_not1_b32 exec_lo, exec_lo, s41
	s_cbranch_execz .LBB75_21
.LBB75_3:                               ; =>This Loop Header: Depth=1
                                        ;     Child Loop BB75_4 Depth 2
                                        ;     Child Loop BB75_17 Depth 2
	v_mov_b64_e32 v[4:5], 0
	v_mov_b64_e32 v[6:7], v[0:1]
	;; [unrolled: 1-line block ×3, first 2 shown]
	s_and_not1_b32 vcc_lo, exec_lo, s33
	s_mov_b64 s[30:31], s[28:29]
	s_mov_b32 s1, s40
	s_cbranch_vccnz .LBB75_10
.LBB75_4:                               ;   Parent Loop BB75_3 Depth=1
                                        ; =>  This Inner Loop Header: Depth=2
	s_load_b64 s[34:35], s[30:31], 0x0
                                        ; implicit-def: $vgpr8_vgpr9
	s_mov_b32 s0, exec_lo
	s_wait_kmcnt 0x0
	s_delay_alu instid0(VALU_DEP_1) | instskip(NEXT) | instid1(VALU_DEP_1)
	v_or_b32_e32 v3, s35, v7
	v_cmpx_ne_u64_e32 0, v[2:3]
	s_xor_b32 s27, exec_lo, s0
	s_cbranch_execz .LBB75_6
; %bb.5:                                ;   in Loop: Header=BB75_4 Depth=2
	s_ashr_i32 s36, s35, 31
	v_dual_mov_b32 v13, v2 :: v_dual_ashrrev_i32 v8, 31, v7
	s_mov_b32 s37, s36
	s_delay_alu instid0(SALU_CYCLE_1) | instskip(NEXT) | instid1(VALU_DEP_1)
	s_add_nc_u64 s[38:39], s[34:35], s[36:37]
	v_mov_b32_e32 v9, v8
	s_xor_b64 s[38:39], s[38:39], s[36:37]
	s_delay_alu instid0(SALU_CYCLE_1)
	s_cvt_f32_u32 s0, s38
	s_cvt_f32_u32 s2, s39
	s_sub_nc_u64 s[44:45], 0, s[38:39]
	v_add_nc_u64_e32 v[10:11], v[6:7], v[8:9]
	v_mov_b32_e32 v17, v2
	s_fmamk_f32 s0, s2, 0x4f800000, s0
	s_delay_alu instid0(SALU_CYCLE_3) | instskip(NEXT) | instid1(VALU_DEP_2)
	v_s_rcp_f32 s0, s0
	v_xor_b32_e32 v12, v10, v8
	s_delay_alu instid0(VALU_DEP_3) | instskip(SKIP_1) | instid1(TRANS32_DEP_1)
	v_dual_mov_b32 v21, v2 :: v_dual_bitop2_b32 v16, v11, v8 bitop3:0x14
	v_xor_b32_e32 v8, s36, v8
	s_mul_f32 s0, s0, 0x5f7ffffc
	s_delay_alu instid0(SALU_CYCLE_3) | instskip(NEXT) | instid1(SALU_CYCLE_3)
	s_mul_f32 s2, s0, 0x2f800000
	s_trunc_f32 s2, s2
	s_delay_alu instid0(SALU_CYCLE_3) | instskip(SKIP_1) | instid1(SALU_CYCLE_2)
	s_fmamk_f32 s0, s2, 0xcf800000, s0
	s_cvt_u32_f32 s43, s2
	s_cvt_u32_f32 s42, s0
	s_delay_alu instid0(SALU_CYCLE_3) | instskip(NEXT) | instid1(SALU_CYCLE_1)
	s_mul_u64 s[46:47], s[44:45], s[42:43]
	s_mul_hi_u32 s49, s42, s47
	s_mul_i32 s48, s42, s47
	s_mul_hi_u32 s2, s42, s46
	s_mul_i32 s37, s43, s46
	s_add_nc_u64 s[48:49], s[2:3], s[48:49]
	s_mul_hi_u32 s0, s43, s46
	s_mul_hi_u32 s50, s43, s47
	s_add_co_u32 s2, s48, s37
	s_add_co_ci_u32 s2, s49, s0
	s_mul_i32 s46, s43, s47
	s_add_co_ci_u32 s47, s50, 0
	s_delay_alu instid0(SALU_CYCLE_1) | instskip(NEXT) | instid1(SALU_CYCLE_1)
	s_add_nc_u64 s[46:47], s[2:3], s[46:47]
	s_add_co_u32 s42, s42, s46
	s_cselect_b32 s0, -1, 0
	s_delay_alu instid0(SALU_CYCLE_1) | instskip(SKIP_1) | instid1(SALU_CYCLE_1)
	s_cmp_lg_u32 s0, 0
	s_add_co_ci_u32 s43, s43, s47
	s_mul_u64 s[44:45], s[44:45], s[42:43]
	s_delay_alu instid0(SALU_CYCLE_1)
	s_mul_hi_u32 s47, s42, s45
	s_mul_i32 s46, s42, s45
	s_mul_hi_u32 s2, s42, s44
	s_mul_i32 s37, s43, s44
	s_add_nc_u64 s[46:47], s[2:3], s[46:47]
	s_mul_hi_u32 s0, s43, s44
	s_mul_hi_u32 s48, s43, s45
	s_add_co_u32 s2, s46, s37
	s_add_co_ci_u32 s2, s47, s0
	s_mul_i32 s44, s43, s45
	s_add_co_ci_u32 s45, s48, 0
	s_delay_alu instid0(SALU_CYCLE_1) | instskip(NEXT) | instid1(SALU_CYCLE_1)
	s_add_nc_u64 s[44:45], s[2:3], s[44:45]
	s_add_co_u32 s0, s42, s44
	s_cselect_b32 s2, -1, 0
	v_mul_hi_u32 v20, v12, s0
	s_cmp_lg_u32 s2, 0
	s_add_co_ci_u32 s2, s43, s45
	s_and_b64 s[42:43], s[0:1], s[24:25]
	v_mul_u64_e32 v[14:15], s[2:3], v[12:13]
	v_mul_u64_e32 v[10:11], s[42:43], v[16:17]
	;; [unrolled: 1-line block ×3, first 2 shown]
	s_delay_alu instid0(VALU_DEP_3) | instskip(NEXT) | instid1(VALU_DEP_1)
	v_add_nc_u64_e32 v[14:15], v[20:21], v[14:15]
	v_add_co_u32 v3, vcc_lo, v14, v10
	s_delay_alu instid0(VALU_DEP_2) | instskip(NEXT) | instid1(VALU_DEP_4)
	v_add_co_ci_u32_e32 v20, vcc_lo, v15, v11, vcc_lo
	v_add_co_ci_u32_e32 v19, vcc_lo, 0, v19, vcc_lo
	s_delay_alu instid0(VALU_DEP_1) | instskip(NEXT) | instid1(VALU_DEP_1)
	v_add_nc_u64_e32 v[10:11], v[20:21], v[18:19]
	v_mul_u64_e32 v[14:15], s[38:39], v[10:11]
	s_delay_alu instid0(VALU_DEP_1) | instskip(NEXT) | instid1(VALU_DEP_2)
	v_sub_nc_u32_e32 v3, v16, v15
	v_sub_co_u32 v9, vcc_lo, v12, v14
	s_delay_alu instid0(VALU_DEP_1) | instskip(NEXT) | instid1(VALU_DEP_3)
	v_sub_co_ci_u32_e64 v16, null, v16, v15, vcc_lo
	v_subrev_co_ci_u32_e64 v3, null, s39, v3, vcc_lo
	s_delay_alu instid0(VALU_DEP_3) | instskip(SKIP_1) | instid1(VALU_DEP_3)
	v_sub_co_u32 v12, s0, v9, s38
	v_add_nc_u64_e32 v[14:15], 1, v[10:11]
	v_subrev_co_ci_u32_e64 v3, null, 0, v3, s0
	s_delay_alu instid0(VALU_DEP_3) | instskip(SKIP_1) | instid1(VALU_DEP_3)
	v_cmp_le_u32_e32 vcc_lo, s38, v12
	v_cndmask_b32_e64 v12, 0, -1, vcc_lo
	v_cmp_le_u32_e32 vcc_lo, s39, v3
	v_cndmask_b32_e64 v13, 0, -1, vcc_lo
	;; [unrolled: 2-line block ×4, first 2 shown]
	v_cmp_eq_u32_e32 vcc_lo, s39, v3
	v_cndmask_b32_e32 v3, v13, v12, vcc_lo
	v_cmp_eq_u32_e32 vcc_lo, s39, v16
	v_add_nc_u64_e32 v[12:13], 2, v[10:11]
	v_cndmask_b32_e32 v9, v17, v9, vcc_lo
	s_delay_alu instid0(VALU_DEP_4) | instskip(NEXT) | instid1(VALU_DEP_2)
	v_cmp_ne_u32_e32 vcc_lo, 0, v3
	v_cmp_ne_u32_e64 s0, 0, v9
	s_delay_alu instid0(VALU_DEP_4) | instskip(NEXT) | instid1(VALU_DEP_1)
	v_dual_cndmask_b32 v3, v15, v13, vcc_lo :: v_dual_cndmask_b32 v9, v14, v12, vcc_lo
	v_dual_cndmask_b32 v10, v10, v9, s0 :: v_dual_mov_b32 v9, v8
	s_delay_alu instid0(VALU_DEP_1) | instskip(NEXT) | instid1(VALU_DEP_1)
	v_dual_cndmask_b32 v3, v11, v3, s0 :: v_dual_bitop2_b32 v10, v10, v8 bitop3:0x14
	v_xor_b32_e32 v11, v3, v8
	s_delay_alu instid0(VALU_DEP_1)
	v_sub_nc_u64_e32 v[8:9], v[10:11], v[8:9]
.LBB75_6:                               ;   in Loop: Header=BB75_4 Depth=2
	s_and_not1_saveexec_b32 s0, s27
	s_cbranch_execz .LBB75_8
; %bb.7:                                ;   in Loop: Header=BB75_4 Depth=2
	v_cvt_f32_u32_e32 v3, s34
	s_sub_co_i32 s2, 0, s34
	s_delay_alu instid0(VALU_DEP_1) | instskip(SKIP_1) | instid1(TRANS32_DEP_1)
	v_rcp_iflag_f32_e32 v3, v3
	v_nop
	v_mul_f32_e32 v3, 0x4f7ffffe, v3
	s_delay_alu instid0(VALU_DEP_1) | instskip(NEXT) | instid1(VALU_DEP_1)
	v_cvt_u32_f32_e32 v3, v3
	v_mul_lo_u32 v8, s2, v3
	s_delay_alu instid0(VALU_DEP_1) | instskip(NEXT) | instid1(VALU_DEP_1)
	v_mul_hi_u32 v8, v3, v8
	v_add_nc_u32_e32 v3, v3, v8
	s_delay_alu instid0(VALU_DEP_1) | instskip(NEXT) | instid1(VALU_DEP_1)
	v_mul_hi_u32 v3, v6, v3
	v_mul_lo_u32 v8, v3, s34
	s_delay_alu instid0(VALU_DEP_1) | instskip(NEXT) | instid1(VALU_DEP_1)
	v_dual_add_nc_u32 v9, 1, v3 :: v_dual_sub_nc_u32 v8, v6, v8
	v_subrev_nc_u32_e32 v10, s34, v8
	v_cmp_le_u32_e32 vcc_lo, s34, v8
	s_delay_alu instid0(VALU_DEP_2) | instskip(NEXT) | instid1(VALU_DEP_1)
	v_dual_cndmask_b32 v8, v8, v10 :: v_dual_cndmask_b32 v3, v3, v9
	v_cmp_le_u32_e32 vcc_lo, s34, v8
	s_delay_alu instid0(VALU_DEP_2) | instskip(NEXT) | instid1(VALU_DEP_1)
	v_add_nc_u32_e32 v9, 1, v3
	v_dual_cndmask_b32 v8, v3, v9 :: v_dual_mov_b32 v9, v2
.LBB75_8:                               ;   in Loop: Header=BB75_4 Depth=2
	s_or_b32 exec_lo, exec_lo, s0
	s_delay_alu instid0(VALU_DEP_1)
	v_mul_u64_e32 v[10:11], s[34:35], v[8:9]
	s_load_b64 s[34:35], s[30:31], 0xc8
	s_add_co_i32 s1, s1, -1
	s_wait_xcnt 0x0
	s_add_nc_u64 s[30:31], s[30:31], -8
	s_cmp_gt_u32 s1, 2
	s_delay_alu instid0(VALU_DEP_1) | instskip(SKIP_1) | instid1(VALU_DEP_1)
	v_sub_nc_u64_e32 v[6:7], v[6:7], v[10:11]
	s_wait_kmcnt 0x0
	v_mad_nc_u64_u32 v[4:5], s34, v6, v[4:5]
	s_delay_alu instid0(VALU_DEP_1) | instskip(NEXT) | instid1(VALU_DEP_1)
	v_mad_u32 v3, s35, v6, v5
	v_mad_u32 v5, s34, v7, v3
	s_cbranch_scc0 .LBB75_10
; %bb.9:                                ;   in Loop: Header=BB75_4 Depth=2
	v_mov_b64_e32 v[6:7], v[8:9]
	s_branch .LBB75_4
.LBB75_10:                              ;   in Loop: Header=BB75_3 Depth=1
	s_delay_alu instid0(VALU_DEP_1) | instskip(NEXT) | instid1(VALU_DEP_1)
	v_mul_u64_e32 v[6:7], s[16:17], v[8:9]
	v_lshl_add_u64 v[6:7], v[6:7], 1, s[18:19]
	s_delay_alu instid0(VALU_DEP_1) | instskip(SKIP_3) | instid1(VALU_DEP_1)
	v_lshl_add_u64 v[4:5], v[4:5], 1, v[6:7]
	global_load_u16 v3, v[4:5], off
	s_wait_loadcnt 0x0
	v_bfe_i32 v4, v3, 0, 16
	v_ashrrev_i32_e32 v5, 31, v4
	s_delay_alu instid0(VALU_DEP_1) | instskip(SKIP_2) | instid1(SALU_CYCLE_1)
	v_cmp_le_i64_e32 vcc_lo, s[6:7], v[4:5]
	v_cmp_ge_i64_e64 s0, s[8:9], v[4:5]
	s_and_b32 s0, vcc_lo, s0
	s_and_saveexec_b32 s34, s0
	s_cbranch_execz .LBB75_2
; %bb.11:                               ;   in Loop: Header=BB75_3 Depth=1
	v_sub_nc_u64_e64 v[4:5], v[4:5], s[6:7]
                                        ; implicit-def: $vgpr6_vgpr7
	s_mov_b32 s0, exec_lo
	s_delay_alu instid0(VALU_DEP_1) | instskip(NEXT) | instid1(VALU_DEP_1)
	v_mul_u64_e32 v[4:5], s[4:5], v[4:5]
	v_or_b32_e32 v3, s21, v5
	s_delay_alu instid0(VALU_DEP_1)
	v_cmpx_ne_u64_e32 0, v[2:3]
	s_xor_b32 s1, exec_lo, s0
	s_cbranch_execz .LBB75_13
; %bb.12:                               ;   in Loop: Header=BB75_3 Depth=1
	s_mov_b32 s27, s26
	v_dual_mov_b32 v9, v2 :: v_dual_ashrrev_i32 v6, 31, v5
	s_add_nc_u64 s[30:31], s[20:21], s[26:27]
	s_delay_alu instid0(SALU_CYCLE_1) | instskip(NEXT) | instid1(VALU_DEP_1)
	s_xor_b64 s[30:31], s[30:31], s[26:27]
	v_mov_b32_e32 v7, v6
	s_cvt_f32_u32 s0, s30
	s_cvt_f32_u32 s2, s31
	s_sub_nc_u64 s[38:39], 0, s[30:31]
	s_delay_alu instid0(VALU_DEP_1) | instskip(NEXT) | instid1(SALU_CYCLE_1)
	v_add_nc_u64_e32 v[4:5], v[4:5], v[6:7]
	s_fmamk_f32 s0, s2, 0x4f800000, s0
	v_mov_b32_e32 v13, v2
	s_delay_alu instid0(SALU_CYCLE_2) | instskip(NEXT) | instid1(VALU_DEP_2)
	v_s_rcp_f32 s0, s0
	v_xor_b32_e32 v8, v4, v6
	s_delay_alu instid0(VALU_DEP_3) | instskip(NEXT) | instid1(TRANS32_DEP_1)
	v_dual_mov_b32 v17, v2 :: v_dual_bitop2_b32 v12, v5, v6 bitop3:0x14
	s_mul_f32 s0, s0, 0x5f7ffffc
	s_delay_alu instid0(SALU_CYCLE_3) | instskip(NEXT) | instid1(SALU_CYCLE_3)
	s_mul_f32 s2, s0, 0x2f800000
	s_trunc_f32 s2, s2
	s_delay_alu instid0(SALU_CYCLE_3) | instskip(SKIP_1) | instid1(SALU_CYCLE_2)
	s_fmamk_f32 s0, s2, 0xcf800000, s0
	s_cvt_u32_f32 s37, s2
	s_cvt_u32_f32 s36, s0
	s_delay_alu instid0(SALU_CYCLE_3) | instskip(NEXT) | instid1(SALU_CYCLE_1)
	s_mul_u64 s[42:43], s[38:39], s[36:37]
	s_mul_hi_u32 s45, s36, s43
	s_mul_i32 s44, s36, s43
	s_mul_hi_u32 s2, s36, s42
	s_mul_i32 s27, s37, s42
	s_add_nc_u64 s[44:45], s[2:3], s[44:45]
	s_mul_hi_u32 s0, s37, s42
	s_mul_hi_u32 s35, s37, s43
	s_add_co_u32 s2, s44, s27
	s_add_co_ci_u32 s2, s45, s0
	s_mul_i32 s42, s37, s43
	s_add_co_ci_u32 s43, s35, 0
	s_delay_alu instid0(SALU_CYCLE_1) | instskip(NEXT) | instid1(SALU_CYCLE_1)
	s_add_nc_u64 s[42:43], s[2:3], s[42:43]
	s_add_co_u32 s36, s36, s42
	s_cselect_b32 s0, -1, 0
	s_delay_alu instid0(SALU_CYCLE_1) | instskip(SKIP_1) | instid1(SALU_CYCLE_1)
	s_cmp_lg_u32 s0, 0
	s_add_co_ci_u32 s37, s37, s43
	s_mul_u64 s[38:39], s[38:39], s[36:37]
	s_delay_alu instid0(SALU_CYCLE_1)
	s_mul_hi_u32 s43, s36, s39
	s_mul_i32 s42, s36, s39
	s_mul_hi_u32 s2, s36, s38
	s_mul_i32 s27, s37, s38
	s_add_nc_u64 s[42:43], s[2:3], s[42:43]
	s_mul_hi_u32 s0, s37, s38
	s_mul_hi_u32 s35, s37, s39
	s_add_co_u32 s2, s42, s27
	s_add_co_ci_u32 s2, s43, s0
	s_mul_i32 s38, s37, s39
	s_add_co_ci_u32 s39, s35, 0
	s_delay_alu instid0(SALU_CYCLE_1) | instskip(NEXT) | instid1(SALU_CYCLE_1)
	s_add_nc_u64 s[38:39], s[2:3], s[38:39]
	s_add_co_u32 s0, s36, s38
	s_cselect_b32 s2, -1, 0
	v_mul_hi_u32 v16, v8, s0
	s_cmp_lg_u32 s2, 0
	s_add_co_ci_u32 s2, s37, s39
	s_and_b64 s[36:37], s[0:1], s[24:25]
	v_mul_u64_e32 v[10:11], s[2:3], v[8:9]
	v_mul_u64_e32 v[4:5], s[36:37], v[12:13]
	;; [unrolled: 1-line block ×3, first 2 shown]
	s_delay_alu instid0(VALU_DEP_3) | instskip(NEXT) | instid1(VALU_DEP_1)
	v_add_nc_u64_e32 v[10:11], v[16:17], v[10:11]
	v_add_co_u32 v3, vcc_lo, v10, v4
	s_delay_alu instid0(VALU_DEP_2) | instskip(NEXT) | instid1(VALU_DEP_4)
	v_add_co_ci_u32_e32 v16, vcc_lo, v11, v5, vcc_lo
	v_add_co_ci_u32_e32 v15, vcc_lo, 0, v15, vcc_lo
	s_delay_alu instid0(VALU_DEP_1) | instskip(NEXT) | instid1(VALU_DEP_1)
	v_add_nc_u64_e32 v[4:5], v[16:17], v[14:15]
	v_mul_u64_e32 v[10:11], s[30:31], v[4:5]
	s_delay_alu instid0(VALU_DEP_1) | instskip(NEXT) | instid1(VALU_DEP_2)
	v_sub_nc_u32_e32 v3, v12, v11
	v_sub_co_u32 v7, vcc_lo, v8, v10
	s_delay_alu instid0(VALU_DEP_1) | instskip(NEXT) | instid1(VALU_DEP_3)
	v_sub_co_ci_u32_e64 v12, null, v12, v11, vcc_lo
	v_subrev_co_ci_u32_e64 v3, null, s31, v3, vcc_lo
	s_delay_alu instid0(VALU_DEP_3) | instskip(SKIP_1) | instid1(VALU_DEP_3)
	v_sub_co_u32 v8, s0, v7, s30
	v_add_nc_u64_e32 v[10:11], 1, v[4:5]
	v_subrev_co_ci_u32_e64 v3, null, 0, v3, s0
	s_delay_alu instid0(VALU_DEP_3) | instskip(SKIP_1) | instid1(VALU_DEP_3)
	v_cmp_le_u32_e32 vcc_lo, s30, v8
	v_cndmask_b32_e64 v8, 0, -1, vcc_lo
	v_cmp_le_u32_e32 vcc_lo, s31, v3
	v_cndmask_b32_e64 v9, 0, -1, vcc_lo
	;; [unrolled: 2-line block ×4, first 2 shown]
	v_cmp_eq_u32_e32 vcc_lo, s31, v3
	v_cndmask_b32_e32 v3, v9, v8, vcc_lo
	v_cmp_eq_u32_e32 vcc_lo, s31, v12
	v_add_nc_u64_e32 v[8:9], 2, v[4:5]
	v_cndmask_b32_e32 v7, v13, v7, vcc_lo
	s_delay_alu instid0(VALU_DEP_4) | instskip(NEXT) | instid1(VALU_DEP_3)
	v_cmp_ne_u32_e32 vcc_lo, 0, v3
	v_cndmask_b32_e32 v3, v11, v9, vcc_lo
	s_delay_alu instid0(VALU_DEP_3) | instskip(SKIP_1) | instid1(VALU_DEP_2)
	v_cmp_ne_u32_e64 s0, 0, v7
	v_dual_cndmask_b32 v7, v10, v8, vcc_lo :: v_dual_bitop2_b32 v6, s26, v6 bitop3:0x14
	v_cndmask_b32_e64 v3, v5, v3, s0
	s_delay_alu instid0(VALU_DEP_2) | instskip(NEXT) | instid1(VALU_DEP_2)
	v_dual_cndmask_b32 v4, v4, v7, s0 :: v_dual_mov_b32 v7, v6
	v_xor_b32_e32 v5, v3, v6
	s_delay_alu instid0(VALU_DEP_2) | instskip(NEXT) | instid1(VALU_DEP_1)
	v_xor_b32_e32 v4, v4, v6
	v_sub_nc_u64_e32 v[6:7], v[4:5], v[6:7]
                                        ; implicit-def: $vgpr4_vgpr5
.LBB75_13:                              ;   in Loop: Header=BB75_3 Depth=1
	s_and_not1_saveexec_b32 s0, s1
	s_cbranch_execz .LBB75_15
; %bb.14:                               ;   in Loop: Header=BB75_3 Depth=1
	v_cvt_f32_u32_e32 v3, s20
	s_sub_co_i32 s1, 0, s20
	s_delay_alu instid0(VALU_DEP_1) | instskip(SKIP_1) | instid1(TRANS32_DEP_1)
	v_rcp_iflag_f32_e32 v3, v3
	v_nop
	v_mul_f32_e32 v3, 0x4f7ffffe, v3
	s_delay_alu instid0(VALU_DEP_1) | instskip(NEXT) | instid1(VALU_DEP_1)
	v_cvt_u32_f32_e32 v3, v3
	v_mul_lo_u32 v5, s1, v3
	s_delay_alu instid0(VALU_DEP_1) | instskip(NEXT) | instid1(VALU_DEP_1)
	v_mul_hi_u32 v5, v3, v5
	v_add_nc_u32_e32 v3, v3, v5
	s_delay_alu instid0(VALU_DEP_1) | instskip(NEXT) | instid1(VALU_DEP_1)
	v_mul_hi_u32 v3, v4, v3
	v_mul_lo_u32 v5, v3, s20
	s_delay_alu instid0(VALU_DEP_1) | instskip(NEXT) | instid1(VALU_DEP_1)
	v_dual_sub_nc_u32 v4, v4, v5 :: v_dual_add_nc_u32 v5, 1, v3
	v_subrev_nc_u32_e32 v6, s20, v4
	v_cmp_le_u32_e32 vcc_lo, s20, v4
	s_delay_alu instid0(VALU_DEP_2) | instskip(NEXT) | instid1(VALU_DEP_1)
	v_dual_cndmask_b32 v4, v4, v6 :: v_dual_cndmask_b32 v3, v3, v5
	v_cmp_le_u32_e32 vcc_lo, s20, v4
	s_delay_alu instid0(VALU_DEP_2) | instskip(NEXT) | instid1(VALU_DEP_1)
	v_add_nc_u32_e32 v5, 1, v3
	v_cndmask_b32_e32 v6, v3, v5, vcc_lo
.LBB75_15:                              ;   in Loop: Header=BB75_3 Depth=1
	s_or_b32 exec_lo, exec_lo, s0
	s_delay_alu instid0(VALU_DEP_1) | instskip(SKIP_2) | instid1(VALU_DEP_2)
	v_dual_ashrrev_i32 v7, 31, v6 :: v_dual_mov_b32 v5, s3
	s_mov_b32 s2, 0
	v_mov_b32_e32 v9, v2
	v_cmp_eq_u64_e32 vcc_lo, s[4:5], v[6:7]
	v_cndmask_b32_e64 v4, 0, 1, vcc_lo
	s_delay_alu instid0(VALU_DEP_1) | instskip(NEXT) | instid1(VALU_DEP_1)
	v_sub_nc_u64_e32 v[4:5], v[6:7], v[4:5]
	v_mul_u64_e32 v[4:5], s[14:15], v[4:5]
	s_delay_alu instid0(VALU_DEP_1) | instskip(NEXT) | instid1(VALU_DEP_1)
	v_lshl_add_u64 v[4:5], v[4:5], 1, s[12:13]
	v_and_b32_e32 v8, 2, v4
	s_delay_alu instid0(VALU_DEP_1) | instskip(SKIP_2) | instid1(VALU_DEP_3)
	v_sub_nc_u64_e32 v[6:7], 0, v[8:9]
	v_cmp_ne_u32_e64 s0, 0, v8
	v_cmp_eq_u64_e32 vcc_lo, 0, v[8:9]
	v_add_nc_u64_e32 v[4:5], v[4:5], v[6:7]
	global_load_b32 v7, v[4:5], off
	s_branch .LBB75_17
.LBB75_16:                              ;   in Loop: Header=BB75_17 Depth=2
	s_or_b32 exec_lo, exec_lo, s1
	global_atomic_cmpswap_b32 v3, v[4:5], v[6:7], off th:TH_ATOMIC_RETURN scope:SCOPE_DEV
	s_wait_loadcnt 0x0
	v_cmp_eq_u32_e64 s1, v7, v3
	v_mov_b32_e32 v7, v3
	s_or_b32 s2, s1, s2
	s_delay_alu instid0(SALU_CYCLE_1)
	s_and_not1_b32 exec_lo, exec_lo, s2
	s_cbranch_execz .LBB75_2
.LBB75_17:                              ;   Parent Loop BB75_3 Depth=1
                                        ; =>  This Inner Loop Header: Depth=2
	s_wait_loadcnt 0x0
	v_lshrrev_b32_e32 v3, 16, v7
	s_delay_alu instid0(VALU_DEP_1) | instskip(NEXT) | instid1(VALU_DEP_1)
	v_cndmask_b32_e32 v3, v3, v7, vcc_lo
	v_add_nc_u32_e32 v3, 1, v3
	s_delay_alu instid0(VALU_DEP_1) | instskip(SKIP_1) | instid1(SALU_CYCLE_1)
	v_and_b32_e32 v3, 0xffff, v3
	s_and_saveexec_b32 s1, s0
	s_xor_b32 s1, exec_lo, s1
; %bb.18:                               ;   in Loop: Header=BB75_17 Depth=2
	v_and_b32_e32 v6, 0xffff, v7
	s_delay_alu instid0(VALU_DEP_1)
	v_lshl_or_b32 v6, v3, 16, v6
                                        ; implicit-def: $vgpr3
; %bb.19:                               ;   in Loop: Header=BB75_17 Depth=2
	s_and_not1_saveexec_b32 s1, s1
	s_cbranch_execz .LBB75_16
; %bb.20:                               ;   in Loop: Header=BB75_17 Depth=2
	v_and_or_b32 v6, 0xffff0000, v7, v3
	s_branch .LBB75_16
.LBB75_21:
	s_endpgm
	.section	.rodata,"a",@progbits
	.p2align	6, 0x0
	.amdhsa_kernel _ZN2at4cuda17kernelHistogram1DIsslLi1ELi2ELin1ELNS0_23CUDAHistogramMemoryTypeE1EZNS0_21CUDA_tensor_histogramIssLb0EEEbNS_6TensorES4_S4_lNS_14AccumulateTypeIT0_Lb1EE4typeES8_NS0_13TensorArgTypeES9_S9_EUllE0_EEvNS0_6detail10TensorInfoIT_T1_EESF_NSC_IKS6_SE_EElS8_S8_SE_T6_
		.amdhsa_group_segment_fixed_size 0
		.amdhsa_private_segment_fixed_size 0
		.amdhsa_kernarg_size 1544
		.amdhsa_user_sgpr_count 2
		.amdhsa_user_sgpr_dispatch_ptr 0
		.amdhsa_user_sgpr_queue_ptr 0
		.amdhsa_user_sgpr_kernarg_segment_ptr 1
		.amdhsa_user_sgpr_dispatch_id 0
		.amdhsa_user_sgpr_kernarg_preload_length 0
		.amdhsa_user_sgpr_kernarg_preload_offset 0
		.amdhsa_user_sgpr_private_segment_size 0
		.amdhsa_wavefront_size32 1
		.amdhsa_uses_dynamic_stack 0
		.amdhsa_enable_private_segment 0
		.amdhsa_system_sgpr_workgroup_id_x 1
		.amdhsa_system_sgpr_workgroup_id_y 0
		.amdhsa_system_sgpr_workgroup_id_z 0
		.amdhsa_system_sgpr_workgroup_info 0
		.amdhsa_system_vgpr_workitem_id 0
		.amdhsa_next_free_vgpr 22
		.amdhsa_next_free_sgpr 51
		.amdhsa_named_barrier_count 0
		.amdhsa_reserve_vcc 1
		.amdhsa_float_round_mode_32 0
		.amdhsa_float_round_mode_16_64 0
		.amdhsa_float_denorm_mode_32 3
		.amdhsa_float_denorm_mode_16_64 3
		.amdhsa_fp16_overflow 0
		.amdhsa_memory_ordered 1
		.amdhsa_forward_progress 1
		.amdhsa_inst_pref_size 18
		.amdhsa_round_robin_scheduling 0
		.amdhsa_exception_fp_ieee_invalid_op 0
		.amdhsa_exception_fp_denorm_src 0
		.amdhsa_exception_fp_ieee_div_zero 0
		.amdhsa_exception_fp_ieee_overflow 0
		.amdhsa_exception_fp_ieee_underflow 0
		.amdhsa_exception_fp_ieee_inexact 0
		.amdhsa_exception_int_div_zero 0
	.end_amdhsa_kernel
	.section	.text._ZN2at4cuda17kernelHistogram1DIsslLi1ELi2ELin1ELNS0_23CUDAHistogramMemoryTypeE1EZNS0_21CUDA_tensor_histogramIssLb0EEEbNS_6TensorES4_S4_lNS_14AccumulateTypeIT0_Lb1EE4typeES8_NS0_13TensorArgTypeES9_S9_EUllE0_EEvNS0_6detail10TensorInfoIT_T1_EESF_NSC_IKS6_SE_EElS8_S8_SE_T6_,"axG",@progbits,_ZN2at4cuda17kernelHistogram1DIsslLi1ELi2ELin1ELNS0_23CUDAHistogramMemoryTypeE1EZNS0_21CUDA_tensor_histogramIssLb0EEEbNS_6TensorES4_S4_lNS_14AccumulateTypeIT0_Lb1EE4typeES8_NS0_13TensorArgTypeES9_S9_EUllE0_EEvNS0_6detail10TensorInfoIT_T1_EESF_NSC_IKS6_SE_EElS8_S8_SE_T6_,comdat
.Lfunc_end75:
	.size	_ZN2at4cuda17kernelHistogram1DIsslLi1ELi2ELin1ELNS0_23CUDAHistogramMemoryTypeE1EZNS0_21CUDA_tensor_histogramIssLb0EEEbNS_6TensorES4_S4_lNS_14AccumulateTypeIT0_Lb1EE4typeES8_NS0_13TensorArgTypeES9_S9_EUllE0_EEvNS0_6detail10TensorInfoIT_T1_EESF_NSC_IKS6_SE_EElS8_S8_SE_T6_, .Lfunc_end75-_ZN2at4cuda17kernelHistogram1DIsslLi1ELi2ELin1ELNS0_23CUDAHistogramMemoryTypeE1EZNS0_21CUDA_tensor_histogramIssLb0EEEbNS_6TensorES4_S4_lNS_14AccumulateTypeIT0_Lb1EE4typeES8_NS0_13TensorArgTypeES9_S9_EUllE0_EEvNS0_6detail10TensorInfoIT_T1_EESF_NSC_IKS6_SE_EElS8_S8_SE_T6_
                                        ; -- End function
	.set _ZN2at4cuda17kernelHistogram1DIsslLi1ELi2ELin1ELNS0_23CUDAHistogramMemoryTypeE1EZNS0_21CUDA_tensor_histogramIssLb0EEEbNS_6TensorES4_S4_lNS_14AccumulateTypeIT0_Lb1EE4typeES8_NS0_13TensorArgTypeES9_S9_EUllE0_EEvNS0_6detail10TensorInfoIT_T1_EESF_NSC_IKS6_SE_EElS8_S8_SE_T6_.num_vgpr, 22
	.set _ZN2at4cuda17kernelHistogram1DIsslLi1ELi2ELin1ELNS0_23CUDAHistogramMemoryTypeE1EZNS0_21CUDA_tensor_histogramIssLb0EEEbNS_6TensorES4_S4_lNS_14AccumulateTypeIT0_Lb1EE4typeES8_NS0_13TensorArgTypeES9_S9_EUllE0_EEvNS0_6detail10TensorInfoIT_T1_EESF_NSC_IKS6_SE_EElS8_S8_SE_T6_.num_agpr, 0
	.set _ZN2at4cuda17kernelHistogram1DIsslLi1ELi2ELin1ELNS0_23CUDAHistogramMemoryTypeE1EZNS0_21CUDA_tensor_histogramIssLb0EEEbNS_6TensorES4_S4_lNS_14AccumulateTypeIT0_Lb1EE4typeES8_NS0_13TensorArgTypeES9_S9_EUllE0_EEvNS0_6detail10TensorInfoIT_T1_EESF_NSC_IKS6_SE_EElS8_S8_SE_T6_.numbered_sgpr, 51
	.set _ZN2at4cuda17kernelHistogram1DIsslLi1ELi2ELin1ELNS0_23CUDAHistogramMemoryTypeE1EZNS0_21CUDA_tensor_histogramIssLb0EEEbNS_6TensorES4_S4_lNS_14AccumulateTypeIT0_Lb1EE4typeES8_NS0_13TensorArgTypeES9_S9_EUllE0_EEvNS0_6detail10TensorInfoIT_T1_EESF_NSC_IKS6_SE_EElS8_S8_SE_T6_.num_named_barrier, 0
	.set _ZN2at4cuda17kernelHistogram1DIsslLi1ELi2ELin1ELNS0_23CUDAHistogramMemoryTypeE1EZNS0_21CUDA_tensor_histogramIssLb0EEEbNS_6TensorES4_S4_lNS_14AccumulateTypeIT0_Lb1EE4typeES8_NS0_13TensorArgTypeES9_S9_EUllE0_EEvNS0_6detail10TensorInfoIT_T1_EESF_NSC_IKS6_SE_EElS8_S8_SE_T6_.private_seg_size, 0
	.set _ZN2at4cuda17kernelHistogram1DIsslLi1ELi2ELin1ELNS0_23CUDAHistogramMemoryTypeE1EZNS0_21CUDA_tensor_histogramIssLb0EEEbNS_6TensorES4_S4_lNS_14AccumulateTypeIT0_Lb1EE4typeES8_NS0_13TensorArgTypeES9_S9_EUllE0_EEvNS0_6detail10TensorInfoIT_T1_EESF_NSC_IKS6_SE_EElS8_S8_SE_T6_.uses_vcc, 1
	.set _ZN2at4cuda17kernelHistogram1DIsslLi1ELi2ELin1ELNS0_23CUDAHistogramMemoryTypeE1EZNS0_21CUDA_tensor_histogramIssLb0EEEbNS_6TensorES4_S4_lNS_14AccumulateTypeIT0_Lb1EE4typeES8_NS0_13TensorArgTypeES9_S9_EUllE0_EEvNS0_6detail10TensorInfoIT_T1_EESF_NSC_IKS6_SE_EElS8_S8_SE_T6_.uses_flat_scratch, 0
	.set _ZN2at4cuda17kernelHistogram1DIsslLi1ELi2ELin1ELNS0_23CUDAHistogramMemoryTypeE1EZNS0_21CUDA_tensor_histogramIssLb0EEEbNS_6TensorES4_S4_lNS_14AccumulateTypeIT0_Lb1EE4typeES8_NS0_13TensorArgTypeES9_S9_EUllE0_EEvNS0_6detail10TensorInfoIT_T1_EESF_NSC_IKS6_SE_EElS8_S8_SE_T6_.has_dyn_sized_stack, 0
	.set _ZN2at4cuda17kernelHistogram1DIsslLi1ELi2ELin1ELNS0_23CUDAHistogramMemoryTypeE1EZNS0_21CUDA_tensor_histogramIssLb0EEEbNS_6TensorES4_S4_lNS_14AccumulateTypeIT0_Lb1EE4typeES8_NS0_13TensorArgTypeES9_S9_EUllE0_EEvNS0_6detail10TensorInfoIT_T1_EESF_NSC_IKS6_SE_EElS8_S8_SE_T6_.has_recursion, 0
	.set _ZN2at4cuda17kernelHistogram1DIsslLi1ELi2ELin1ELNS0_23CUDAHistogramMemoryTypeE1EZNS0_21CUDA_tensor_histogramIssLb0EEEbNS_6TensorES4_S4_lNS_14AccumulateTypeIT0_Lb1EE4typeES8_NS0_13TensorArgTypeES9_S9_EUllE0_EEvNS0_6detail10TensorInfoIT_T1_EESF_NSC_IKS6_SE_EElS8_S8_SE_T6_.has_indirect_call, 0
	.section	.AMDGPU.csdata,"",@progbits
; Kernel info:
; codeLenInByte = 2212
; TotalNumSgprs: 53
; NumVgprs: 22
; ScratchSize: 0
; MemoryBound: 0
; FloatMode: 240
; IeeeMode: 1
; LDSByteSize: 0 bytes/workgroup (compile time only)
; SGPRBlocks: 0
; VGPRBlocks: 1
; NumSGPRsForWavesPerEU: 53
; NumVGPRsForWavesPerEU: 22
; NamedBarCnt: 0
; Occupancy: 16
; WaveLimiterHint : 1
; COMPUTE_PGM_RSRC2:SCRATCH_EN: 0
; COMPUTE_PGM_RSRC2:USER_SGPR: 2
; COMPUTE_PGM_RSRC2:TRAP_HANDLER: 0
; COMPUTE_PGM_RSRC2:TGID_X_EN: 1
; COMPUTE_PGM_RSRC2:TGID_Y_EN: 0
; COMPUTE_PGM_RSRC2:TGID_Z_EN: 0
; COMPUTE_PGM_RSRC2:TIDIG_COMP_CNT: 0
	.section	.text._ZN2at4cuda17kernelHistogram1DIddlLi1ELi2ELin1ELNS0_23CUDAHistogramMemoryTypeE0EZNS0_21CUDA_tensor_histogramIddLb0EEEbNS_6TensorES4_S4_lNS_14AccumulateTypeIT0_Lb1EE4typeES8_NS0_13TensorArgTypeES9_S9_EUllE_EEvNS0_6detail10TensorInfoIT_T1_EESF_NSC_IKS6_SE_EElS8_S8_SE_T6_,"axG",@progbits,_ZN2at4cuda17kernelHistogram1DIddlLi1ELi2ELin1ELNS0_23CUDAHistogramMemoryTypeE0EZNS0_21CUDA_tensor_histogramIddLb0EEEbNS_6TensorES4_S4_lNS_14AccumulateTypeIT0_Lb1EE4typeES8_NS0_13TensorArgTypeES9_S9_EUllE_EEvNS0_6detail10TensorInfoIT_T1_EESF_NSC_IKS6_SE_EElS8_S8_SE_T6_,comdat
	.protected	_ZN2at4cuda17kernelHistogram1DIddlLi1ELi2ELin1ELNS0_23CUDAHistogramMemoryTypeE0EZNS0_21CUDA_tensor_histogramIddLb0EEEbNS_6TensorES4_S4_lNS_14AccumulateTypeIT0_Lb1EE4typeES8_NS0_13TensorArgTypeES9_S9_EUllE_EEvNS0_6detail10TensorInfoIT_T1_EESF_NSC_IKS6_SE_EElS8_S8_SE_T6_ ; -- Begin function _ZN2at4cuda17kernelHistogram1DIddlLi1ELi2ELin1ELNS0_23CUDAHistogramMemoryTypeE0EZNS0_21CUDA_tensor_histogramIddLb0EEEbNS_6TensorES4_S4_lNS_14AccumulateTypeIT0_Lb1EE4typeES8_NS0_13TensorArgTypeES9_S9_EUllE_EEvNS0_6detail10TensorInfoIT_T1_EESF_NSC_IKS6_SE_EElS8_S8_SE_T6_
	.globl	_ZN2at4cuda17kernelHistogram1DIddlLi1ELi2ELin1ELNS0_23CUDAHistogramMemoryTypeE0EZNS0_21CUDA_tensor_histogramIddLb0EEEbNS_6TensorES4_S4_lNS_14AccumulateTypeIT0_Lb1EE4typeES8_NS0_13TensorArgTypeES9_S9_EUllE_EEvNS0_6detail10TensorInfoIT_T1_EESF_NSC_IKS6_SE_EElS8_S8_SE_T6_
	.p2align	8
	.type	_ZN2at4cuda17kernelHistogram1DIddlLi1ELi2ELin1ELNS0_23CUDAHistogramMemoryTypeE0EZNS0_21CUDA_tensor_histogramIddLb0EEEbNS_6TensorES4_S4_lNS_14AccumulateTypeIT0_Lb1EE4typeES8_NS0_13TensorArgTypeES9_S9_EUllE_EEvNS0_6detail10TensorInfoIT_T1_EESF_NSC_IKS6_SE_EElS8_S8_SE_T6_,@function
_ZN2at4cuda17kernelHistogram1DIddlLi1ELi2ELin1ELNS0_23CUDAHistogramMemoryTypeE0EZNS0_21CUDA_tensor_histogramIddLb0EEEbNS_6TensorES4_S4_lNS_14AccumulateTypeIT0_Lb1EE4typeES8_NS0_13TensorArgTypeES9_S9_EUllE_EEvNS0_6detail10TensorInfoIT_T1_EESF_NSC_IKS6_SE_EElS8_S8_SE_T6_: ; @_ZN2at4cuda17kernelHistogram1DIddlLi1ELi2ELin1ELNS0_23CUDAHistogramMemoryTypeE0EZNS0_21CUDA_tensor_histogramIddLb0EEEbNS_6TensorES4_S4_lNS_14AccumulateTypeIT0_Lb1EE4typeES8_NS0_13TensorArgTypeES9_S9_EUllE_EEvNS0_6detail10TensorInfoIT_T1_EESF_NSC_IKS6_SE_EElS8_S8_SE_T6_
; %bb.0:
	s_clause 0x2
	s_load_b128 s[12:15], s[0:1], 0x0
	s_load_b64 s[16:17], s[0:1], 0x500
	s_load_b256 s[4:11], s[0:1], 0x4e0
	v_mov_b32_e32 v1, 0
	s_add_nc_u64 s[24:25], s[0:1], 0x6a0
	s_mov_b32 s3, exec_lo
                                        ; implicit-def: $sgpr18
                                        ; implicit-def: $sgpr19
	s_wait_kmcnt 0x0
	s_delay_alu instid0(VALU_DEP_1)
	v_cmp_gt_i64_e64 s2, s[14:15], v[0:1]
	v_cmpx_le_i64_e64 s[14:15], v[0:1]
	s_xor_b32 s3, exec_lo, s3
	s_cbranch_execz .LBB76_2
; %bb.1:
	s_load_b32 s18, s[24:25], 0xc
	s_wait_kmcnt 0x0
	s_and_b32 s19, s18, 0xffff
.LBB76_2:
	s_or_saveexec_b32 s3, s3
	v_dual_mov_b32 v20, s18 :: v_dual_mov_b32 v19, s19
	v_lshl_add_u32 v18, v0, 3, 0
	s_xor_b32 exec_lo, exec_lo, s3
	s_cbranch_execz .LBB76_6
; %bb.3:
	s_load_b32 s20, s[24:25], 0xc
	v_mov_b64_e32 v[2:3], 0
	v_mov_b64_e32 v[4:5], v[0:1]
	v_lshl_add_u32 v6, v0, 3, 0
	s_mov_b32 s19, 0
	s_delay_alu instid0(SALU_CYCLE_1) | instskip(SKIP_2) | instid1(SALU_CYCLE_1)
	s_mov_b32 s21, s19
	s_wait_kmcnt 0x0
	s_and_b32 s18, s20, 0xffff
	s_lshl_b32 s22, s18, 3
.LBB76_4:                               ; =>This Inner Loop Header: Depth=1
	v_add_nc_u64_e32 v[4:5], s[18:19], v[4:5]
	ds_store_b64 v6, v[2:3]
	v_add_nc_u32_e32 v6, s22, v6
	v_cmp_le_i64_e32 vcc_lo, s[14:15], v[4:5]
	s_or_b32 s21, vcc_lo, s21
	s_delay_alu instid0(SALU_CYCLE_1)
	s_and_not1_b32 exec_lo, exec_lo, s21
	s_cbranch_execnz .LBB76_4
; %bb.5:
	s_or_b32 exec_lo, exec_lo, s21
	v_dual_mov_b32 v20, s20 :: v_dual_mov_b32 v19, s18
.LBB76_6:
	s_or_b32 exec_lo, exec_lo, s3
	s_bfe_u32 s3, ttmp6, 0x4000c
	s_clause 0x1
	s_load_b64 s[18:19], s[0:1], 0xd0
	s_load_b64 s[20:21], s[0:1], 0x5d0
	s_add_co_i32 s3, s3, 1
	s_and_b32 s22, ttmp6, 15
	s_mul_i32 s3, ttmp9, s3
	s_getreg_b32 s23, hwreg(HW_REG_IB_STS2, 6, 4)
	s_add_co_i32 s22, s22, s3
	s_cmp_eq_u32 s23, 0
	v_mov_b32_e32 v4, 0
	s_cselect_b32 s3, ttmp9, s22
	s_mov_b32 s23, 0
	v_mad_u32 v2, s3, v19, v0
	s_mov_b32 s3, exec_lo
	v_mov_b32_e32 v3, v4
	s_wait_dscnt 0x0
	s_barrier_signal -1
	s_barrier_wait -1
	s_delay_alu instid0(VALU_DEP_1)
	v_cmpx_gt_i64_e64 s[10:11], v[2:3]
	s_cbranch_execz .LBB76_18
; %bb.7:
	v_cvt_f64_i32_e32 v[6:7], s5
	v_cvt_f64_u32_e32 v[8:9], s4
	s_load_b32 s33, s[0:1], 0x4d8
	s_load_b32 s22, s[24:25], 0x0
	s_wait_xcnt 0x0
	s_clause 0x1
	s_load_b64 s[24:25], s[0:1], 0x410
	s_load_b64 s[26:27], s[0:1], 0x340
	s_add_nc_u64 s[30:31], s[0:1], 0x340
	s_mov_b64 s[28:29], 0xffffffff
	s_mov_b32 s42, 0
	v_mov_b32_e32 v11, v4
	s_wait_kmcnt 0x0
	s_cmp_gt_i32 s33, 1
	v_mul_lo_u32 v10, s22, v19
	s_cselect_b32 s1, -1, 0
	s_add_co_i32 s22, s33, -1
	s_add_co_i32 s33, s33, 1
	s_lshl_b64 s[34:35], s[22:23], 3
	s_delay_alu instid0(SALU_CYCLE_1) | instskip(NEXT) | instid1(SALU_CYCLE_1)
	s_add_nc_u64 s[30:31], s[30:31], s[34:35]
	s_add_nc_u64 s[30:31], s[30:31], 8
	s_delay_alu instid0(VALU_DEP_4) | instskip(NEXT) | instid1(VALU_DEP_1)
	v_ldexp_f64 v[6:7], v[6:7], 32
	v_add_f64_e32 v[6:7], v[6:7], v[8:9]
	v_add_f64_e64 v[8:9], s[8:9], -s[6:7]
	s_branch .LBB76_9
.LBB76_8:                               ;   in Loop: Header=BB76_9 Depth=1
	s_wait_xcnt 0x0
	s_or_b32 exec_lo, exec_lo, s0
	v_add_nc_u64_e32 v[2:3], v[2:3], v[10:11]
	s_delay_alu instid0(VALU_DEP_1) | instskip(SKIP_1) | instid1(SALU_CYCLE_1)
	v_cmp_le_i64_e32 vcc_lo, s[10:11], v[2:3]
	s_or_b32 s42, vcc_lo, s42
	s_and_not1_b32 exec_lo, exec_lo, s42
	s_cbranch_execz .LBB76_18
.LBB76_9:                               ; =>This Loop Header: Depth=1
                                        ;     Child Loop BB76_10 Depth 2
	v_mov_b64_e32 v[12:13], 0
	v_mov_b64_e32 v[14:15], v[2:3]
	;; [unrolled: 1-line block ×3, first 2 shown]
	s_and_not1_b32 vcc_lo, exec_lo, s1
	s_mov_b64 s[34:35], s[30:31]
	s_mov_b32 s43, s33
	s_cbranch_vccnz .LBB76_16
.LBB76_10:                              ;   Parent Loop BB76_9 Depth=1
                                        ; =>  This Inner Loop Header: Depth=2
	s_load_b64 s[36:37], s[34:35], 0x0
                                        ; implicit-def: $vgpr16_vgpr17
	s_mov_b32 s0, exec_lo
	s_wait_kmcnt 0x0
	s_delay_alu instid0(VALU_DEP_1) | instskip(NEXT) | instid1(VALU_DEP_1)
	v_or_b32_e32 v5, s37, v15
	v_cmpx_ne_u64_e32 0, v[4:5]
	s_xor_b32 s44, exec_lo, s0
	s_cbranch_execz .LBB76_12
; %bb.11:                               ;   in Loop: Header=BB76_10 Depth=2
	s_ashr_i32 s38, s37, 31
	v_dual_mov_b32 v25, v4 :: v_dual_ashrrev_i32 v16, 31, v15
	s_mov_b32 s39, s38
	v_mov_b32_e32 v33, v4
	s_add_nc_u64 s[40:41], s[36:37], s[38:39]
	s_delay_alu instid0(VALU_DEP_2) | instskip(SKIP_1) | instid1(SALU_CYCLE_1)
	v_mov_b32_e32 v17, v16
	s_xor_b64 s[40:41], s[40:41], s[38:39]
	s_cvt_f32_u32 s0, s40
	s_cvt_f32_u32 s22, s41
	s_sub_nc_u64 s[48:49], 0, s[40:41]
	v_add_nc_u64_e32 v[22:23], v[14:15], v[16:17]
	v_mov_b32_e32 v29, v4
	s_fmamk_f32 s0, s22, 0x4f800000, s0
	s_delay_alu instid0(SALU_CYCLE_3) | instskip(NEXT) | instid1(VALU_DEP_2)
	v_s_rcp_f32 s0, s0
	v_xor_b32_e32 v24, v22, v16
	s_delay_alu instid0(VALU_DEP_3) | instskip(SKIP_1) | instid1(TRANS32_DEP_1)
	v_xor_b32_e32 v28, v23, v16
	v_xor_b32_e32 v16, s38, v16
	s_mul_f32 s0, s0, 0x5f7ffffc
	s_delay_alu instid0(SALU_CYCLE_3) | instskip(NEXT) | instid1(SALU_CYCLE_3)
	s_mul_f32 s22, s0, 0x2f800000
	s_trunc_f32 s22, s22
	s_delay_alu instid0(SALU_CYCLE_3) | instskip(SKIP_1) | instid1(SALU_CYCLE_2)
	s_fmamk_f32 s0, s22, 0xcf800000, s0
	s_cvt_u32_f32 s47, s22
	s_cvt_u32_f32 s46, s0
	s_delay_alu instid0(SALU_CYCLE_3) | instskip(NEXT) | instid1(SALU_CYCLE_1)
	s_mul_u64 s[50:51], s[48:49], s[46:47]
	s_mul_hi_u32 s53, s46, s51
	s_mul_i32 s52, s46, s51
	s_mul_hi_u32 s22, s46, s50
	s_mul_i32 s39, s47, s50
	s_add_nc_u64 s[52:53], s[22:23], s[52:53]
	s_mul_hi_u32 s0, s47, s50
	s_mul_hi_u32 s45, s47, s51
	s_add_co_u32 s22, s52, s39
	s_add_co_ci_u32 s22, s53, s0
	s_mul_i32 s50, s47, s51
	s_add_co_ci_u32 s51, s45, 0
	s_delay_alu instid0(SALU_CYCLE_1) | instskip(NEXT) | instid1(SALU_CYCLE_1)
	s_add_nc_u64 s[50:51], s[22:23], s[50:51]
	s_add_co_u32 s46, s46, s50
	s_cselect_b32 s0, -1, 0
	s_delay_alu instid0(SALU_CYCLE_1) | instskip(SKIP_1) | instid1(SALU_CYCLE_1)
	s_cmp_lg_u32 s0, 0
	s_add_co_ci_u32 s47, s47, s51
	s_mul_u64 s[48:49], s[48:49], s[46:47]
	s_delay_alu instid0(SALU_CYCLE_1)
	s_mul_hi_u32 s51, s46, s49
	s_mul_i32 s50, s46, s49
	s_mul_hi_u32 s22, s46, s48
	s_mul_i32 s39, s47, s48
	s_add_nc_u64 s[50:51], s[22:23], s[50:51]
	s_mul_hi_u32 s0, s47, s48
	s_mul_hi_u32 s45, s47, s49
	s_add_co_u32 s22, s50, s39
	s_add_co_ci_u32 s22, s51, s0
	s_mul_i32 s48, s47, s49
	s_add_co_ci_u32 s49, s45, 0
	s_delay_alu instid0(SALU_CYCLE_1) | instskip(NEXT) | instid1(SALU_CYCLE_1)
	s_add_nc_u64 s[48:49], s[22:23], s[48:49]
	s_add_co_u32 s0, s46, s48
	s_cselect_b32 s22, -1, 0
	v_mul_hi_u32 v32, v24, s0
	s_cmp_lg_u32 s22, 0
	s_add_co_ci_u32 s22, s47, s49
	s_and_b64 s[46:47], s[0:1], s[28:29]
	v_mul_u64_e32 v[26:27], s[22:23], v[24:25]
	v_mul_u64_e32 v[22:23], s[46:47], v[28:29]
	;; [unrolled: 1-line block ×3, first 2 shown]
	s_delay_alu instid0(VALU_DEP_3) | instskip(NEXT) | instid1(VALU_DEP_1)
	v_add_nc_u64_e32 v[26:27], v[32:33], v[26:27]
	v_add_co_u32 v5, vcc_lo, v26, v22
	s_delay_alu instid0(VALU_DEP_2) | instskip(NEXT) | instid1(VALU_DEP_4)
	v_add_co_ci_u32_e32 v32, vcc_lo, v27, v23, vcc_lo
	v_add_co_ci_u32_e32 v31, vcc_lo, 0, v31, vcc_lo
	s_delay_alu instid0(VALU_DEP_1) | instskip(NEXT) | instid1(VALU_DEP_1)
	v_add_nc_u64_e32 v[22:23], v[32:33], v[30:31]
	v_mul_u64_e32 v[26:27], s[40:41], v[22:23]
	s_delay_alu instid0(VALU_DEP_1) | instskip(NEXT) | instid1(VALU_DEP_2)
	v_sub_nc_u32_e32 v5, v28, v27
	v_sub_co_u32 v17, vcc_lo, v24, v26
	s_delay_alu instid0(VALU_DEP_1) | instskip(NEXT) | instid1(VALU_DEP_3)
	v_sub_co_ci_u32_e64 v28, null, v28, v27, vcc_lo
	v_subrev_co_ci_u32_e64 v5, null, s41, v5, vcc_lo
	s_delay_alu instid0(VALU_DEP_3) | instskip(SKIP_1) | instid1(VALU_DEP_3)
	v_sub_co_u32 v21, s0, v17, s40
	v_add_nc_u64_e32 v[26:27], 1, v[22:23]
	v_subrev_co_ci_u32_e64 v5, null, 0, v5, s0
	s_delay_alu instid0(VALU_DEP_3) | instskip(SKIP_1) | instid1(VALU_DEP_3)
	v_cmp_le_u32_e32 vcc_lo, s40, v21
	v_cndmask_b32_e64 v21, 0, -1, vcc_lo
	v_cmp_le_u32_e32 vcc_lo, s41, v5
	v_cndmask_b32_e64 v24, 0, -1, vcc_lo
	;; [unrolled: 2-line block ×4, first 2 shown]
	v_cmp_eq_u32_e32 vcc_lo, s41, v5
	v_cndmask_b32_e32 v5, v24, v21, vcc_lo
	v_cmp_eq_u32_e32 vcc_lo, s41, v28
	v_add_nc_u64_e32 v[24:25], 2, v[22:23]
	v_cndmask_b32_e32 v17, v29, v17, vcc_lo
	s_delay_alu instid0(VALU_DEP_4) | instskip(NEXT) | instid1(VALU_DEP_2)
	v_cmp_ne_u32_e32 vcc_lo, 0, v5
	v_cmp_ne_u32_e64 s0, 0, v17
	s_delay_alu instid0(VALU_DEP_4) | instskip(NEXT) | instid1(VALU_DEP_1)
	v_dual_cndmask_b32 v5, v27, v25, vcc_lo :: v_dual_cndmask_b32 v17, v26, v24, vcc_lo
	v_dual_cndmask_b32 v21, v22, v17, s0 :: v_dual_mov_b32 v17, v16
	s_delay_alu instid0(VALU_DEP_1) | instskip(NEXT) | instid1(VALU_DEP_1)
	v_dual_cndmask_b32 v5, v23, v5, s0 :: v_dual_bitop2_b32 v22, v21, v16 bitop3:0x14
	v_xor_b32_e32 v23, v5, v16
	s_delay_alu instid0(VALU_DEP_1)
	v_sub_nc_u64_e32 v[16:17], v[22:23], v[16:17]
.LBB76_12:                              ;   in Loop: Header=BB76_10 Depth=2
	s_and_not1_saveexec_b32 s0, s44
	s_cbranch_execz .LBB76_14
; %bb.13:                               ;   in Loop: Header=BB76_10 Depth=2
	v_cvt_f32_u32_e32 v5, s36
	s_sub_co_i32 s22, 0, s36
	s_delay_alu instid0(VALU_DEP_1) | instskip(SKIP_1) | instid1(TRANS32_DEP_1)
	v_rcp_iflag_f32_e32 v5, v5
	v_nop
	v_mul_f32_e32 v5, 0x4f7ffffe, v5
	s_delay_alu instid0(VALU_DEP_1) | instskip(NEXT) | instid1(VALU_DEP_1)
	v_cvt_u32_f32_e32 v5, v5
	v_mul_lo_u32 v16, s22, v5
	s_delay_alu instid0(VALU_DEP_1) | instskip(NEXT) | instid1(VALU_DEP_1)
	v_mul_hi_u32 v16, v5, v16
	v_add_nc_u32_e32 v5, v5, v16
	s_delay_alu instid0(VALU_DEP_1) | instskip(NEXT) | instid1(VALU_DEP_1)
	v_mul_hi_u32 v5, v14, v5
	v_mul_lo_u32 v16, v5, s36
	s_delay_alu instid0(VALU_DEP_1) | instskip(NEXT) | instid1(VALU_DEP_1)
	v_dual_add_nc_u32 v17, 1, v5 :: v_dual_sub_nc_u32 v16, v14, v16
	v_subrev_nc_u32_e32 v21, s36, v16
	v_cmp_le_u32_e32 vcc_lo, s36, v16
	s_delay_alu instid0(VALU_DEP_2) | instskip(NEXT) | instid1(VALU_DEP_4)
	v_cndmask_b32_e32 v16, v16, v21, vcc_lo
	v_cndmask_b32_e32 v5, v5, v17, vcc_lo
	s_delay_alu instid0(VALU_DEP_2) | instskip(NEXT) | instid1(VALU_DEP_2)
	v_cmp_le_u32_e32 vcc_lo, s36, v16
	v_add_nc_u32_e32 v17, 1, v5
	s_delay_alu instid0(VALU_DEP_1)
	v_dual_cndmask_b32 v16, v5, v17 :: v_dual_mov_b32 v17, v4
.LBB76_14:                              ;   in Loop: Header=BB76_10 Depth=2
	s_or_b32 exec_lo, exec_lo, s0
	s_delay_alu instid0(VALU_DEP_1)
	v_mul_u64_e32 v[22:23], s[36:37], v[16:17]
	s_load_b64 s[36:37], s[34:35], 0xc8
	s_add_co_i32 s43, s43, -1
	s_wait_xcnt 0x0
	s_add_nc_u64 s[34:35], s[34:35], -8
	s_cmp_gt_u32 s43, 2
	s_delay_alu instid0(VALU_DEP_1) | instskip(SKIP_1) | instid1(VALU_DEP_1)
	v_sub_nc_u64_e32 v[14:15], v[14:15], v[22:23]
	s_wait_kmcnt 0x0
	v_mad_nc_u64_u32 v[12:13], s36, v14, v[12:13]
	s_delay_alu instid0(VALU_DEP_1) | instskip(NEXT) | instid1(VALU_DEP_1)
	v_mad_u32 v5, s37, v14, v13
	v_mad_u32 v13, s36, v15, v5
	s_cbranch_scc0 .LBB76_16
; %bb.15:                               ;   in Loop: Header=BB76_10 Depth=2
	v_mov_b64_e32 v[14:15], v[16:17]
	s_branch .LBB76_10
.LBB76_16:                              ;   in Loop: Header=BB76_9 Depth=1
	s_delay_alu instid0(VALU_DEP_1) | instskip(NEXT) | instid1(VALU_DEP_1)
	v_mul_u64_e32 v[14:15], s[24:25], v[16:17]
	v_lshl_add_u64 v[14:15], v[14:15], 3, s[26:27]
	s_delay_alu instid0(VALU_DEP_1)
	v_lshl_add_u64 v[12:13], v[12:13], 3, v[14:15]
	global_load_b64 v[12:13], v[12:13], off
	s_wait_loadcnt 0x0
	v_cmp_le_f64_e32 vcc_lo, s[6:7], v[12:13]
	v_cmp_ge_f64_e64 s0, s[8:9], v[12:13]
	s_and_b32 s22, vcc_lo, s0
	s_wait_xcnt 0x0
	s_and_saveexec_b32 s0, s22
	s_cbranch_execz .LBB76_8
; %bb.17:                               ;   in Loop: Header=BB76_9 Depth=1
	v_add_f64_e64 v[12:13], v[12:13], -s[6:7]
	v_mul_u64_e32 v[16:17], s[20:21], v[2:3]
	s_delay_alu instid0(VALU_DEP_2) | instskip(NEXT) | instid1(VALU_DEP_2)
	v_mul_f64_e32 v[12:13], v[12:13], v[6:7]
	v_lshl_add_u64 v[16:17], v[16:17], 3, s[16:17]
	global_load_b64 v[16:17], v[16:17], off
	v_div_scale_f64 v[14:15], null, v[8:9], v[8:9], v[12:13]
	v_div_scale_f64 v[26:27], vcc_lo, v[12:13], v[8:9], v[12:13]
	s_delay_alu instid0(VALU_DEP_2) | instskip(SKIP_1) | instid1(TRANS32_DEP_1)
	v_rcp_f64_e32 v[22:23], v[14:15]
	v_nop
	v_fma_f64 v[24:25], -v[14:15], v[22:23], 1.0
	s_delay_alu instid0(VALU_DEP_1) | instskip(NEXT) | instid1(VALU_DEP_1)
	v_fmac_f64_e32 v[22:23], v[22:23], v[24:25]
	v_fma_f64 v[24:25], -v[14:15], v[22:23], 1.0
	s_delay_alu instid0(VALU_DEP_1) | instskip(NEXT) | instid1(VALU_DEP_1)
	v_fmac_f64_e32 v[22:23], v[22:23], v[24:25]
	v_mul_f64_e32 v[24:25], v[26:27], v[22:23]
	s_delay_alu instid0(VALU_DEP_1) | instskip(NEXT) | instid1(VALU_DEP_1)
	v_fma_f64 v[14:15], -v[14:15], v[24:25], v[26:27]
	v_div_fmas_f64 v[14:15], v[14:15], v[22:23], v[24:25]
	s_delay_alu instid0(VALU_DEP_1) | instskip(NEXT) | instid1(VALU_DEP_1)
	v_div_fixup_f64 v[12:13], v[14:15], v[8:9], v[12:13]
	v_cvt_i32_f64_e32 v12, v[12:13]
	s_delay_alu instid0(VALU_DEP_1) | instskip(NEXT) | instid1(VALU_DEP_1)
	v_ashrrev_i32_e32 v13, 31, v12
	v_cmp_eq_u64_e32 vcc_lo, s[4:5], v[12:13]
	v_lshlrev_b32_e32 v12, 3, v12
	v_cndmask_b32_e64 v5, 0, -1, vcc_lo
	s_delay_alu instid0(VALU_DEP_1) | instskip(NEXT) | instid1(VALU_DEP_1)
	v_lshlrev_b32_e32 v5, 3, v5
	v_add3_u32 v5, 0, v5, v12
	s_wait_loadcnt 0x0
	ds_add_f64 v5, v[16:17]
	s_branch .LBB76_8
.LBB76_18:
	s_or_b32 exec_lo, exec_lo, s3
; %bb.19:
	s_wait_dscnt 0x0
	s_barrier_signal -1
	s_barrier_wait -1
	s_wait_xcnt 0x0
	s_and_saveexec_b32 s0, s2
	s_cbranch_execz .LBB76_22
; %bb.20:
	s_mov_b32 s0, 0
	v_and_b32_e32 v2, 0xffff, v20
	v_dual_mov_b32 v3, s0 :: v_dual_lshlrev_b32 v8, 3, v19
	s_wait_kmcnt 0x0
	v_mul_u64_e32 v[6:7], s[18:19], v[0:1]
	s_delay_alu instid0(VALU_DEP_2) | instskip(NEXT) | instid1(VALU_DEP_2)
	v_mul_u64_e32 v[4:5], s[18:19], v[2:3]
	v_lshl_add_u64 v[6:7], v[6:7], 3, s[12:13]
	s_delay_alu instid0(VALU_DEP_2)
	v_lshlrev_b64_e32 v[4:5], 3, v[4:5]
.LBB76_21:                              ; =>This Inner Loop Header: Depth=1
	ds_load_b64 v[10:11], v18
	v_add_nc_u64_e32 v[0:1], v[0:1], v[2:3]
	v_add_nc_u32_e32 v18, v18, v8
	s_delay_alu instid0(VALU_DEP_2)
	v_cmp_le_i64_e32 vcc_lo, s[14:15], v[0:1]
	s_or_b32 s0, vcc_lo, s0
	s_wait_dscnt 0x0
	global_atomic_add_f64 v[6:7], v[10:11], off scope:SCOPE_DEV
	s_wait_xcnt 0x0
	v_add_nc_u64_e32 v[6:7], v[6:7], v[4:5]
	s_and_not1_b32 exec_lo, exec_lo, s0
	s_cbranch_execnz .LBB76_21
.LBB76_22:
	s_endpgm
	.section	.rodata,"a",@progbits
	.p2align	6, 0x0
	.amdhsa_kernel _ZN2at4cuda17kernelHistogram1DIddlLi1ELi2ELin1ELNS0_23CUDAHistogramMemoryTypeE0EZNS0_21CUDA_tensor_histogramIddLb0EEEbNS_6TensorES4_S4_lNS_14AccumulateTypeIT0_Lb1EE4typeES8_NS0_13TensorArgTypeES9_S9_EUllE_EEvNS0_6detail10TensorInfoIT_T1_EESF_NSC_IKS6_SE_EElS8_S8_SE_T6_
		.amdhsa_group_segment_fixed_size 0
		.amdhsa_private_segment_fixed_size 0
		.amdhsa_kernarg_size 1952
		.amdhsa_user_sgpr_count 2
		.amdhsa_user_sgpr_dispatch_ptr 0
		.amdhsa_user_sgpr_queue_ptr 0
		.amdhsa_user_sgpr_kernarg_segment_ptr 1
		.amdhsa_user_sgpr_dispatch_id 0
		.amdhsa_user_sgpr_kernarg_preload_length 0
		.amdhsa_user_sgpr_kernarg_preload_offset 0
		.amdhsa_user_sgpr_private_segment_size 0
		.amdhsa_wavefront_size32 1
		.amdhsa_uses_dynamic_stack 0
		.amdhsa_enable_private_segment 0
		.amdhsa_system_sgpr_workgroup_id_x 1
		.amdhsa_system_sgpr_workgroup_id_y 0
		.amdhsa_system_sgpr_workgroup_id_z 0
		.amdhsa_system_sgpr_workgroup_info 0
		.amdhsa_system_vgpr_workitem_id 0
		.amdhsa_next_free_vgpr 34
		.amdhsa_next_free_sgpr 54
		.amdhsa_named_barrier_count 0
		.amdhsa_reserve_vcc 1
		.amdhsa_float_round_mode_32 0
		.amdhsa_float_round_mode_16_64 0
		.amdhsa_float_denorm_mode_32 3
		.amdhsa_float_denorm_mode_16_64 3
		.amdhsa_fp16_overflow 0
		.amdhsa_memory_ordered 1
		.amdhsa_forward_progress 1
		.amdhsa_inst_pref_size 14
		.amdhsa_round_robin_scheduling 0
		.amdhsa_exception_fp_ieee_invalid_op 0
		.amdhsa_exception_fp_denorm_src 0
		.amdhsa_exception_fp_ieee_div_zero 0
		.amdhsa_exception_fp_ieee_overflow 0
		.amdhsa_exception_fp_ieee_underflow 0
		.amdhsa_exception_fp_ieee_inexact 0
		.amdhsa_exception_int_div_zero 0
	.end_amdhsa_kernel
	.section	.text._ZN2at4cuda17kernelHistogram1DIddlLi1ELi2ELin1ELNS0_23CUDAHistogramMemoryTypeE0EZNS0_21CUDA_tensor_histogramIddLb0EEEbNS_6TensorES4_S4_lNS_14AccumulateTypeIT0_Lb1EE4typeES8_NS0_13TensorArgTypeES9_S9_EUllE_EEvNS0_6detail10TensorInfoIT_T1_EESF_NSC_IKS6_SE_EElS8_S8_SE_T6_,"axG",@progbits,_ZN2at4cuda17kernelHistogram1DIddlLi1ELi2ELin1ELNS0_23CUDAHistogramMemoryTypeE0EZNS0_21CUDA_tensor_histogramIddLb0EEEbNS_6TensorES4_S4_lNS_14AccumulateTypeIT0_Lb1EE4typeES8_NS0_13TensorArgTypeES9_S9_EUllE_EEvNS0_6detail10TensorInfoIT_T1_EESF_NSC_IKS6_SE_EElS8_S8_SE_T6_,comdat
.Lfunc_end76:
	.size	_ZN2at4cuda17kernelHistogram1DIddlLi1ELi2ELin1ELNS0_23CUDAHistogramMemoryTypeE0EZNS0_21CUDA_tensor_histogramIddLb0EEEbNS_6TensorES4_S4_lNS_14AccumulateTypeIT0_Lb1EE4typeES8_NS0_13TensorArgTypeES9_S9_EUllE_EEvNS0_6detail10TensorInfoIT_T1_EESF_NSC_IKS6_SE_EElS8_S8_SE_T6_, .Lfunc_end76-_ZN2at4cuda17kernelHistogram1DIddlLi1ELi2ELin1ELNS0_23CUDAHistogramMemoryTypeE0EZNS0_21CUDA_tensor_histogramIddLb0EEEbNS_6TensorES4_S4_lNS_14AccumulateTypeIT0_Lb1EE4typeES8_NS0_13TensorArgTypeES9_S9_EUllE_EEvNS0_6detail10TensorInfoIT_T1_EESF_NSC_IKS6_SE_EElS8_S8_SE_T6_
                                        ; -- End function
	.set _ZN2at4cuda17kernelHistogram1DIddlLi1ELi2ELin1ELNS0_23CUDAHistogramMemoryTypeE0EZNS0_21CUDA_tensor_histogramIddLb0EEEbNS_6TensorES4_S4_lNS_14AccumulateTypeIT0_Lb1EE4typeES8_NS0_13TensorArgTypeES9_S9_EUllE_EEvNS0_6detail10TensorInfoIT_T1_EESF_NSC_IKS6_SE_EElS8_S8_SE_T6_.num_vgpr, 34
	.set _ZN2at4cuda17kernelHistogram1DIddlLi1ELi2ELin1ELNS0_23CUDAHistogramMemoryTypeE0EZNS0_21CUDA_tensor_histogramIddLb0EEEbNS_6TensorES4_S4_lNS_14AccumulateTypeIT0_Lb1EE4typeES8_NS0_13TensorArgTypeES9_S9_EUllE_EEvNS0_6detail10TensorInfoIT_T1_EESF_NSC_IKS6_SE_EElS8_S8_SE_T6_.num_agpr, 0
	.set _ZN2at4cuda17kernelHistogram1DIddlLi1ELi2ELin1ELNS0_23CUDAHistogramMemoryTypeE0EZNS0_21CUDA_tensor_histogramIddLb0EEEbNS_6TensorES4_S4_lNS_14AccumulateTypeIT0_Lb1EE4typeES8_NS0_13TensorArgTypeES9_S9_EUllE_EEvNS0_6detail10TensorInfoIT_T1_EESF_NSC_IKS6_SE_EElS8_S8_SE_T6_.numbered_sgpr, 54
	.set _ZN2at4cuda17kernelHistogram1DIddlLi1ELi2ELin1ELNS0_23CUDAHistogramMemoryTypeE0EZNS0_21CUDA_tensor_histogramIddLb0EEEbNS_6TensorES4_S4_lNS_14AccumulateTypeIT0_Lb1EE4typeES8_NS0_13TensorArgTypeES9_S9_EUllE_EEvNS0_6detail10TensorInfoIT_T1_EESF_NSC_IKS6_SE_EElS8_S8_SE_T6_.num_named_barrier, 0
	.set _ZN2at4cuda17kernelHistogram1DIddlLi1ELi2ELin1ELNS0_23CUDAHistogramMemoryTypeE0EZNS0_21CUDA_tensor_histogramIddLb0EEEbNS_6TensorES4_S4_lNS_14AccumulateTypeIT0_Lb1EE4typeES8_NS0_13TensorArgTypeES9_S9_EUllE_EEvNS0_6detail10TensorInfoIT_T1_EESF_NSC_IKS6_SE_EElS8_S8_SE_T6_.private_seg_size, 0
	.set _ZN2at4cuda17kernelHistogram1DIddlLi1ELi2ELin1ELNS0_23CUDAHistogramMemoryTypeE0EZNS0_21CUDA_tensor_histogramIddLb0EEEbNS_6TensorES4_S4_lNS_14AccumulateTypeIT0_Lb1EE4typeES8_NS0_13TensorArgTypeES9_S9_EUllE_EEvNS0_6detail10TensorInfoIT_T1_EESF_NSC_IKS6_SE_EElS8_S8_SE_T6_.uses_vcc, 1
	.set _ZN2at4cuda17kernelHistogram1DIddlLi1ELi2ELin1ELNS0_23CUDAHistogramMemoryTypeE0EZNS0_21CUDA_tensor_histogramIddLb0EEEbNS_6TensorES4_S4_lNS_14AccumulateTypeIT0_Lb1EE4typeES8_NS0_13TensorArgTypeES9_S9_EUllE_EEvNS0_6detail10TensorInfoIT_T1_EESF_NSC_IKS6_SE_EElS8_S8_SE_T6_.uses_flat_scratch, 0
	.set _ZN2at4cuda17kernelHistogram1DIddlLi1ELi2ELin1ELNS0_23CUDAHistogramMemoryTypeE0EZNS0_21CUDA_tensor_histogramIddLb0EEEbNS_6TensorES4_S4_lNS_14AccumulateTypeIT0_Lb1EE4typeES8_NS0_13TensorArgTypeES9_S9_EUllE_EEvNS0_6detail10TensorInfoIT_T1_EESF_NSC_IKS6_SE_EElS8_S8_SE_T6_.has_dyn_sized_stack, 0
	.set _ZN2at4cuda17kernelHistogram1DIddlLi1ELi2ELin1ELNS0_23CUDAHistogramMemoryTypeE0EZNS0_21CUDA_tensor_histogramIddLb0EEEbNS_6TensorES4_S4_lNS_14AccumulateTypeIT0_Lb1EE4typeES8_NS0_13TensorArgTypeES9_S9_EUllE_EEvNS0_6detail10TensorInfoIT_T1_EESF_NSC_IKS6_SE_EElS8_S8_SE_T6_.has_recursion, 0
	.set _ZN2at4cuda17kernelHistogram1DIddlLi1ELi2ELin1ELNS0_23CUDAHistogramMemoryTypeE0EZNS0_21CUDA_tensor_histogramIddLb0EEEbNS_6TensorES4_S4_lNS_14AccumulateTypeIT0_Lb1EE4typeES8_NS0_13TensorArgTypeES9_S9_EUllE_EEvNS0_6detail10TensorInfoIT_T1_EESF_NSC_IKS6_SE_EElS8_S8_SE_T6_.has_indirect_call, 0
	.section	.AMDGPU.csdata,"",@progbits
; Kernel info:
; codeLenInByte = 1784
; TotalNumSgprs: 56
; NumVgprs: 34
; ScratchSize: 0
; MemoryBound: 0
; FloatMode: 240
; IeeeMode: 1
; LDSByteSize: 0 bytes/workgroup (compile time only)
; SGPRBlocks: 0
; VGPRBlocks: 2
; NumSGPRsForWavesPerEU: 56
; NumVGPRsForWavesPerEU: 34
; NamedBarCnt: 0
; Occupancy: 16
; WaveLimiterHint : 1
; COMPUTE_PGM_RSRC2:SCRATCH_EN: 0
; COMPUTE_PGM_RSRC2:USER_SGPR: 2
; COMPUTE_PGM_RSRC2:TRAP_HANDLER: 0
; COMPUTE_PGM_RSRC2:TGID_X_EN: 1
; COMPUTE_PGM_RSRC2:TGID_Y_EN: 0
; COMPUTE_PGM_RSRC2:TGID_Z_EN: 0
; COMPUTE_PGM_RSRC2:TIDIG_COMP_CNT: 0
	.section	.text._ZN2at4cuda17kernelHistogram1DIddlLi1ELi2ELin1ELNS0_23CUDAHistogramMemoryTypeE1EZNS0_21CUDA_tensor_histogramIddLb0EEEbNS_6TensorES4_S4_lNS_14AccumulateTypeIT0_Lb1EE4typeES8_NS0_13TensorArgTypeES9_S9_EUllE_EEvNS0_6detail10TensorInfoIT_T1_EESF_NSC_IKS6_SE_EElS8_S8_SE_T6_,"axG",@progbits,_ZN2at4cuda17kernelHistogram1DIddlLi1ELi2ELin1ELNS0_23CUDAHistogramMemoryTypeE1EZNS0_21CUDA_tensor_histogramIddLb0EEEbNS_6TensorES4_S4_lNS_14AccumulateTypeIT0_Lb1EE4typeES8_NS0_13TensorArgTypeES9_S9_EUllE_EEvNS0_6detail10TensorInfoIT_T1_EESF_NSC_IKS6_SE_EElS8_S8_SE_T6_,comdat
	.protected	_ZN2at4cuda17kernelHistogram1DIddlLi1ELi2ELin1ELNS0_23CUDAHistogramMemoryTypeE1EZNS0_21CUDA_tensor_histogramIddLb0EEEbNS_6TensorES4_S4_lNS_14AccumulateTypeIT0_Lb1EE4typeES8_NS0_13TensorArgTypeES9_S9_EUllE_EEvNS0_6detail10TensorInfoIT_T1_EESF_NSC_IKS6_SE_EElS8_S8_SE_T6_ ; -- Begin function _ZN2at4cuda17kernelHistogram1DIddlLi1ELi2ELin1ELNS0_23CUDAHistogramMemoryTypeE1EZNS0_21CUDA_tensor_histogramIddLb0EEEbNS_6TensorES4_S4_lNS_14AccumulateTypeIT0_Lb1EE4typeES8_NS0_13TensorArgTypeES9_S9_EUllE_EEvNS0_6detail10TensorInfoIT_T1_EESF_NSC_IKS6_SE_EElS8_S8_SE_T6_
	.globl	_ZN2at4cuda17kernelHistogram1DIddlLi1ELi2ELin1ELNS0_23CUDAHistogramMemoryTypeE1EZNS0_21CUDA_tensor_histogramIddLb0EEEbNS_6TensorES4_S4_lNS_14AccumulateTypeIT0_Lb1EE4typeES8_NS0_13TensorArgTypeES9_S9_EUllE_EEvNS0_6detail10TensorInfoIT_T1_EESF_NSC_IKS6_SE_EElS8_S8_SE_T6_
	.p2align	8
	.type	_ZN2at4cuda17kernelHistogram1DIddlLi1ELi2ELin1ELNS0_23CUDAHistogramMemoryTypeE1EZNS0_21CUDA_tensor_histogramIddLb0EEEbNS_6TensorES4_S4_lNS_14AccumulateTypeIT0_Lb1EE4typeES8_NS0_13TensorArgTypeES9_S9_EUllE_EEvNS0_6detail10TensorInfoIT_T1_EESF_NSC_IKS6_SE_EElS8_S8_SE_T6_,@function
_ZN2at4cuda17kernelHistogram1DIddlLi1ELi2ELin1ELNS0_23CUDAHistogramMemoryTypeE1EZNS0_21CUDA_tensor_histogramIddLb0EEEbNS_6TensorES4_S4_lNS_14AccumulateTypeIT0_Lb1EE4typeES8_NS0_13TensorArgTypeES9_S9_EUllE_EEvNS0_6detail10TensorInfoIT_T1_EESF_NSC_IKS6_SE_EElS8_S8_SE_T6_: ; @_ZN2at4cuda17kernelHistogram1DIddlLi1ELi2ELin1ELNS0_23CUDAHistogramMemoryTypeE1EZNS0_21CUDA_tensor_histogramIddLb0EEEbNS_6TensorES4_S4_lNS_14AccumulateTypeIT0_Lb1EE4typeES8_NS0_13TensorArgTypeES9_S9_EUllE_EEvNS0_6detail10TensorInfoIT_T1_EESF_NSC_IKS6_SE_EElS8_S8_SE_T6_
; %bb.0:
	s_load_b32 s2, s[0:1], 0x6ac
	s_bfe_u32 s12, ttmp6, 0x4000c
	s_load_b256 s[4:11], s[0:1], 0x4e0
	s_add_co_i32 s12, s12, 1
	s_and_b32 s3, ttmp6, 15
	s_mul_i32 s12, ttmp9, s12
	s_getreg_b32 s13, hwreg(HW_REG_IB_STS2, 6, 4)
	s_add_co_i32 s3, s3, s12
	v_mov_b32_e32 v2, 0
	s_mov_b32 s12, exec_lo
	s_delay_alu instid0(VALU_DEP_1) | instskip(SKIP_4) | instid1(SALU_CYCLE_1)
	v_mov_b32_e32 v1, v2
	s_wait_kmcnt 0x0
	s_and_b32 s2, s2, 0xffff
	s_cmp_eq_u32 s13, 0
	s_cselect_b32 s3, ttmp9, s3
	v_mad_u32 v0, s3, s2, v0
	s_mov_b32 s3, 0
	s_delay_alu instid0(VALU_DEP_1)
	v_cmpx_gt_i64_e64 s[10:11], v[0:1]
	s_cbranch_execz .LBB77_12
; %bb.1:
	v_cvt_f64_i32_e32 v[4:5], s5
	v_cvt_f64_u32_e32 v[6:7], s4
	s_add_nc_u64 s[14:15], s[0:1], 0x6a0
	s_clause 0x1
	s_load_b64 s[12:13], s[0:1], 0x5d0
	s_load_b32 s33, s[0:1], 0x4d8
	s_load_b32 s24, s[14:15], 0x0
	s_wait_xcnt 0x0
	s_clause 0x4
	s_load_b64 s[14:15], s[0:1], 0x500
	s_load_b64 s[16:17], s[0:1], 0x0
	;; [unrolled: 1-line block ×5, first 2 shown]
	s_add_nc_u64 s[28:29], s[0:1], 0x340
	s_mov_b32 s25, s3
	s_mov_b64 s[26:27], 0xffffffff
	s_mov_b32 s40, 0
	s_wait_kmcnt 0x0
	s_cmp_gt_i32 s33, 1
	s_mul_i32 s24, s24, s2
	s_cselect_b32 s1, -1, 0
	s_add_co_i32 s2, s33, -1
	s_add_co_i32 s33, s33, 1
	s_lshl_b64 s[30:31], s[2:3], 3
	s_delay_alu instid0(SALU_CYCLE_1) | instskip(NEXT) | instid1(SALU_CYCLE_1)
	s_add_nc_u64 s[28:29], s[28:29], s[30:31]
	s_add_nc_u64 s[28:29], s[28:29], 8
	s_delay_alu instid0(VALU_DEP_2) | instskip(NEXT) | instid1(VALU_DEP_1)
	v_ldexp_f64 v[4:5], v[4:5], 32
	v_add_f64_e32 v[4:5], v[4:5], v[6:7]
	v_add_f64_e64 v[6:7], s[8:9], -s[6:7]
	s_branch .LBB77_3
.LBB77_2:                               ;   in Loop: Header=BB77_3 Depth=1
	s_wait_xcnt 0x0
	s_or_b32 exec_lo, exec_lo, s0
	v_add_nc_u64_e32 v[0:1], s[24:25], v[0:1]
	s_delay_alu instid0(VALU_DEP_1) | instskip(SKIP_1) | instid1(SALU_CYCLE_1)
	v_cmp_le_i64_e32 vcc_lo, s[10:11], v[0:1]
	s_or_b32 s40, vcc_lo, s40
	s_and_not1_b32 exec_lo, exec_lo, s40
	s_cbranch_execz .LBB77_12
.LBB77_3:                               ; =>This Loop Header: Depth=1
                                        ;     Child Loop BB77_4 Depth 2
	v_mov_b64_e32 v[8:9], 0
	v_mov_b64_e32 v[10:11], v[0:1]
	;; [unrolled: 1-line block ×3, first 2 shown]
	s_and_not1_b32 vcc_lo, exec_lo, s1
	s_mov_b64 s[30:31], s[28:29]
	s_mov_b32 s41, s33
	s_cbranch_vccnz .LBB77_10
.LBB77_4:                               ;   Parent Loop BB77_3 Depth=1
                                        ; =>  This Inner Loop Header: Depth=2
	s_load_b64 s[34:35], s[30:31], 0x0
                                        ; implicit-def: $vgpr12_vgpr13
	s_mov_b32 s0, exec_lo
	s_wait_kmcnt 0x0
	s_delay_alu instid0(VALU_DEP_1) | instskip(NEXT) | instid1(VALU_DEP_1)
	v_or_b32_e32 v3, s35, v11
	v_cmpx_ne_u64_e32 0, v[2:3]
	s_xor_b32 s42, exec_lo, s0
	s_cbranch_execz .LBB77_6
; %bb.5:                                ;   in Loop: Header=BB77_4 Depth=2
	s_ashr_i32 s36, s35, 31
	v_dual_mov_b32 v17, v2 :: v_dual_ashrrev_i32 v12, 31, v11
	s_mov_b32 s37, s36
	s_delay_alu instid0(SALU_CYCLE_1) | instskip(NEXT) | instid1(VALU_DEP_1)
	s_add_nc_u64 s[38:39], s[34:35], s[36:37]
	v_mov_b32_e32 v13, v12
	s_xor_b64 s[38:39], s[38:39], s[36:37]
	s_delay_alu instid0(SALU_CYCLE_1)
	s_cvt_f32_u32 s0, s38
	s_cvt_f32_u32 s2, s39
	s_sub_nc_u64 s[46:47], 0, s[38:39]
	v_add_nc_u64_e32 v[14:15], v[10:11], v[12:13]
	v_mov_b32_e32 v21, v2
	s_fmamk_f32 s0, s2, 0x4f800000, s0
	s_delay_alu instid0(SALU_CYCLE_3) | instskip(NEXT) | instid1(VALU_DEP_2)
	v_s_rcp_f32 s0, s0
	v_xor_b32_e32 v16, v14, v12
	s_delay_alu instid0(VALU_DEP_3) | instskip(SKIP_1) | instid1(TRANS32_DEP_1)
	v_dual_mov_b32 v25, v2 :: v_dual_bitop2_b32 v20, v15, v12 bitop3:0x14
	v_xor_b32_e32 v12, s36, v12
	s_mul_f32 s0, s0, 0x5f7ffffc
	s_delay_alu instid0(SALU_CYCLE_3) | instskip(NEXT) | instid1(SALU_CYCLE_3)
	s_mul_f32 s2, s0, 0x2f800000
	s_trunc_f32 s2, s2
	s_delay_alu instid0(SALU_CYCLE_3) | instskip(SKIP_1) | instid1(SALU_CYCLE_2)
	s_fmamk_f32 s0, s2, 0xcf800000, s0
	s_cvt_u32_f32 s45, s2
	s_cvt_u32_f32 s44, s0
	s_delay_alu instid0(SALU_CYCLE_3) | instskip(NEXT) | instid1(SALU_CYCLE_1)
	s_mul_u64 s[48:49], s[46:47], s[44:45]
	s_mul_hi_u32 s51, s44, s49
	s_mul_i32 s50, s44, s49
	s_mul_hi_u32 s2, s44, s48
	s_mul_i32 s37, s45, s48
	s_add_nc_u64 s[50:51], s[2:3], s[50:51]
	s_mul_hi_u32 s0, s45, s48
	s_mul_hi_u32 s43, s45, s49
	s_add_co_u32 s2, s50, s37
	s_add_co_ci_u32 s2, s51, s0
	s_mul_i32 s48, s45, s49
	s_add_co_ci_u32 s49, s43, 0
	s_delay_alu instid0(SALU_CYCLE_1) | instskip(NEXT) | instid1(SALU_CYCLE_1)
	s_add_nc_u64 s[48:49], s[2:3], s[48:49]
	s_add_co_u32 s44, s44, s48
	s_cselect_b32 s0, -1, 0
	s_delay_alu instid0(SALU_CYCLE_1) | instskip(SKIP_1) | instid1(SALU_CYCLE_1)
	s_cmp_lg_u32 s0, 0
	s_add_co_ci_u32 s45, s45, s49
	s_mul_u64 s[46:47], s[46:47], s[44:45]
	s_delay_alu instid0(SALU_CYCLE_1)
	s_mul_hi_u32 s49, s44, s47
	s_mul_i32 s48, s44, s47
	s_mul_hi_u32 s2, s44, s46
	s_mul_i32 s37, s45, s46
	s_add_nc_u64 s[48:49], s[2:3], s[48:49]
	s_mul_hi_u32 s0, s45, s46
	s_mul_hi_u32 s43, s45, s47
	s_add_co_u32 s2, s48, s37
	s_add_co_ci_u32 s2, s49, s0
	s_mul_i32 s46, s45, s47
	s_add_co_ci_u32 s47, s43, 0
	s_delay_alu instid0(SALU_CYCLE_1) | instskip(NEXT) | instid1(SALU_CYCLE_1)
	s_add_nc_u64 s[46:47], s[2:3], s[46:47]
	s_add_co_u32 s0, s44, s46
	s_cselect_b32 s2, -1, 0
	v_mul_hi_u32 v24, v16, s0
	s_cmp_lg_u32 s2, 0
	s_add_co_ci_u32 s2, s45, s47
	s_and_b64 s[44:45], s[0:1], s[26:27]
	v_mul_u64_e32 v[18:19], s[2:3], v[16:17]
	v_mul_u64_e32 v[14:15], s[44:45], v[20:21]
	;; [unrolled: 1-line block ×3, first 2 shown]
	s_delay_alu instid0(VALU_DEP_3) | instskip(NEXT) | instid1(VALU_DEP_1)
	v_add_nc_u64_e32 v[18:19], v[24:25], v[18:19]
	v_add_co_u32 v3, vcc_lo, v18, v14
	s_delay_alu instid0(VALU_DEP_2) | instskip(NEXT) | instid1(VALU_DEP_4)
	v_add_co_ci_u32_e32 v24, vcc_lo, v19, v15, vcc_lo
	v_add_co_ci_u32_e32 v23, vcc_lo, 0, v23, vcc_lo
	s_delay_alu instid0(VALU_DEP_1) | instskip(NEXT) | instid1(VALU_DEP_1)
	v_add_nc_u64_e32 v[14:15], v[24:25], v[22:23]
	v_mul_u64_e32 v[18:19], s[38:39], v[14:15]
	s_delay_alu instid0(VALU_DEP_1) | instskip(NEXT) | instid1(VALU_DEP_2)
	v_sub_nc_u32_e32 v3, v20, v19
	v_sub_co_u32 v13, vcc_lo, v16, v18
	s_delay_alu instid0(VALU_DEP_1) | instskip(NEXT) | instid1(VALU_DEP_3)
	v_sub_co_ci_u32_e64 v20, null, v20, v19, vcc_lo
	v_subrev_co_ci_u32_e64 v3, null, s39, v3, vcc_lo
	s_delay_alu instid0(VALU_DEP_3) | instskip(SKIP_1) | instid1(VALU_DEP_3)
	v_sub_co_u32 v16, s0, v13, s38
	v_add_nc_u64_e32 v[18:19], 1, v[14:15]
	v_subrev_co_ci_u32_e64 v3, null, 0, v3, s0
	s_delay_alu instid0(VALU_DEP_3) | instskip(SKIP_1) | instid1(VALU_DEP_3)
	v_cmp_le_u32_e32 vcc_lo, s38, v16
	v_cndmask_b32_e64 v16, 0, -1, vcc_lo
	v_cmp_le_u32_e32 vcc_lo, s39, v3
	v_cndmask_b32_e64 v17, 0, -1, vcc_lo
	;; [unrolled: 2-line block ×4, first 2 shown]
	v_cmp_eq_u32_e32 vcc_lo, s39, v3
	v_cndmask_b32_e32 v3, v17, v16, vcc_lo
	v_cmp_eq_u32_e32 vcc_lo, s39, v20
	v_add_nc_u64_e32 v[16:17], 2, v[14:15]
	v_cndmask_b32_e32 v13, v21, v13, vcc_lo
	s_delay_alu instid0(VALU_DEP_4) | instskip(NEXT) | instid1(VALU_DEP_2)
	v_cmp_ne_u32_e32 vcc_lo, 0, v3
	v_cmp_ne_u32_e64 s0, 0, v13
	s_delay_alu instid0(VALU_DEP_4) | instskip(NEXT) | instid1(VALU_DEP_1)
	v_dual_cndmask_b32 v3, v19, v17, vcc_lo :: v_dual_cndmask_b32 v13, v18, v16, vcc_lo
	v_dual_cndmask_b32 v14, v14, v13, s0 :: v_dual_mov_b32 v13, v12
	s_delay_alu instid0(VALU_DEP_1) | instskip(NEXT) | instid1(VALU_DEP_1)
	v_dual_cndmask_b32 v3, v15, v3, s0 :: v_dual_bitop2_b32 v14, v14, v12 bitop3:0x14
	v_xor_b32_e32 v15, v3, v12
	s_delay_alu instid0(VALU_DEP_1)
	v_sub_nc_u64_e32 v[12:13], v[14:15], v[12:13]
.LBB77_6:                               ;   in Loop: Header=BB77_4 Depth=2
	s_and_not1_saveexec_b32 s0, s42
	s_cbranch_execz .LBB77_8
; %bb.7:                                ;   in Loop: Header=BB77_4 Depth=2
	v_cvt_f32_u32_e32 v3, s34
	s_sub_co_i32 s2, 0, s34
	s_delay_alu instid0(VALU_DEP_1) | instskip(SKIP_1) | instid1(TRANS32_DEP_1)
	v_rcp_iflag_f32_e32 v3, v3
	v_nop
	v_mul_f32_e32 v3, 0x4f7ffffe, v3
	s_delay_alu instid0(VALU_DEP_1) | instskip(NEXT) | instid1(VALU_DEP_1)
	v_cvt_u32_f32_e32 v3, v3
	v_mul_lo_u32 v12, s2, v3
	s_delay_alu instid0(VALU_DEP_1) | instskip(NEXT) | instid1(VALU_DEP_1)
	v_mul_hi_u32 v12, v3, v12
	v_add_nc_u32_e32 v3, v3, v12
	s_delay_alu instid0(VALU_DEP_1) | instskip(NEXT) | instid1(VALU_DEP_1)
	v_mul_hi_u32 v3, v10, v3
	v_mul_lo_u32 v12, v3, s34
	s_delay_alu instid0(VALU_DEP_1) | instskip(NEXT) | instid1(VALU_DEP_1)
	v_dual_add_nc_u32 v13, 1, v3 :: v_dual_sub_nc_u32 v12, v10, v12
	v_subrev_nc_u32_e32 v14, s34, v12
	v_cmp_le_u32_e32 vcc_lo, s34, v12
	s_delay_alu instid0(VALU_DEP_2) | instskip(NEXT) | instid1(VALU_DEP_1)
	v_dual_cndmask_b32 v12, v12, v14 :: v_dual_cndmask_b32 v3, v3, v13
	v_cmp_le_u32_e32 vcc_lo, s34, v12
	s_delay_alu instid0(VALU_DEP_2) | instskip(NEXT) | instid1(VALU_DEP_1)
	v_add_nc_u32_e32 v13, 1, v3
	v_dual_cndmask_b32 v12, v3, v13 :: v_dual_mov_b32 v13, v2
.LBB77_8:                               ;   in Loop: Header=BB77_4 Depth=2
	s_or_b32 exec_lo, exec_lo, s0
	s_delay_alu instid0(VALU_DEP_1)
	v_mul_u64_e32 v[14:15], s[34:35], v[12:13]
	s_load_b64 s[34:35], s[30:31], 0xc8
	s_add_co_i32 s41, s41, -1
	s_wait_xcnt 0x0
	s_add_nc_u64 s[30:31], s[30:31], -8
	s_cmp_gt_u32 s41, 2
	s_delay_alu instid0(VALU_DEP_1) | instskip(SKIP_1) | instid1(VALU_DEP_1)
	v_sub_nc_u64_e32 v[10:11], v[10:11], v[14:15]
	s_wait_kmcnt 0x0
	v_mad_nc_u64_u32 v[8:9], s34, v10, v[8:9]
	s_delay_alu instid0(VALU_DEP_1) | instskip(NEXT) | instid1(VALU_DEP_1)
	v_mad_u32 v3, s35, v10, v9
	v_mad_u32 v9, s34, v11, v3
	s_cbranch_scc0 .LBB77_10
; %bb.9:                                ;   in Loop: Header=BB77_4 Depth=2
	v_mov_b64_e32 v[10:11], v[12:13]
	s_branch .LBB77_4
.LBB77_10:                              ;   in Loop: Header=BB77_3 Depth=1
	s_delay_alu instid0(VALU_DEP_1) | instskip(NEXT) | instid1(VALU_DEP_1)
	v_mul_u64_e32 v[10:11], s[20:21], v[12:13]
	v_lshl_add_u64 v[10:11], v[10:11], 3, s[22:23]
	s_delay_alu instid0(VALU_DEP_1)
	v_lshl_add_u64 v[8:9], v[8:9], 3, v[10:11]
	global_load_b64 v[8:9], v[8:9], off
	s_wait_loadcnt 0x0
	v_cmp_le_f64_e32 vcc_lo, s[6:7], v[8:9]
	v_cmp_ge_f64_e64 s0, s[8:9], v[8:9]
	s_and_b32 s2, vcc_lo, s0
	s_wait_xcnt 0x0
	s_and_saveexec_b32 s0, s2
	s_cbranch_execz .LBB77_2
; %bb.11:                               ;   in Loop: Header=BB77_3 Depth=1
	v_add_f64_e64 v[8:9], v[8:9], -s[6:7]
	v_mul_u64_e32 v[14:15], s[12:13], v[0:1]
	s_delay_alu instid0(VALU_DEP_2) | instskip(NEXT) | instid1(VALU_DEP_2)
	v_mul_f64_e32 v[8:9], v[8:9], v[4:5]
	v_lshl_add_u64 v[14:15], v[14:15], 3, s[14:15]
	global_load_b64 v[14:15], v[14:15], off
	v_div_scale_f64 v[10:11], null, v[6:7], v[6:7], v[8:9]
	v_div_scale_f64 v[18:19], vcc_lo, v[8:9], v[6:7], v[8:9]
	s_delay_alu instid0(VALU_DEP_2) | instskip(SKIP_1) | instid1(TRANS32_DEP_1)
	v_rcp_f64_e32 v[12:13], v[10:11]
	v_nop
	v_fma_f64 v[16:17], -v[10:11], v[12:13], 1.0
	s_delay_alu instid0(VALU_DEP_1) | instskip(NEXT) | instid1(VALU_DEP_1)
	v_fmac_f64_e32 v[12:13], v[12:13], v[16:17]
	v_fma_f64 v[16:17], -v[10:11], v[12:13], 1.0
	s_delay_alu instid0(VALU_DEP_1) | instskip(NEXT) | instid1(VALU_DEP_1)
	v_fmac_f64_e32 v[12:13], v[12:13], v[16:17]
	v_mul_f64_e32 v[16:17], v[18:19], v[12:13]
	s_delay_alu instid0(VALU_DEP_1) | instskip(NEXT) | instid1(VALU_DEP_1)
	v_fma_f64 v[10:11], -v[10:11], v[16:17], v[18:19]
	v_div_fmas_f64 v[10:11], v[10:11], v[12:13], v[16:17]
	s_delay_alu instid0(VALU_DEP_1) | instskip(SKIP_1) | instid1(VALU_DEP_2)
	v_div_fixup_f64 v[8:9], v[10:11], v[6:7], v[8:9]
	v_mov_b32_e32 v11, s3
	v_cvt_i32_f64_e32 v8, v[8:9]
	s_delay_alu instid0(VALU_DEP_1) | instskip(NEXT) | instid1(VALU_DEP_1)
	v_ashrrev_i32_e32 v9, 31, v8
	v_cmp_eq_u64_e32 vcc_lo, s[4:5], v[8:9]
	v_cndmask_b32_e64 v10, 0, 1, vcc_lo
	s_delay_alu instid0(VALU_DEP_1) | instskip(NEXT) | instid1(VALU_DEP_1)
	v_sub_nc_u64_e32 v[8:9], v[8:9], v[10:11]
	v_mul_u64_e32 v[8:9], s[18:19], v[8:9]
	s_delay_alu instid0(VALU_DEP_1)
	v_lshl_add_u64 v[8:9], v[8:9], 3, s[16:17]
	s_wait_xcnt 0x0
	s_wait_loadcnt 0x0
	global_atomic_add_f64 v[8:9], v[14:15], off scope:SCOPE_DEV
	s_branch .LBB77_2
.LBB77_12:
	s_endpgm
	.section	.rodata,"a",@progbits
	.p2align	6, 0x0
	.amdhsa_kernel _ZN2at4cuda17kernelHistogram1DIddlLi1ELi2ELin1ELNS0_23CUDAHistogramMemoryTypeE1EZNS0_21CUDA_tensor_histogramIddLb0EEEbNS_6TensorES4_S4_lNS_14AccumulateTypeIT0_Lb1EE4typeES8_NS0_13TensorArgTypeES9_S9_EUllE_EEvNS0_6detail10TensorInfoIT_T1_EESF_NSC_IKS6_SE_EElS8_S8_SE_T6_
		.amdhsa_group_segment_fixed_size 0
		.amdhsa_private_segment_fixed_size 0
		.amdhsa_kernarg_size 1952
		.amdhsa_user_sgpr_count 2
		.amdhsa_user_sgpr_dispatch_ptr 0
		.amdhsa_user_sgpr_queue_ptr 0
		.amdhsa_user_sgpr_kernarg_segment_ptr 1
		.amdhsa_user_sgpr_dispatch_id 0
		.amdhsa_user_sgpr_kernarg_preload_length 0
		.amdhsa_user_sgpr_kernarg_preload_offset 0
		.amdhsa_user_sgpr_private_segment_size 0
		.amdhsa_wavefront_size32 1
		.amdhsa_uses_dynamic_stack 0
		.amdhsa_enable_private_segment 0
		.amdhsa_system_sgpr_workgroup_id_x 1
		.amdhsa_system_sgpr_workgroup_id_y 0
		.amdhsa_system_sgpr_workgroup_id_z 0
		.amdhsa_system_sgpr_workgroup_info 0
		.amdhsa_system_vgpr_workitem_id 0
		.amdhsa_next_free_vgpr 26
		.amdhsa_next_free_sgpr 52
		.amdhsa_named_barrier_count 0
		.amdhsa_reserve_vcc 1
		.amdhsa_float_round_mode_32 0
		.amdhsa_float_round_mode_16_64 0
		.amdhsa_float_denorm_mode_32 3
		.amdhsa_float_denorm_mode_16_64 3
		.amdhsa_fp16_overflow 0
		.amdhsa_memory_ordered 1
		.amdhsa_forward_progress 1
		.amdhsa_inst_pref_size 12
		.amdhsa_round_robin_scheduling 0
		.amdhsa_exception_fp_ieee_invalid_op 0
		.amdhsa_exception_fp_denorm_src 0
		.amdhsa_exception_fp_ieee_div_zero 0
		.amdhsa_exception_fp_ieee_overflow 0
		.amdhsa_exception_fp_ieee_underflow 0
		.amdhsa_exception_fp_ieee_inexact 0
		.amdhsa_exception_int_div_zero 0
	.end_amdhsa_kernel
	.section	.text._ZN2at4cuda17kernelHistogram1DIddlLi1ELi2ELin1ELNS0_23CUDAHistogramMemoryTypeE1EZNS0_21CUDA_tensor_histogramIddLb0EEEbNS_6TensorES4_S4_lNS_14AccumulateTypeIT0_Lb1EE4typeES8_NS0_13TensorArgTypeES9_S9_EUllE_EEvNS0_6detail10TensorInfoIT_T1_EESF_NSC_IKS6_SE_EElS8_S8_SE_T6_,"axG",@progbits,_ZN2at4cuda17kernelHistogram1DIddlLi1ELi2ELin1ELNS0_23CUDAHistogramMemoryTypeE1EZNS0_21CUDA_tensor_histogramIddLb0EEEbNS_6TensorES4_S4_lNS_14AccumulateTypeIT0_Lb1EE4typeES8_NS0_13TensorArgTypeES9_S9_EUllE_EEvNS0_6detail10TensorInfoIT_T1_EESF_NSC_IKS6_SE_EElS8_S8_SE_T6_,comdat
.Lfunc_end77:
	.size	_ZN2at4cuda17kernelHistogram1DIddlLi1ELi2ELin1ELNS0_23CUDAHistogramMemoryTypeE1EZNS0_21CUDA_tensor_histogramIddLb0EEEbNS_6TensorES4_S4_lNS_14AccumulateTypeIT0_Lb1EE4typeES8_NS0_13TensorArgTypeES9_S9_EUllE_EEvNS0_6detail10TensorInfoIT_T1_EESF_NSC_IKS6_SE_EElS8_S8_SE_T6_, .Lfunc_end77-_ZN2at4cuda17kernelHistogram1DIddlLi1ELi2ELin1ELNS0_23CUDAHistogramMemoryTypeE1EZNS0_21CUDA_tensor_histogramIddLb0EEEbNS_6TensorES4_S4_lNS_14AccumulateTypeIT0_Lb1EE4typeES8_NS0_13TensorArgTypeES9_S9_EUllE_EEvNS0_6detail10TensorInfoIT_T1_EESF_NSC_IKS6_SE_EElS8_S8_SE_T6_
                                        ; -- End function
	.set _ZN2at4cuda17kernelHistogram1DIddlLi1ELi2ELin1ELNS0_23CUDAHistogramMemoryTypeE1EZNS0_21CUDA_tensor_histogramIddLb0EEEbNS_6TensorES4_S4_lNS_14AccumulateTypeIT0_Lb1EE4typeES8_NS0_13TensorArgTypeES9_S9_EUllE_EEvNS0_6detail10TensorInfoIT_T1_EESF_NSC_IKS6_SE_EElS8_S8_SE_T6_.num_vgpr, 26
	.set _ZN2at4cuda17kernelHistogram1DIddlLi1ELi2ELin1ELNS0_23CUDAHistogramMemoryTypeE1EZNS0_21CUDA_tensor_histogramIddLb0EEEbNS_6TensorES4_S4_lNS_14AccumulateTypeIT0_Lb1EE4typeES8_NS0_13TensorArgTypeES9_S9_EUllE_EEvNS0_6detail10TensorInfoIT_T1_EESF_NSC_IKS6_SE_EElS8_S8_SE_T6_.num_agpr, 0
	.set _ZN2at4cuda17kernelHistogram1DIddlLi1ELi2ELin1ELNS0_23CUDAHistogramMemoryTypeE1EZNS0_21CUDA_tensor_histogramIddLb0EEEbNS_6TensorES4_S4_lNS_14AccumulateTypeIT0_Lb1EE4typeES8_NS0_13TensorArgTypeES9_S9_EUllE_EEvNS0_6detail10TensorInfoIT_T1_EESF_NSC_IKS6_SE_EElS8_S8_SE_T6_.numbered_sgpr, 52
	.set _ZN2at4cuda17kernelHistogram1DIddlLi1ELi2ELin1ELNS0_23CUDAHistogramMemoryTypeE1EZNS0_21CUDA_tensor_histogramIddLb0EEEbNS_6TensorES4_S4_lNS_14AccumulateTypeIT0_Lb1EE4typeES8_NS0_13TensorArgTypeES9_S9_EUllE_EEvNS0_6detail10TensorInfoIT_T1_EESF_NSC_IKS6_SE_EElS8_S8_SE_T6_.num_named_barrier, 0
	.set _ZN2at4cuda17kernelHistogram1DIddlLi1ELi2ELin1ELNS0_23CUDAHistogramMemoryTypeE1EZNS0_21CUDA_tensor_histogramIddLb0EEEbNS_6TensorES4_S4_lNS_14AccumulateTypeIT0_Lb1EE4typeES8_NS0_13TensorArgTypeES9_S9_EUllE_EEvNS0_6detail10TensorInfoIT_T1_EESF_NSC_IKS6_SE_EElS8_S8_SE_T6_.private_seg_size, 0
	.set _ZN2at4cuda17kernelHistogram1DIddlLi1ELi2ELin1ELNS0_23CUDAHistogramMemoryTypeE1EZNS0_21CUDA_tensor_histogramIddLb0EEEbNS_6TensorES4_S4_lNS_14AccumulateTypeIT0_Lb1EE4typeES8_NS0_13TensorArgTypeES9_S9_EUllE_EEvNS0_6detail10TensorInfoIT_T1_EESF_NSC_IKS6_SE_EElS8_S8_SE_T6_.uses_vcc, 1
	.set _ZN2at4cuda17kernelHistogram1DIddlLi1ELi2ELin1ELNS0_23CUDAHistogramMemoryTypeE1EZNS0_21CUDA_tensor_histogramIddLb0EEEbNS_6TensorES4_S4_lNS_14AccumulateTypeIT0_Lb1EE4typeES8_NS0_13TensorArgTypeES9_S9_EUllE_EEvNS0_6detail10TensorInfoIT_T1_EESF_NSC_IKS6_SE_EElS8_S8_SE_T6_.uses_flat_scratch, 0
	.set _ZN2at4cuda17kernelHistogram1DIddlLi1ELi2ELin1ELNS0_23CUDAHistogramMemoryTypeE1EZNS0_21CUDA_tensor_histogramIddLb0EEEbNS_6TensorES4_S4_lNS_14AccumulateTypeIT0_Lb1EE4typeES8_NS0_13TensorArgTypeES9_S9_EUllE_EEvNS0_6detail10TensorInfoIT_T1_EESF_NSC_IKS6_SE_EElS8_S8_SE_T6_.has_dyn_sized_stack, 0
	.set _ZN2at4cuda17kernelHistogram1DIddlLi1ELi2ELin1ELNS0_23CUDAHistogramMemoryTypeE1EZNS0_21CUDA_tensor_histogramIddLb0EEEbNS_6TensorES4_S4_lNS_14AccumulateTypeIT0_Lb1EE4typeES8_NS0_13TensorArgTypeES9_S9_EUllE_EEvNS0_6detail10TensorInfoIT_T1_EESF_NSC_IKS6_SE_EElS8_S8_SE_T6_.has_recursion, 0
	.set _ZN2at4cuda17kernelHistogram1DIddlLi1ELi2ELin1ELNS0_23CUDAHistogramMemoryTypeE1EZNS0_21CUDA_tensor_histogramIddLb0EEEbNS_6TensorES4_S4_lNS_14AccumulateTypeIT0_Lb1EE4typeES8_NS0_13TensorArgTypeES9_S9_EUllE_EEvNS0_6detail10TensorInfoIT_T1_EESF_NSC_IKS6_SE_EElS8_S8_SE_T6_.has_indirect_call, 0
	.section	.AMDGPU.csdata,"",@progbits
; Kernel info:
; codeLenInByte = 1476
; TotalNumSgprs: 54
; NumVgprs: 26
; ScratchSize: 0
; MemoryBound: 0
; FloatMode: 240
; IeeeMode: 1
; LDSByteSize: 0 bytes/workgroup (compile time only)
; SGPRBlocks: 0
; VGPRBlocks: 1
; NumSGPRsForWavesPerEU: 54
; NumVGPRsForWavesPerEU: 26
; NamedBarCnt: 0
; Occupancy: 16
; WaveLimiterHint : 1
; COMPUTE_PGM_RSRC2:SCRATCH_EN: 0
; COMPUTE_PGM_RSRC2:USER_SGPR: 2
; COMPUTE_PGM_RSRC2:TRAP_HANDLER: 0
; COMPUTE_PGM_RSRC2:TGID_X_EN: 1
; COMPUTE_PGM_RSRC2:TGID_Y_EN: 0
; COMPUTE_PGM_RSRC2:TGID_Z_EN: 0
; COMPUTE_PGM_RSRC2:TIDIG_COMP_CNT: 0
	.section	.text._ZN2at4cuda17kernelHistogram1DIddlLi1ELi2ELin1ELNS0_23CUDAHistogramMemoryTypeE0EZNS0_21CUDA_tensor_histogramIddLb0EEEbNS_6TensorES4_S4_lNS_14AccumulateTypeIT0_Lb1EE4typeES8_NS0_13TensorArgTypeES9_S9_EUllE0_EEvNS0_6detail10TensorInfoIT_T1_EESF_NSC_IKS6_SE_EElS8_S8_SE_T6_,"axG",@progbits,_ZN2at4cuda17kernelHistogram1DIddlLi1ELi2ELin1ELNS0_23CUDAHistogramMemoryTypeE0EZNS0_21CUDA_tensor_histogramIddLb0EEEbNS_6TensorES4_S4_lNS_14AccumulateTypeIT0_Lb1EE4typeES8_NS0_13TensorArgTypeES9_S9_EUllE0_EEvNS0_6detail10TensorInfoIT_T1_EESF_NSC_IKS6_SE_EElS8_S8_SE_T6_,comdat
	.protected	_ZN2at4cuda17kernelHistogram1DIddlLi1ELi2ELin1ELNS0_23CUDAHistogramMemoryTypeE0EZNS0_21CUDA_tensor_histogramIddLb0EEEbNS_6TensorES4_S4_lNS_14AccumulateTypeIT0_Lb1EE4typeES8_NS0_13TensorArgTypeES9_S9_EUllE0_EEvNS0_6detail10TensorInfoIT_T1_EESF_NSC_IKS6_SE_EElS8_S8_SE_T6_ ; -- Begin function _ZN2at4cuda17kernelHistogram1DIddlLi1ELi2ELin1ELNS0_23CUDAHistogramMemoryTypeE0EZNS0_21CUDA_tensor_histogramIddLb0EEEbNS_6TensorES4_S4_lNS_14AccumulateTypeIT0_Lb1EE4typeES8_NS0_13TensorArgTypeES9_S9_EUllE0_EEvNS0_6detail10TensorInfoIT_T1_EESF_NSC_IKS6_SE_EElS8_S8_SE_T6_
	.globl	_ZN2at4cuda17kernelHistogram1DIddlLi1ELi2ELin1ELNS0_23CUDAHistogramMemoryTypeE0EZNS0_21CUDA_tensor_histogramIddLb0EEEbNS_6TensorES4_S4_lNS_14AccumulateTypeIT0_Lb1EE4typeES8_NS0_13TensorArgTypeES9_S9_EUllE0_EEvNS0_6detail10TensorInfoIT_T1_EESF_NSC_IKS6_SE_EElS8_S8_SE_T6_
	.p2align	8
	.type	_ZN2at4cuda17kernelHistogram1DIddlLi1ELi2ELin1ELNS0_23CUDAHistogramMemoryTypeE0EZNS0_21CUDA_tensor_histogramIddLb0EEEbNS_6TensorES4_S4_lNS_14AccumulateTypeIT0_Lb1EE4typeES8_NS0_13TensorArgTypeES9_S9_EUllE0_EEvNS0_6detail10TensorInfoIT_T1_EESF_NSC_IKS6_SE_EElS8_S8_SE_T6_,@function
_ZN2at4cuda17kernelHistogram1DIddlLi1ELi2ELin1ELNS0_23CUDAHistogramMemoryTypeE0EZNS0_21CUDA_tensor_histogramIddLb0EEEbNS_6TensorES4_S4_lNS_14AccumulateTypeIT0_Lb1EE4typeES8_NS0_13TensorArgTypeES9_S9_EUllE0_EEvNS0_6detail10TensorInfoIT_T1_EESF_NSC_IKS6_SE_EElS8_S8_SE_T6_: ; @_ZN2at4cuda17kernelHistogram1DIddlLi1ELi2ELin1ELNS0_23CUDAHistogramMemoryTypeE0EZNS0_21CUDA_tensor_histogramIddLb0EEEbNS_6TensorES4_S4_lNS_14AccumulateTypeIT0_Lb1EE4typeES8_NS0_13TensorArgTypeES9_S9_EUllE0_EEvNS0_6detail10TensorInfoIT_T1_EESF_NSC_IKS6_SE_EElS8_S8_SE_T6_
; %bb.0:
	s_load_b128 s[12:15], s[0:1], 0x0
	v_mov_b32_e32 v1, 0
	s_add_nc_u64 s[20:21], s[0:1], 0x508
	s_mov_b32 s3, exec_lo
                                        ; implicit-def: $sgpr4
                                        ; implicit-def: $sgpr5
	s_wait_kmcnt 0x0
	s_delay_alu instid0(VALU_DEP_1)
	v_cmp_gt_i64_e64 s2, s[14:15], v[0:1]
	v_cmpx_le_i64_e64 s[14:15], v[0:1]
	s_xor_b32 s3, exec_lo, s3
	s_cbranch_execz .LBB78_2
; %bb.1:
	s_load_b32 s4, s[20:21], 0xc
	s_wait_kmcnt 0x0
	s_and_b32 s5, s4, 0xffff
.LBB78_2:
	s_or_saveexec_b32 s3, s3
	v_dual_mov_b32 v22, s4 :: v_dual_mov_b32 v21, s5
	v_lshl_add_u32 v20, v0, 3, 0
	s_xor_b32 exec_lo, exec_lo, s3
	s_cbranch_execz .LBB78_6
; %bb.3:
	s_load_b32 s6, s[20:21], 0xc
	v_mov_b64_e32 v[2:3], 0
	v_mov_b64_e32 v[4:5], v[0:1]
	v_lshl_add_u32 v6, v0, 3, 0
	s_mov_b32 s5, 0
	s_delay_alu instid0(SALU_CYCLE_1) | instskip(SKIP_2) | instid1(SALU_CYCLE_1)
	s_mov_b32 s7, s5
	s_wait_kmcnt 0x0
	s_and_b32 s4, s6, 0xffff
	s_lshl_b32 s8, s4, 3
.LBB78_4:                               ; =>This Inner Loop Header: Depth=1
	v_add_nc_u64_e32 v[4:5], s[4:5], v[4:5]
	ds_store_b64 v6, v[2:3]
	v_add_nc_u32_e32 v6, s8, v6
	v_cmp_le_i64_e32 vcc_lo, s[14:15], v[4:5]
	s_or_b32 s7, vcc_lo, s7
	s_delay_alu instid0(SALU_CYCLE_1)
	s_and_not1_b32 exec_lo, exec_lo, s7
	s_cbranch_execnz .LBB78_4
; %bb.5:
	s_or_b32 exec_lo, exec_lo, s7
	v_dual_mov_b32 v22, s6 :: v_dual_mov_b32 v21, s4
.LBB78_6:
	s_or_b32 exec_lo, exec_lo, s3
	s_bfe_u32 s3, ttmp6, 0x4000c
	s_clause 0x1
	s_load_b64 s[16:17], s[0:1], 0xd0
	s_load_b256 s[4:11], s[0:1], 0x4e0
	s_add_co_i32 s3, s3, 1
	s_and_b32 s18, ttmp6, 15
	s_mul_i32 s3, ttmp9, s3
	s_getreg_b32 s19, hwreg(HW_REG_IB_STS2, 6, 4)
	s_add_co_i32 s18, s18, s3
	s_cmp_eq_u32 s19, 0
	v_mov_b32_e32 v4, 0
	s_cselect_b32 s3, ttmp9, s18
	s_mov_b32 s19, 0
	v_mad_u32 v2, s3, v21, v0
	s_mov_b32 s3, exec_lo
	v_mov_b32_e32 v3, v4
	s_wait_dscnt 0x0
	s_barrier_signal -1
	s_barrier_wait -1
	s_wait_kmcnt 0x0
	s_delay_alu instid0(VALU_DEP_2)
	v_cmpx_gt_i64_e64 s[10:11], v[2:3]
	s_cbranch_execz .LBB78_18
; %bb.7:
	v_cvt_f64_i32_e32 v[6:7], s5
	v_cvt_f64_u32_e32 v[8:9], s4
	s_load_b32 s30, s[0:1], 0x4d8
	s_load_b32 s18, s[20:21], 0x0
	s_wait_xcnt 0x0
	s_clause 0x1
	s_load_b64 s[20:21], s[0:1], 0x410
	s_load_b64 s[22:23], s[0:1], 0x340
	s_add_nc_u64 s[26:27], s[0:1], 0x340
	v_mov_b64_e32 v[12:13], 1.0
	s_mov_b64 s[24:25], 0xffffffff
	s_mov_b32 s38, 0
	v_mov_b32_e32 v11, v4
	s_wait_kmcnt 0x0
	s_cmp_gt_i32 s30, 1
	v_mul_lo_u32 v10, s18, v21
	s_cselect_b32 s1, -1, 0
	s_add_co_i32 s18, s30, -1
	s_add_co_i32 s33, s30, 1
	s_lshl_b64 s[28:29], s[18:19], 3
	s_delay_alu instid0(SALU_CYCLE_1) | instskip(NEXT) | instid1(SALU_CYCLE_1)
	s_add_nc_u64 s[26:27], s[26:27], s[28:29]
	s_add_nc_u64 s[26:27], s[26:27], 8
	v_ldexp_f64 v[6:7], v[6:7], 32
	s_delay_alu instid0(VALU_DEP_1)
	v_add_f64_e32 v[6:7], v[6:7], v[8:9]
	v_add_f64_e64 v[8:9], s[8:9], -s[6:7]
	s_branch .LBB78_9
.LBB78_8:                               ;   in Loop: Header=BB78_9 Depth=1
	s_or_b32 exec_lo, exec_lo, s0
	v_add_nc_u64_e32 v[2:3], v[2:3], v[10:11]
	s_delay_alu instid0(VALU_DEP_1) | instskip(SKIP_1) | instid1(SALU_CYCLE_1)
	v_cmp_le_i64_e32 vcc_lo, s[10:11], v[2:3]
	s_or_b32 s38, vcc_lo, s38
	s_and_not1_b32 exec_lo, exec_lo, s38
	s_cbranch_execz .LBB78_18
.LBB78_9:                               ; =>This Loop Header: Depth=1
                                        ;     Child Loop BB78_10 Depth 2
	v_mov_b64_e32 v[14:15], 0
	v_mov_b64_e32 v[16:17], v[2:3]
	v_mov_b64_e32 v[18:19], v[2:3]
	s_and_not1_b32 vcc_lo, exec_lo, s1
	s_mov_b64 s[28:29], s[26:27]
	s_mov_b32 s39, s33
	s_cbranch_vccnz .LBB78_16
.LBB78_10:                              ;   Parent Loop BB78_9 Depth=1
                                        ; =>  This Inner Loop Header: Depth=2
	s_load_b64 s[30:31], s[28:29], 0x0
                                        ; implicit-def: $vgpr18_vgpr19
	s_mov_b32 s0, exec_lo
	s_wait_kmcnt 0x0
	s_delay_alu instid0(VALU_DEP_1) | instskip(NEXT) | instid1(VALU_DEP_1)
	v_or_b32_e32 v5, s31, v17
	v_cmpx_ne_u64_e32 0, v[4:5]
	s_xor_b32 s40, exec_lo, s0
	s_cbranch_execz .LBB78_12
; %bb.11:                               ;   in Loop: Header=BB78_10 Depth=2
	s_ashr_i32 s34, s31, 31
	v_dual_mov_b32 v27, v4 :: v_dual_ashrrev_i32 v18, 31, v17
	s_mov_b32 s35, s34
	s_delay_alu instid0(SALU_CYCLE_1) | instskip(NEXT) | instid1(VALU_DEP_1)
	s_add_nc_u64 s[36:37], s[30:31], s[34:35]
	v_mov_b32_e32 v19, v18
	s_xor_b64 s[36:37], s[36:37], s[34:35]
	s_delay_alu instid0(SALU_CYCLE_1)
	s_cvt_f32_u32 s0, s36
	s_cvt_f32_u32 s18, s37
	s_sub_nc_u64 s[44:45], 0, s[36:37]
	v_add_nc_u64_e32 v[24:25], v[16:17], v[18:19]
	v_mov_b32_e32 v31, v4
	s_fmamk_f32 s0, s18, 0x4f800000, s0
	s_delay_alu instid0(SALU_CYCLE_3) | instskip(NEXT) | instid1(VALU_DEP_2)
	v_s_rcp_f32 s0, s0
	v_xor_b32_e32 v26, v24, v18
	s_delay_alu instid0(VALU_DEP_3) | instskip(SKIP_1) | instid1(TRANS32_DEP_1)
	v_dual_mov_b32 v35, v4 :: v_dual_bitop2_b32 v30, v25, v18 bitop3:0x14
	v_xor_b32_e32 v18, s34, v18
	s_mul_f32 s0, s0, 0x5f7ffffc
	s_delay_alu instid0(SALU_CYCLE_3) | instskip(NEXT) | instid1(SALU_CYCLE_3)
	s_mul_f32 s18, s0, 0x2f800000
	s_trunc_f32 s18, s18
	s_delay_alu instid0(SALU_CYCLE_3) | instskip(SKIP_1) | instid1(SALU_CYCLE_2)
	s_fmamk_f32 s0, s18, 0xcf800000, s0
	s_cvt_u32_f32 s43, s18
	s_cvt_u32_f32 s42, s0
	s_delay_alu instid0(SALU_CYCLE_3) | instskip(NEXT) | instid1(SALU_CYCLE_1)
	s_mul_u64 s[46:47], s[44:45], s[42:43]
	s_mul_hi_u32 s49, s42, s47
	s_mul_i32 s48, s42, s47
	s_mul_hi_u32 s18, s42, s46
	s_mul_i32 s35, s43, s46
	s_add_nc_u64 s[48:49], s[18:19], s[48:49]
	s_mul_hi_u32 s0, s43, s46
	s_mul_hi_u32 s41, s43, s47
	s_add_co_u32 s18, s48, s35
	s_add_co_ci_u32 s18, s49, s0
	s_mul_i32 s46, s43, s47
	s_add_co_ci_u32 s47, s41, 0
	s_delay_alu instid0(SALU_CYCLE_1) | instskip(NEXT) | instid1(SALU_CYCLE_1)
	s_add_nc_u64 s[46:47], s[18:19], s[46:47]
	s_add_co_u32 s42, s42, s46
	s_cselect_b32 s0, -1, 0
	s_delay_alu instid0(SALU_CYCLE_1) | instskip(SKIP_1) | instid1(SALU_CYCLE_1)
	s_cmp_lg_u32 s0, 0
	s_add_co_ci_u32 s43, s43, s47
	s_mul_u64 s[44:45], s[44:45], s[42:43]
	s_delay_alu instid0(SALU_CYCLE_1)
	s_mul_hi_u32 s47, s42, s45
	s_mul_i32 s46, s42, s45
	s_mul_hi_u32 s18, s42, s44
	s_mul_i32 s35, s43, s44
	s_add_nc_u64 s[46:47], s[18:19], s[46:47]
	s_mul_hi_u32 s0, s43, s44
	s_mul_hi_u32 s41, s43, s45
	s_add_co_u32 s18, s46, s35
	s_add_co_ci_u32 s18, s47, s0
	s_mul_i32 s44, s43, s45
	s_add_co_ci_u32 s45, s41, 0
	s_delay_alu instid0(SALU_CYCLE_1) | instskip(NEXT) | instid1(SALU_CYCLE_1)
	s_add_nc_u64 s[44:45], s[18:19], s[44:45]
	s_add_co_u32 s0, s42, s44
	s_cselect_b32 s18, -1, 0
	v_mul_hi_u32 v34, v26, s0
	s_cmp_lg_u32 s18, 0
	s_add_co_ci_u32 s18, s43, s45
	s_and_b64 s[42:43], s[0:1], s[24:25]
	v_mul_u64_e32 v[28:29], s[18:19], v[26:27]
	v_mul_u64_e32 v[24:25], s[42:43], v[30:31]
	;; [unrolled: 1-line block ×3, first 2 shown]
	s_delay_alu instid0(VALU_DEP_3) | instskip(NEXT) | instid1(VALU_DEP_1)
	v_add_nc_u64_e32 v[28:29], v[34:35], v[28:29]
	v_add_co_u32 v5, vcc_lo, v28, v24
	s_delay_alu instid0(VALU_DEP_2) | instskip(NEXT) | instid1(VALU_DEP_4)
	v_add_co_ci_u32_e32 v34, vcc_lo, v29, v25, vcc_lo
	v_add_co_ci_u32_e32 v33, vcc_lo, 0, v33, vcc_lo
	s_delay_alu instid0(VALU_DEP_1) | instskip(NEXT) | instid1(VALU_DEP_1)
	v_add_nc_u64_e32 v[24:25], v[34:35], v[32:33]
	v_mul_u64_e32 v[28:29], s[36:37], v[24:25]
	s_delay_alu instid0(VALU_DEP_1) | instskip(NEXT) | instid1(VALU_DEP_2)
	v_sub_nc_u32_e32 v5, v30, v29
	v_sub_co_u32 v19, vcc_lo, v26, v28
	s_delay_alu instid0(VALU_DEP_1) | instskip(NEXT) | instid1(VALU_DEP_3)
	v_sub_co_ci_u32_e64 v30, null, v30, v29, vcc_lo
	v_subrev_co_ci_u32_e64 v5, null, s37, v5, vcc_lo
	s_delay_alu instid0(VALU_DEP_3) | instskip(SKIP_1) | instid1(VALU_DEP_3)
	v_sub_co_u32 v23, s0, v19, s36
	v_add_nc_u64_e32 v[28:29], 1, v[24:25]
	v_subrev_co_ci_u32_e64 v5, null, 0, v5, s0
	s_delay_alu instid0(VALU_DEP_3) | instskip(SKIP_1) | instid1(VALU_DEP_3)
	v_cmp_le_u32_e32 vcc_lo, s36, v23
	v_cndmask_b32_e64 v23, 0, -1, vcc_lo
	v_cmp_le_u32_e32 vcc_lo, s37, v5
	v_cndmask_b32_e64 v26, 0, -1, vcc_lo
	;; [unrolled: 2-line block ×4, first 2 shown]
	v_cmp_eq_u32_e32 vcc_lo, s37, v5
	v_cndmask_b32_e32 v5, v26, v23, vcc_lo
	v_cmp_eq_u32_e32 vcc_lo, s37, v30
	v_add_nc_u64_e32 v[26:27], 2, v[24:25]
	v_cndmask_b32_e32 v19, v31, v19, vcc_lo
	s_delay_alu instid0(VALU_DEP_4) | instskip(NEXT) | instid1(VALU_DEP_2)
	v_cmp_ne_u32_e32 vcc_lo, 0, v5
	v_cmp_ne_u32_e64 s0, 0, v19
	s_delay_alu instid0(VALU_DEP_4) | instskip(NEXT) | instid1(VALU_DEP_1)
	v_dual_cndmask_b32 v5, v29, v27, vcc_lo :: v_dual_cndmask_b32 v19, v28, v26, vcc_lo
	v_dual_cndmask_b32 v23, v24, v19, s0 :: v_dual_mov_b32 v19, v18
	s_delay_alu instid0(VALU_DEP_1) | instskip(NEXT) | instid1(VALU_DEP_1)
	v_dual_cndmask_b32 v5, v25, v5, s0 :: v_dual_bitop2_b32 v24, v23, v18 bitop3:0x14
	v_xor_b32_e32 v25, v5, v18
	s_delay_alu instid0(VALU_DEP_1)
	v_sub_nc_u64_e32 v[18:19], v[24:25], v[18:19]
.LBB78_12:                              ;   in Loop: Header=BB78_10 Depth=2
	s_and_not1_saveexec_b32 s0, s40
	s_cbranch_execz .LBB78_14
; %bb.13:                               ;   in Loop: Header=BB78_10 Depth=2
	v_cvt_f32_u32_e32 v5, s30
	s_sub_co_i32 s18, 0, s30
	s_delay_alu instid0(VALU_DEP_1) | instskip(SKIP_1) | instid1(TRANS32_DEP_1)
	v_rcp_iflag_f32_e32 v5, v5
	v_nop
	v_mul_f32_e32 v5, 0x4f7ffffe, v5
	s_delay_alu instid0(VALU_DEP_1) | instskip(NEXT) | instid1(VALU_DEP_1)
	v_cvt_u32_f32_e32 v5, v5
	v_mul_lo_u32 v18, s18, v5
	s_delay_alu instid0(VALU_DEP_1) | instskip(NEXT) | instid1(VALU_DEP_1)
	v_mul_hi_u32 v18, v5, v18
	v_add_nc_u32_e32 v5, v5, v18
	s_delay_alu instid0(VALU_DEP_1) | instskip(NEXT) | instid1(VALU_DEP_1)
	v_mul_hi_u32 v5, v16, v5
	v_mul_lo_u32 v18, v5, s30
	s_delay_alu instid0(VALU_DEP_1) | instskip(NEXT) | instid1(VALU_DEP_1)
	v_dual_add_nc_u32 v19, 1, v5 :: v_dual_sub_nc_u32 v18, v16, v18
	v_subrev_nc_u32_e32 v23, s30, v18
	v_cmp_le_u32_e32 vcc_lo, s30, v18
	s_delay_alu instid0(VALU_DEP_2) | instskip(NEXT) | instid1(VALU_DEP_4)
	v_cndmask_b32_e32 v18, v18, v23, vcc_lo
	v_cndmask_b32_e32 v5, v5, v19, vcc_lo
	s_delay_alu instid0(VALU_DEP_2) | instskip(NEXT) | instid1(VALU_DEP_2)
	v_cmp_le_u32_e32 vcc_lo, s30, v18
	v_add_nc_u32_e32 v19, 1, v5
	s_delay_alu instid0(VALU_DEP_1)
	v_dual_cndmask_b32 v18, v5, v19 :: v_dual_mov_b32 v19, v4
.LBB78_14:                              ;   in Loop: Header=BB78_10 Depth=2
	s_or_b32 exec_lo, exec_lo, s0
	s_delay_alu instid0(VALU_DEP_1)
	v_mul_u64_e32 v[24:25], s[30:31], v[18:19]
	s_load_b64 s[30:31], s[28:29], 0xc8
	s_add_co_i32 s39, s39, -1
	s_wait_xcnt 0x0
	s_add_nc_u64 s[28:29], s[28:29], -8
	s_cmp_gt_u32 s39, 2
	s_delay_alu instid0(VALU_DEP_1) | instskip(SKIP_1) | instid1(VALU_DEP_1)
	v_sub_nc_u64_e32 v[16:17], v[16:17], v[24:25]
	s_wait_kmcnt 0x0
	v_mad_nc_u64_u32 v[14:15], s30, v16, v[14:15]
	s_delay_alu instid0(VALU_DEP_1) | instskip(NEXT) | instid1(VALU_DEP_1)
	v_mad_u32 v5, s31, v16, v15
	v_mad_u32 v15, s30, v17, v5
	s_cbranch_scc0 .LBB78_16
; %bb.15:                               ;   in Loop: Header=BB78_10 Depth=2
	v_mov_b64_e32 v[16:17], v[18:19]
	s_branch .LBB78_10
.LBB78_16:                              ;   in Loop: Header=BB78_9 Depth=1
	s_delay_alu instid0(VALU_DEP_1) | instskip(NEXT) | instid1(VALU_DEP_1)
	v_mul_u64_e32 v[16:17], s[20:21], v[18:19]
	v_lshl_add_u64 v[16:17], v[16:17], 3, s[22:23]
	s_delay_alu instid0(VALU_DEP_1)
	v_lshl_add_u64 v[14:15], v[14:15], 3, v[16:17]
	global_load_b64 v[14:15], v[14:15], off
	s_wait_loadcnt 0x0
	v_cmp_le_f64_e32 vcc_lo, s[6:7], v[14:15]
	v_cmp_ge_f64_e64 s0, s[8:9], v[14:15]
	s_and_b32 s18, vcc_lo, s0
	s_wait_xcnt 0x0
	s_and_saveexec_b32 s0, s18
	s_cbranch_execz .LBB78_8
; %bb.17:                               ;   in Loop: Header=BB78_9 Depth=1
	v_add_f64_e64 v[14:15], v[14:15], -s[6:7]
	s_delay_alu instid0(VALU_DEP_1) | instskip(NEXT) | instid1(VALU_DEP_1)
	v_mul_f64_e32 v[14:15], v[14:15], v[6:7]
	v_div_scale_f64 v[16:17], null, v[8:9], v[8:9], v[14:15]
	v_div_scale_f64 v[26:27], vcc_lo, v[14:15], v[8:9], v[14:15]
	s_delay_alu instid0(VALU_DEP_2) | instskip(SKIP_1) | instid1(TRANS32_DEP_1)
	v_rcp_f64_e32 v[18:19], v[16:17]
	v_nop
	v_fma_f64 v[24:25], -v[16:17], v[18:19], 1.0
	s_delay_alu instid0(VALU_DEP_1) | instskip(NEXT) | instid1(VALU_DEP_1)
	v_fmac_f64_e32 v[18:19], v[18:19], v[24:25]
	v_fma_f64 v[24:25], -v[16:17], v[18:19], 1.0
	s_delay_alu instid0(VALU_DEP_1) | instskip(NEXT) | instid1(VALU_DEP_1)
	v_fmac_f64_e32 v[18:19], v[18:19], v[24:25]
	v_mul_f64_e32 v[24:25], v[26:27], v[18:19]
	s_delay_alu instid0(VALU_DEP_1) | instskip(NEXT) | instid1(VALU_DEP_1)
	v_fma_f64 v[16:17], -v[16:17], v[24:25], v[26:27]
	v_div_fmas_f64 v[16:17], v[16:17], v[18:19], v[24:25]
	s_delay_alu instid0(VALU_DEP_1) | instskip(NEXT) | instid1(VALU_DEP_1)
	v_div_fixup_f64 v[14:15], v[16:17], v[8:9], v[14:15]
	v_cvt_i32_f64_e32 v14, v[14:15]
	s_delay_alu instid0(VALU_DEP_1) | instskip(NEXT) | instid1(VALU_DEP_1)
	v_ashrrev_i32_e32 v15, 31, v14
	v_cmp_eq_u64_e32 vcc_lo, s[4:5], v[14:15]
	v_lshlrev_b32_e32 v14, 3, v14
	v_cndmask_b32_e64 v5, 0, -1, vcc_lo
	s_delay_alu instid0(VALU_DEP_1) | instskip(NEXT) | instid1(VALU_DEP_1)
	v_lshlrev_b32_e32 v5, 3, v5
	v_add3_u32 v5, 0, v5, v14
	ds_add_f64 v5, v[12:13]
	s_branch .LBB78_8
.LBB78_18:
	s_or_b32 exec_lo, exec_lo, s3
; %bb.19:
	s_wait_dscnt 0x0
	s_barrier_signal -1
	s_barrier_wait -1
	s_and_saveexec_b32 s0, s2
	s_cbranch_execz .LBB78_22
; %bb.20:
	s_mov_b32 s0, 0
	v_and_b32_e32 v2, 0xffff, v22
	v_dual_mov_b32 v3, s0 :: v_dual_lshlrev_b32 v8, 3, v21
	v_mul_u64_e32 v[6:7], s[16:17], v[0:1]
	s_delay_alu instid0(VALU_DEP_2) | instskip(NEXT) | instid1(VALU_DEP_2)
	v_mul_u64_e32 v[4:5], s[16:17], v[2:3]
	v_lshl_add_u64 v[6:7], v[6:7], 3, s[12:13]
	s_delay_alu instid0(VALU_DEP_2)
	v_lshlrev_b64_e32 v[4:5], 3, v[4:5]
.LBB78_21:                              ; =>This Inner Loop Header: Depth=1
	ds_load_b64 v[10:11], v20
	v_add_nc_u64_e32 v[0:1], v[0:1], v[2:3]
	v_add_nc_u32_e32 v20, v20, v8
	s_delay_alu instid0(VALU_DEP_2)
	v_cmp_le_i64_e32 vcc_lo, s[14:15], v[0:1]
	s_or_b32 s0, vcc_lo, s0
	s_wait_dscnt 0x0
	global_atomic_add_f64 v[6:7], v[10:11], off scope:SCOPE_DEV
	s_wait_xcnt 0x0
	v_add_nc_u64_e32 v[6:7], v[6:7], v[4:5]
	s_and_not1_b32 exec_lo, exec_lo, s0
	s_cbranch_execnz .LBB78_21
.LBB78_22:
	s_endpgm
	.section	.rodata,"a",@progbits
	.p2align	6, 0x0
	.amdhsa_kernel _ZN2at4cuda17kernelHistogram1DIddlLi1ELi2ELin1ELNS0_23CUDAHistogramMemoryTypeE0EZNS0_21CUDA_tensor_histogramIddLb0EEEbNS_6TensorES4_S4_lNS_14AccumulateTypeIT0_Lb1EE4typeES8_NS0_13TensorArgTypeES9_S9_EUllE0_EEvNS0_6detail10TensorInfoIT_T1_EESF_NSC_IKS6_SE_EElS8_S8_SE_T6_
		.amdhsa_group_segment_fixed_size 0
		.amdhsa_private_segment_fixed_size 0
		.amdhsa_kernarg_size 1544
		.amdhsa_user_sgpr_count 2
		.amdhsa_user_sgpr_dispatch_ptr 0
		.amdhsa_user_sgpr_queue_ptr 0
		.amdhsa_user_sgpr_kernarg_segment_ptr 1
		.amdhsa_user_sgpr_dispatch_id 0
		.amdhsa_user_sgpr_kernarg_preload_length 0
		.amdhsa_user_sgpr_kernarg_preload_offset 0
		.amdhsa_user_sgpr_private_segment_size 0
		.amdhsa_wavefront_size32 1
		.amdhsa_uses_dynamic_stack 0
		.amdhsa_enable_private_segment 0
		.amdhsa_system_sgpr_workgroup_id_x 1
		.amdhsa_system_sgpr_workgroup_id_y 0
		.amdhsa_system_sgpr_workgroup_id_z 0
		.amdhsa_system_sgpr_workgroup_info 0
		.amdhsa_system_vgpr_workitem_id 0
		.amdhsa_next_free_vgpr 36
		.amdhsa_next_free_sgpr 50
		.amdhsa_named_barrier_count 0
		.amdhsa_reserve_vcc 1
		.amdhsa_float_round_mode_32 0
		.amdhsa_float_round_mode_16_64 0
		.amdhsa_float_denorm_mode_32 3
		.amdhsa_float_denorm_mode_16_64 3
		.amdhsa_fp16_overflow 0
		.amdhsa_memory_ordered 1
		.amdhsa_forward_progress 1
		.amdhsa_inst_pref_size 14
		.amdhsa_round_robin_scheduling 0
		.amdhsa_exception_fp_ieee_invalid_op 0
		.amdhsa_exception_fp_denorm_src 0
		.amdhsa_exception_fp_ieee_div_zero 0
		.amdhsa_exception_fp_ieee_overflow 0
		.amdhsa_exception_fp_ieee_underflow 0
		.amdhsa_exception_fp_ieee_inexact 0
		.amdhsa_exception_int_div_zero 0
	.end_amdhsa_kernel
	.section	.text._ZN2at4cuda17kernelHistogram1DIddlLi1ELi2ELin1ELNS0_23CUDAHistogramMemoryTypeE0EZNS0_21CUDA_tensor_histogramIddLb0EEEbNS_6TensorES4_S4_lNS_14AccumulateTypeIT0_Lb1EE4typeES8_NS0_13TensorArgTypeES9_S9_EUllE0_EEvNS0_6detail10TensorInfoIT_T1_EESF_NSC_IKS6_SE_EElS8_S8_SE_T6_,"axG",@progbits,_ZN2at4cuda17kernelHistogram1DIddlLi1ELi2ELin1ELNS0_23CUDAHistogramMemoryTypeE0EZNS0_21CUDA_tensor_histogramIddLb0EEEbNS_6TensorES4_S4_lNS_14AccumulateTypeIT0_Lb1EE4typeES8_NS0_13TensorArgTypeES9_S9_EUllE0_EEvNS0_6detail10TensorInfoIT_T1_EESF_NSC_IKS6_SE_EElS8_S8_SE_T6_,comdat
.Lfunc_end78:
	.size	_ZN2at4cuda17kernelHistogram1DIddlLi1ELi2ELin1ELNS0_23CUDAHistogramMemoryTypeE0EZNS0_21CUDA_tensor_histogramIddLb0EEEbNS_6TensorES4_S4_lNS_14AccumulateTypeIT0_Lb1EE4typeES8_NS0_13TensorArgTypeES9_S9_EUllE0_EEvNS0_6detail10TensorInfoIT_T1_EESF_NSC_IKS6_SE_EElS8_S8_SE_T6_, .Lfunc_end78-_ZN2at4cuda17kernelHistogram1DIddlLi1ELi2ELin1ELNS0_23CUDAHistogramMemoryTypeE0EZNS0_21CUDA_tensor_histogramIddLb0EEEbNS_6TensorES4_S4_lNS_14AccumulateTypeIT0_Lb1EE4typeES8_NS0_13TensorArgTypeES9_S9_EUllE0_EEvNS0_6detail10TensorInfoIT_T1_EESF_NSC_IKS6_SE_EElS8_S8_SE_T6_
                                        ; -- End function
	.set _ZN2at4cuda17kernelHistogram1DIddlLi1ELi2ELin1ELNS0_23CUDAHistogramMemoryTypeE0EZNS0_21CUDA_tensor_histogramIddLb0EEEbNS_6TensorES4_S4_lNS_14AccumulateTypeIT0_Lb1EE4typeES8_NS0_13TensorArgTypeES9_S9_EUllE0_EEvNS0_6detail10TensorInfoIT_T1_EESF_NSC_IKS6_SE_EElS8_S8_SE_T6_.num_vgpr, 36
	.set _ZN2at4cuda17kernelHistogram1DIddlLi1ELi2ELin1ELNS0_23CUDAHistogramMemoryTypeE0EZNS0_21CUDA_tensor_histogramIddLb0EEEbNS_6TensorES4_S4_lNS_14AccumulateTypeIT0_Lb1EE4typeES8_NS0_13TensorArgTypeES9_S9_EUllE0_EEvNS0_6detail10TensorInfoIT_T1_EESF_NSC_IKS6_SE_EElS8_S8_SE_T6_.num_agpr, 0
	.set _ZN2at4cuda17kernelHistogram1DIddlLi1ELi2ELin1ELNS0_23CUDAHistogramMemoryTypeE0EZNS0_21CUDA_tensor_histogramIddLb0EEEbNS_6TensorES4_S4_lNS_14AccumulateTypeIT0_Lb1EE4typeES8_NS0_13TensorArgTypeES9_S9_EUllE0_EEvNS0_6detail10TensorInfoIT_T1_EESF_NSC_IKS6_SE_EElS8_S8_SE_T6_.numbered_sgpr, 50
	.set _ZN2at4cuda17kernelHistogram1DIddlLi1ELi2ELin1ELNS0_23CUDAHistogramMemoryTypeE0EZNS0_21CUDA_tensor_histogramIddLb0EEEbNS_6TensorES4_S4_lNS_14AccumulateTypeIT0_Lb1EE4typeES8_NS0_13TensorArgTypeES9_S9_EUllE0_EEvNS0_6detail10TensorInfoIT_T1_EESF_NSC_IKS6_SE_EElS8_S8_SE_T6_.num_named_barrier, 0
	.set _ZN2at4cuda17kernelHistogram1DIddlLi1ELi2ELin1ELNS0_23CUDAHistogramMemoryTypeE0EZNS0_21CUDA_tensor_histogramIddLb0EEEbNS_6TensorES4_S4_lNS_14AccumulateTypeIT0_Lb1EE4typeES8_NS0_13TensorArgTypeES9_S9_EUllE0_EEvNS0_6detail10TensorInfoIT_T1_EESF_NSC_IKS6_SE_EElS8_S8_SE_T6_.private_seg_size, 0
	.set _ZN2at4cuda17kernelHistogram1DIddlLi1ELi2ELin1ELNS0_23CUDAHistogramMemoryTypeE0EZNS0_21CUDA_tensor_histogramIddLb0EEEbNS_6TensorES4_S4_lNS_14AccumulateTypeIT0_Lb1EE4typeES8_NS0_13TensorArgTypeES9_S9_EUllE0_EEvNS0_6detail10TensorInfoIT_T1_EESF_NSC_IKS6_SE_EElS8_S8_SE_T6_.uses_vcc, 1
	.set _ZN2at4cuda17kernelHistogram1DIddlLi1ELi2ELin1ELNS0_23CUDAHistogramMemoryTypeE0EZNS0_21CUDA_tensor_histogramIddLb0EEEbNS_6TensorES4_S4_lNS_14AccumulateTypeIT0_Lb1EE4typeES8_NS0_13TensorArgTypeES9_S9_EUllE0_EEvNS0_6detail10TensorInfoIT_T1_EESF_NSC_IKS6_SE_EElS8_S8_SE_T6_.uses_flat_scratch, 0
	.set _ZN2at4cuda17kernelHistogram1DIddlLi1ELi2ELin1ELNS0_23CUDAHistogramMemoryTypeE0EZNS0_21CUDA_tensor_histogramIddLb0EEEbNS_6TensorES4_S4_lNS_14AccumulateTypeIT0_Lb1EE4typeES8_NS0_13TensorArgTypeES9_S9_EUllE0_EEvNS0_6detail10TensorInfoIT_T1_EESF_NSC_IKS6_SE_EElS8_S8_SE_T6_.has_dyn_sized_stack, 0
	.set _ZN2at4cuda17kernelHistogram1DIddlLi1ELi2ELin1ELNS0_23CUDAHistogramMemoryTypeE0EZNS0_21CUDA_tensor_histogramIddLb0EEEbNS_6TensorES4_S4_lNS_14AccumulateTypeIT0_Lb1EE4typeES8_NS0_13TensorArgTypeES9_S9_EUllE0_EEvNS0_6detail10TensorInfoIT_T1_EESF_NSC_IKS6_SE_EElS8_S8_SE_T6_.has_recursion, 0
	.set _ZN2at4cuda17kernelHistogram1DIddlLi1ELi2ELin1ELNS0_23CUDAHistogramMemoryTypeE0EZNS0_21CUDA_tensor_histogramIddLb0EEEbNS_6TensorES4_S4_lNS_14AccumulateTypeIT0_Lb1EE4typeES8_NS0_13TensorArgTypeES9_S9_EUllE0_EEvNS0_6detail10TensorInfoIT_T1_EESF_NSC_IKS6_SE_EElS8_S8_SE_T6_.has_indirect_call, 0
	.section	.AMDGPU.csdata,"",@progbits
; Kernel info:
; codeLenInByte = 1740
; TotalNumSgprs: 52
; NumVgprs: 36
; ScratchSize: 0
; MemoryBound: 0
; FloatMode: 240
; IeeeMode: 1
; LDSByteSize: 0 bytes/workgroup (compile time only)
; SGPRBlocks: 0
; VGPRBlocks: 2
; NumSGPRsForWavesPerEU: 52
; NumVGPRsForWavesPerEU: 36
; NamedBarCnt: 0
; Occupancy: 16
; WaveLimiterHint : 1
; COMPUTE_PGM_RSRC2:SCRATCH_EN: 0
; COMPUTE_PGM_RSRC2:USER_SGPR: 2
; COMPUTE_PGM_RSRC2:TRAP_HANDLER: 0
; COMPUTE_PGM_RSRC2:TGID_X_EN: 1
; COMPUTE_PGM_RSRC2:TGID_Y_EN: 0
; COMPUTE_PGM_RSRC2:TGID_Z_EN: 0
; COMPUTE_PGM_RSRC2:TIDIG_COMP_CNT: 0
	.section	.text._ZN2at4cuda17kernelHistogram1DIddlLi1ELi2ELin1ELNS0_23CUDAHistogramMemoryTypeE1EZNS0_21CUDA_tensor_histogramIddLb0EEEbNS_6TensorES4_S4_lNS_14AccumulateTypeIT0_Lb1EE4typeES8_NS0_13TensorArgTypeES9_S9_EUllE0_EEvNS0_6detail10TensorInfoIT_T1_EESF_NSC_IKS6_SE_EElS8_S8_SE_T6_,"axG",@progbits,_ZN2at4cuda17kernelHistogram1DIddlLi1ELi2ELin1ELNS0_23CUDAHistogramMemoryTypeE1EZNS0_21CUDA_tensor_histogramIddLb0EEEbNS_6TensorES4_S4_lNS_14AccumulateTypeIT0_Lb1EE4typeES8_NS0_13TensorArgTypeES9_S9_EUllE0_EEvNS0_6detail10TensorInfoIT_T1_EESF_NSC_IKS6_SE_EElS8_S8_SE_T6_,comdat
	.protected	_ZN2at4cuda17kernelHistogram1DIddlLi1ELi2ELin1ELNS0_23CUDAHistogramMemoryTypeE1EZNS0_21CUDA_tensor_histogramIddLb0EEEbNS_6TensorES4_S4_lNS_14AccumulateTypeIT0_Lb1EE4typeES8_NS0_13TensorArgTypeES9_S9_EUllE0_EEvNS0_6detail10TensorInfoIT_T1_EESF_NSC_IKS6_SE_EElS8_S8_SE_T6_ ; -- Begin function _ZN2at4cuda17kernelHistogram1DIddlLi1ELi2ELin1ELNS0_23CUDAHistogramMemoryTypeE1EZNS0_21CUDA_tensor_histogramIddLb0EEEbNS_6TensorES4_S4_lNS_14AccumulateTypeIT0_Lb1EE4typeES8_NS0_13TensorArgTypeES9_S9_EUllE0_EEvNS0_6detail10TensorInfoIT_T1_EESF_NSC_IKS6_SE_EElS8_S8_SE_T6_
	.globl	_ZN2at4cuda17kernelHistogram1DIddlLi1ELi2ELin1ELNS0_23CUDAHistogramMemoryTypeE1EZNS0_21CUDA_tensor_histogramIddLb0EEEbNS_6TensorES4_S4_lNS_14AccumulateTypeIT0_Lb1EE4typeES8_NS0_13TensorArgTypeES9_S9_EUllE0_EEvNS0_6detail10TensorInfoIT_T1_EESF_NSC_IKS6_SE_EElS8_S8_SE_T6_
	.p2align	8
	.type	_ZN2at4cuda17kernelHistogram1DIddlLi1ELi2ELin1ELNS0_23CUDAHistogramMemoryTypeE1EZNS0_21CUDA_tensor_histogramIddLb0EEEbNS_6TensorES4_S4_lNS_14AccumulateTypeIT0_Lb1EE4typeES8_NS0_13TensorArgTypeES9_S9_EUllE0_EEvNS0_6detail10TensorInfoIT_T1_EESF_NSC_IKS6_SE_EElS8_S8_SE_T6_,@function
_ZN2at4cuda17kernelHistogram1DIddlLi1ELi2ELin1ELNS0_23CUDAHistogramMemoryTypeE1EZNS0_21CUDA_tensor_histogramIddLb0EEEbNS_6TensorES4_S4_lNS_14AccumulateTypeIT0_Lb1EE4typeES8_NS0_13TensorArgTypeES9_S9_EUllE0_EEvNS0_6detail10TensorInfoIT_T1_EESF_NSC_IKS6_SE_EElS8_S8_SE_T6_: ; @_ZN2at4cuda17kernelHistogram1DIddlLi1ELi2ELin1ELNS0_23CUDAHistogramMemoryTypeE1EZNS0_21CUDA_tensor_histogramIddLb0EEEbNS_6TensorES4_S4_lNS_14AccumulateTypeIT0_Lb1EE4typeES8_NS0_13TensorArgTypeES9_S9_EUllE0_EEvNS0_6detail10TensorInfoIT_T1_EESF_NSC_IKS6_SE_EElS8_S8_SE_T6_
; %bb.0:
	s_load_b32 s2, s[0:1], 0x514
	s_bfe_u32 s12, ttmp6, 0x4000c
	s_load_b256 s[4:11], s[0:1], 0x4e0
	s_add_co_i32 s12, s12, 1
	s_and_b32 s3, ttmp6, 15
	s_mul_i32 s12, ttmp9, s12
	s_getreg_b32 s13, hwreg(HW_REG_IB_STS2, 6, 4)
	s_add_co_i32 s3, s3, s12
	v_mov_b32_e32 v2, 0
	s_mov_b32 s12, exec_lo
	s_delay_alu instid0(VALU_DEP_1) | instskip(SKIP_4) | instid1(SALU_CYCLE_1)
	v_mov_b32_e32 v1, v2
	s_wait_kmcnt 0x0
	s_and_b32 s2, s2, 0xffff
	s_cmp_eq_u32 s13, 0
	s_cselect_b32 s3, ttmp9, s3
	v_mad_u32 v0, s3, s2, v0
	s_mov_b32 s3, 0
	s_delay_alu instid0(VALU_DEP_1)
	v_cmpx_gt_i64_e64 s[10:11], v[0:1]
	s_cbranch_execz .LBB79_12
; %bb.1:
	v_cvt_f64_i32_e32 v[4:5], s5
	v_cvt_f64_u32_e32 v[6:7], s4
	s_add_nc_u64 s[12:13], s[0:1], 0x508
	s_load_b32 s28, s[0:1], 0x4d8
	s_load_b32 s20, s[12:13], 0x0
	s_wait_xcnt 0x0
	s_clause 0x3
	s_load_b64 s[12:13], s[0:1], 0x0
	s_load_b64 s[14:15], s[0:1], 0xd0
	s_load_b64 s[16:17], s[0:1], 0x410
	s_load_b64 s[18:19], s[0:1], 0x340
	s_add_nc_u64 s[24:25], s[0:1], 0x340
	v_mov_b64_e32 v[8:9], 1.0
	s_mov_b32 s21, s3
	s_mov_b64 s[22:23], 0xffffffff
	s_mov_b32 s36, 0
	s_wait_kmcnt 0x0
	s_cmp_gt_i32 s28, 1
	s_mul_i32 s20, s20, s2
	s_cselect_b32 s1, -1, 0
	s_add_co_i32 s2, s28, -1
	s_add_co_i32 s33, s28, 1
	s_lshl_b64 s[26:27], s[2:3], 3
	s_delay_alu instid0(SALU_CYCLE_1) | instskip(NEXT) | instid1(SALU_CYCLE_1)
	s_add_nc_u64 s[24:25], s[24:25], s[26:27]
	s_add_nc_u64 s[24:25], s[24:25], 8
	s_delay_alu instid0(VALU_DEP_3) | instskip(NEXT) | instid1(VALU_DEP_1)
	v_ldexp_f64 v[4:5], v[4:5], 32
	v_add_f64_e32 v[4:5], v[4:5], v[6:7]
	v_add_f64_e64 v[6:7], s[8:9], -s[6:7]
	s_branch .LBB79_3
.LBB79_2:                               ;   in Loop: Header=BB79_3 Depth=1
	s_wait_xcnt 0x0
	s_or_b32 exec_lo, exec_lo, s0
	v_add_nc_u64_e32 v[0:1], s[20:21], v[0:1]
	s_delay_alu instid0(VALU_DEP_1) | instskip(SKIP_1) | instid1(SALU_CYCLE_1)
	v_cmp_le_i64_e32 vcc_lo, s[10:11], v[0:1]
	s_or_b32 s36, vcc_lo, s36
	s_and_not1_b32 exec_lo, exec_lo, s36
	s_cbranch_execz .LBB79_12
.LBB79_3:                               ; =>This Loop Header: Depth=1
                                        ;     Child Loop BB79_4 Depth 2
	v_mov_b64_e32 v[10:11], 0
	v_mov_b64_e32 v[12:13], v[0:1]
	;; [unrolled: 1-line block ×3, first 2 shown]
	s_and_not1_b32 vcc_lo, exec_lo, s1
	s_mov_b64 s[26:27], s[24:25]
	s_mov_b32 s37, s33
	s_cbranch_vccnz .LBB79_10
.LBB79_4:                               ;   Parent Loop BB79_3 Depth=1
                                        ; =>  This Inner Loop Header: Depth=2
	s_load_b64 s[28:29], s[26:27], 0x0
                                        ; implicit-def: $vgpr14_vgpr15
	s_mov_b32 s0, exec_lo
	s_wait_kmcnt 0x0
	s_delay_alu instid0(VALU_DEP_1) | instskip(NEXT) | instid1(VALU_DEP_1)
	v_or_b32_e32 v3, s29, v13
	v_cmpx_ne_u64_e32 0, v[2:3]
	s_xor_b32 s38, exec_lo, s0
	s_cbranch_execz .LBB79_6
; %bb.5:                                ;   in Loop: Header=BB79_4 Depth=2
	s_ashr_i32 s30, s29, 31
	v_dual_mov_b32 v19, v2 :: v_dual_ashrrev_i32 v14, 31, v13
	s_mov_b32 s31, s30
	v_mov_b32_e32 v27, v2
	s_add_nc_u64 s[34:35], s[28:29], s[30:31]
	s_delay_alu instid0(VALU_DEP_2) | instskip(SKIP_1) | instid1(SALU_CYCLE_1)
	v_mov_b32_e32 v15, v14
	s_xor_b64 s[34:35], s[34:35], s[30:31]
	s_cvt_f32_u32 s0, s34
	s_cvt_f32_u32 s2, s35
	s_sub_nc_u64 s[42:43], 0, s[34:35]
	v_add_nc_u64_e32 v[16:17], v[12:13], v[14:15]
	v_mov_b32_e32 v23, v2
	s_fmamk_f32 s0, s2, 0x4f800000, s0
	s_delay_alu instid0(SALU_CYCLE_3) | instskip(NEXT) | instid1(VALU_DEP_2)
	v_s_rcp_f32 s0, s0
	v_xor_b32_e32 v18, v16, v14
	s_delay_alu instid0(VALU_DEP_3) | instskip(NEXT) | instid1(TRANS32_DEP_1)
	v_xor_b32_e32 v22, v17, v14
	s_mul_f32 s0, s0, 0x5f7ffffc
	s_delay_alu instid0(SALU_CYCLE_3) | instskip(NEXT) | instid1(SALU_CYCLE_3)
	s_mul_f32 s2, s0, 0x2f800000
	s_trunc_f32 s2, s2
	s_delay_alu instid0(SALU_CYCLE_3) | instskip(SKIP_1) | instid1(SALU_CYCLE_2)
	s_fmamk_f32 s0, s2, 0xcf800000, s0
	s_cvt_u32_f32 s41, s2
	s_cvt_u32_f32 s40, s0
	s_delay_alu instid0(SALU_CYCLE_3) | instskip(NEXT) | instid1(SALU_CYCLE_1)
	s_mul_u64 s[44:45], s[42:43], s[40:41]
	s_mul_hi_u32 s47, s40, s45
	s_mul_i32 s46, s40, s45
	s_mul_hi_u32 s2, s40, s44
	s_mul_i32 s31, s41, s44
	s_add_nc_u64 s[46:47], s[2:3], s[46:47]
	s_mul_hi_u32 s0, s41, s44
	s_mul_hi_u32 s39, s41, s45
	s_add_co_u32 s2, s46, s31
	s_add_co_ci_u32 s2, s47, s0
	s_mul_i32 s44, s41, s45
	s_add_co_ci_u32 s45, s39, 0
	s_delay_alu instid0(SALU_CYCLE_1) | instskip(NEXT) | instid1(SALU_CYCLE_1)
	s_add_nc_u64 s[44:45], s[2:3], s[44:45]
	s_add_co_u32 s40, s40, s44
	s_cselect_b32 s0, -1, 0
	s_delay_alu instid0(SALU_CYCLE_1) | instskip(SKIP_1) | instid1(SALU_CYCLE_1)
	s_cmp_lg_u32 s0, 0
	s_add_co_ci_u32 s41, s41, s45
	s_mul_u64 s[42:43], s[42:43], s[40:41]
	s_delay_alu instid0(SALU_CYCLE_1)
	s_mul_hi_u32 s45, s40, s43
	s_mul_i32 s44, s40, s43
	s_mul_hi_u32 s2, s40, s42
	s_mul_i32 s31, s41, s42
	s_add_nc_u64 s[44:45], s[2:3], s[44:45]
	s_mul_hi_u32 s0, s41, s42
	s_mul_hi_u32 s39, s41, s43
	s_add_co_u32 s2, s44, s31
	s_add_co_ci_u32 s2, s45, s0
	s_mul_i32 s42, s41, s43
	s_add_co_ci_u32 s43, s39, 0
	s_delay_alu instid0(SALU_CYCLE_1) | instskip(NEXT) | instid1(SALU_CYCLE_1)
	s_add_nc_u64 s[42:43], s[2:3], s[42:43]
	s_add_co_u32 s0, s40, s42
	s_cselect_b32 s2, -1, 0
	v_mul_hi_u32 v26, v18, s0
	s_cmp_lg_u32 s2, 0
	s_add_co_ci_u32 s2, s41, s43
	s_and_b64 s[40:41], s[0:1], s[22:23]
	v_mul_u64_e32 v[20:21], s[2:3], v[18:19]
	v_mul_u64_e32 v[16:17], s[40:41], v[22:23]
	;; [unrolled: 1-line block ×3, first 2 shown]
	s_delay_alu instid0(VALU_DEP_3) | instskip(NEXT) | instid1(VALU_DEP_1)
	v_add_nc_u64_e32 v[20:21], v[26:27], v[20:21]
	v_add_co_u32 v3, vcc_lo, v20, v16
	s_delay_alu instid0(VALU_DEP_2) | instskip(NEXT) | instid1(VALU_DEP_4)
	v_add_co_ci_u32_e32 v26, vcc_lo, v21, v17, vcc_lo
	v_add_co_ci_u32_e32 v25, vcc_lo, 0, v25, vcc_lo
	s_delay_alu instid0(VALU_DEP_1) | instskip(NEXT) | instid1(VALU_DEP_1)
	v_add_nc_u64_e32 v[16:17], v[26:27], v[24:25]
	v_mul_u64_e32 v[20:21], s[34:35], v[16:17]
	s_delay_alu instid0(VALU_DEP_1) | instskip(NEXT) | instid1(VALU_DEP_2)
	v_sub_nc_u32_e32 v3, v22, v21
	v_sub_co_u32 v15, vcc_lo, v18, v20
	s_delay_alu instid0(VALU_DEP_1) | instskip(NEXT) | instid1(VALU_DEP_3)
	v_sub_co_ci_u32_e64 v22, null, v22, v21, vcc_lo
	v_subrev_co_ci_u32_e64 v3, null, s35, v3, vcc_lo
	s_delay_alu instid0(VALU_DEP_3) | instskip(SKIP_1) | instid1(VALU_DEP_3)
	v_sub_co_u32 v18, s0, v15, s34
	v_add_nc_u64_e32 v[20:21], 1, v[16:17]
	v_subrev_co_ci_u32_e64 v3, null, 0, v3, s0
	s_delay_alu instid0(VALU_DEP_3) | instskip(SKIP_1) | instid1(VALU_DEP_3)
	v_cmp_le_u32_e32 vcc_lo, s34, v18
	v_cndmask_b32_e64 v18, 0, -1, vcc_lo
	v_cmp_le_u32_e32 vcc_lo, s35, v3
	v_cndmask_b32_e64 v19, 0, -1, vcc_lo
	;; [unrolled: 2-line block ×4, first 2 shown]
	v_cmp_eq_u32_e32 vcc_lo, s35, v3
	v_cndmask_b32_e32 v3, v19, v18, vcc_lo
	v_cmp_eq_u32_e32 vcc_lo, s35, v22
	v_add_nc_u64_e32 v[18:19], 2, v[16:17]
	v_cndmask_b32_e32 v15, v23, v15, vcc_lo
	s_delay_alu instid0(VALU_DEP_4) | instskip(NEXT) | instid1(VALU_DEP_2)
	v_cmp_ne_u32_e32 vcc_lo, 0, v3
	v_cmp_ne_u32_e64 s0, 0, v15
	s_delay_alu instid0(VALU_DEP_4) | instskip(NEXT) | instid1(VALU_DEP_1)
	v_dual_cndmask_b32 v3, v21, v19, vcc_lo :: v_dual_cndmask_b32 v15, v20, v18, vcc_lo
	v_dual_cndmask_b32 v3, v17, v3, s0 :: v_dual_bitop2_b32 v14, s30, v14 bitop3:0x14
	s_delay_alu instid0(VALU_DEP_1) | instskip(NEXT) | instid1(VALU_DEP_2)
	v_dual_cndmask_b32 v16, v16, v15, s0 :: v_dual_mov_b32 v15, v14
	v_xor_b32_e32 v17, v3, v14
	s_delay_alu instid0(VALU_DEP_2) | instskip(NEXT) | instid1(VALU_DEP_1)
	v_xor_b32_e32 v16, v16, v14
	v_sub_nc_u64_e32 v[14:15], v[16:17], v[14:15]
.LBB79_6:                               ;   in Loop: Header=BB79_4 Depth=2
	s_and_not1_saveexec_b32 s0, s38
	s_cbranch_execz .LBB79_8
; %bb.7:                                ;   in Loop: Header=BB79_4 Depth=2
	v_cvt_f32_u32_e32 v3, s28
	s_sub_co_i32 s2, 0, s28
	s_delay_alu instid0(VALU_DEP_1) | instskip(SKIP_1) | instid1(TRANS32_DEP_1)
	v_rcp_iflag_f32_e32 v3, v3
	v_nop
	v_mul_f32_e32 v3, 0x4f7ffffe, v3
	s_delay_alu instid0(VALU_DEP_1) | instskip(NEXT) | instid1(VALU_DEP_1)
	v_cvt_u32_f32_e32 v3, v3
	v_mul_lo_u32 v14, s2, v3
	s_delay_alu instid0(VALU_DEP_1) | instskip(NEXT) | instid1(VALU_DEP_1)
	v_mul_hi_u32 v14, v3, v14
	v_add_nc_u32_e32 v3, v3, v14
	s_delay_alu instid0(VALU_DEP_1) | instskip(NEXT) | instid1(VALU_DEP_1)
	v_mul_hi_u32 v3, v12, v3
	v_mul_lo_u32 v14, v3, s28
	s_delay_alu instid0(VALU_DEP_1) | instskip(NEXT) | instid1(VALU_DEP_1)
	v_dual_add_nc_u32 v15, 1, v3 :: v_dual_sub_nc_u32 v14, v12, v14
	v_subrev_nc_u32_e32 v16, s28, v14
	v_cmp_le_u32_e32 vcc_lo, s28, v14
	s_delay_alu instid0(VALU_DEP_2) | instskip(NEXT) | instid1(VALU_DEP_1)
	v_dual_cndmask_b32 v14, v14, v16 :: v_dual_cndmask_b32 v3, v3, v15
	v_cmp_le_u32_e32 vcc_lo, s28, v14
	s_delay_alu instid0(VALU_DEP_2) | instskip(NEXT) | instid1(VALU_DEP_1)
	v_add_nc_u32_e32 v15, 1, v3
	v_dual_cndmask_b32 v14, v3, v15 :: v_dual_mov_b32 v15, v2
.LBB79_8:                               ;   in Loop: Header=BB79_4 Depth=2
	s_or_b32 exec_lo, exec_lo, s0
	s_delay_alu instid0(VALU_DEP_1)
	v_mul_u64_e32 v[16:17], s[28:29], v[14:15]
	s_load_b64 s[28:29], s[26:27], 0xc8
	s_add_co_i32 s37, s37, -1
	s_wait_xcnt 0x0
	s_add_nc_u64 s[26:27], s[26:27], -8
	s_cmp_gt_u32 s37, 2
	s_delay_alu instid0(VALU_DEP_1) | instskip(SKIP_1) | instid1(VALU_DEP_1)
	v_sub_nc_u64_e32 v[12:13], v[12:13], v[16:17]
	s_wait_kmcnt 0x0
	v_mad_nc_u64_u32 v[10:11], s28, v12, v[10:11]
	s_delay_alu instid0(VALU_DEP_1) | instskip(NEXT) | instid1(VALU_DEP_1)
	v_mad_u32 v3, s29, v12, v11
	v_mad_u32 v11, s28, v13, v3
	s_cbranch_scc0 .LBB79_10
; %bb.9:                                ;   in Loop: Header=BB79_4 Depth=2
	v_mov_b64_e32 v[12:13], v[14:15]
	s_branch .LBB79_4
.LBB79_10:                              ;   in Loop: Header=BB79_3 Depth=1
	s_delay_alu instid0(VALU_DEP_1) | instskip(NEXT) | instid1(VALU_DEP_1)
	v_mul_u64_e32 v[12:13], s[16:17], v[14:15]
	v_lshl_add_u64 v[12:13], v[12:13], 3, s[18:19]
	s_delay_alu instid0(VALU_DEP_1)
	v_lshl_add_u64 v[10:11], v[10:11], 3, v[12:13]
	global_load_b64 v[10:11], v[10:11], off
	s_wait_loadcnt 0x0
	v_cmp_le_f64_e32 vcc_lo, s[6:7], v[10:11]
	v_cmp_ge_f64_e64 s0, s[8:9], v[10:11]
	s_and_b32 s2, vcc_lo, s0
	s_wait_xcnt 0x0
	s_and_saveexec_b32 s0, s2
	s_cbranch_execz .LBB79_2
; %bb.11:                               ;   in Loop: Header=BB79_3 Depth=1
	v_add_f64_e64 v[10:11], v[10:11], -s[6:7]
	s_delay_alu instid0(VALU_DEP_1) | instskip(NEXT) | instid1(VALU_DEP_1)
	v_mul_f64_e32 v[10:11], v[10:11], v[4:5]
	v_div_scale_f64 v[12:13], null, v[6:7], v[6:7], v[10:11]
	v_div_scale_f64 v[18:19], vcc_lo, v[10:11], v[6:7], v[10:11]
	s_delay_alu instid0(VALU_DEP_2) | instskip(SKIP_1) | instid1(TRANS32_DEP_1)
	v_rcp_f64_e32 v[14:15], v[12:13]
	v_nop
	v_fma_f64 v[16:17], -v[12:13], v[14:15], 1.0
	s_delay_alu instid0(VALU_DEP_1) | instskip(NEXT) | instid1(VALU_DEP_1)
	v_fmac_f64_e32 v[14:15], v[14:15], v[16:17]
	v_fma_f64 v[16:17], -v[12:13], v[14:15], 1.0
	s_delay_alu instid0(VALU_DEP_1) | instskip(NEXT) | instid1(VALU_DEP_1)
	v_fmac_f64_e32 v[14:15], v[14:15], v[16:17]
	v_mul_f64_e32 v[16:17], v[18:19], v[14:15]
	s_delay_alu instid0(VALU_DEP_1) | instskip(NEXT) | instid1(VALU_DEP_1)
	v_fma_f64 v[12:13], -v[12:13], v[16:17], v[18:19]
	v_div_fmas_f64 v[12:13], v[12:13], v[14:15], v[16:17]
	s_delay_alu instid0(VALU_DEP_1) | instskip(SKIP_1) | instid1(VALU_DEP_2)
	v_div_fixup_f64 v[10:11], v[12:13], v[6:7], v[10:11]
	v_mov_b32_e32 v13, s3
	v_cvt_i32_f64_e32 v10, v[10:11]
	s_delay_alu instid0(VALU_DEP_1) | instskip(NEXT) | instid1(VALU_DEP_1)
	v_ashrrev_i32_e32 v11, 31, v10
	v_cmp_eq_u64_e32 vcc_lo, s[4:5], v[10:11]
	v_cndmask_b32_e64 v12, 0, 1, vcc_lo
	s_delay_alu instid0(VALU_DEP_1) | instskip(NEXT) | instid1(VALU_DEP_1)
	v_sub_nc_u64_e32 v[10:11], v[10:11], v[12:13]
	v_mul_u64_e32 v[10:11], s[14:15], v[10:11]
	s_delay_alu instid0(VALU_DEP_1)
	v_lshl_add_u64 v[10:11], v[10:11], 3, s[12:13]
	global_atomic_add_f64 v[10:11], v[8:9], off scope:SCOPE_DEV
	s_branch .LBB79_2
.LBB79_12:
	s_endpgm
	.section	.rodata,"a",@progbits
	.p2align	6, 0x0
	.amdhsa_kernel _ZN2at4cuda17kernelHistogram1DIddlLi1ELi2ELin1ELNS0_23CUDAHistogramMemoryTypeE1EZNS0_21CUDA_tensor_histogramIddLb0EEEbNS_6TensorES4_S4_lNS_14AccumulateTypeIT0_Lb1EE4typeES8_NS0_13TensorArgTypeES9_S9_EUllE0_EEvNS0_6detail10TensorInfoIT_T1_EESF_NSC_IKS6_SE_EElS8_S8_SE_T6_
		.amdhsa_group_segment_fixed_size 0
		.amdhsa_private_segment_fixed_size 0
		.amdhsa_kernarg_size 1544
		.amdhsa_user_sgpr_count 2
		.amdhsa_user_sgpr_dispatch_ptr 0
		.amdhsa_user_sgpr_queue_ptr 0
		.amdhsa_user_sgpr_kernarg_segment_ptr 1
		.amdhsa_user_sgpr_dispatch_id 0
		.amdhsa_user_sgpr_kernarg_preload_length 0
		.amdhsa_user_sgpr_kernarg_preload_offset 0
		.amdhsa_user_sgpr_private_segment_size 0
		.amdhsa_wavefront_size32 1
		.amdhsa_uses_dynamic_stack 0
		.amdhsa_enable_private_segment 0
		.amdhsa_system_sgpr_workgroup_id_x 1
		.amdhsa_system_sgpr_workgroup_id_y 0
		.amdhsa_system_sgpr_workgroup_id_z 0
		.amdhsa_system_sgpr_workgroup_info 0
		.amdhsa_system_vgpr_workitem_id 0
		.amdhsa_next_free_vgpr 28
		.amdhsa_next_free_sgpr 48
		.amdhsa_named_barrier_count 0
		.amdhsa_reserve_vcc 1
		.amdhsa_float_round_mode_32 0
		.amdhsa_float_round_mode_16_64 0
		.amdhsa_float_denorm_mode_32 3
		.amdhsa_float_denorm_mode_16_64 3
		.amdhsa_fp16_overflow 0
		.amdhsa_memory_ordered 1
		.amdhsa_forward_progress 1
		.amdhsa_inst_pref_size 12
		.amdhsa_round_robin_scheduling 0
		.amdhsa_exception_fp_ieee_invalid_op 0
		.amdhsa_exception_fp_denorm_src 0
		.amdhsa_exception_fp_ieee_div_zero 0
		.amdhsa_exception_fp_ieee_overflow 0
		.amdhsa_exception_fp_ieee_underflow 0
		.amdhsa_exception_fp_ieee_inexact 0
		.amdhsa_exception_int_div_zero 0
	.end_amdhsa_kernel
	.section	.text._ZN2at4cuda17kernelHistogram1DIddlLi1ELi2ELin1ELNS0_23CUDAHistogramMemoryTypeE1EZNS0_21CUDA_tensor_histogramIddLb0EEEbNS_6TensorES4_S4_lNS_14AccumulateTypeIT0_Lb1EE4typeES8_NS0_13TensorArgTypeES9_S9_EUllE0_EEvNS0_6detail10TensorInfoIT_T1_EESF_NSC_IKS6_SE_EElS8_S8_SE_T6_,"axG",@progbits,_ZN2at4cuda17kernelHistogram1DIddlLi1ELi2ELin1ELNS0_23CUDAHistogramMemoryTypeE1EZNS0_21CUDA_tensor_histogramIddLb0EEEbNS_6TensorES4_S4_lNS_14AccumulateTypeIT0_Lb1EE4typeES8_NS0_13TensorArgTypeES9_S9_EUllE0_EEvNS0_6detail10TensorInfoIT_T1_EESF_NSC_IKS6_SE_EElS8_S8_SE_T6_,comdat
.Lfunc_end79:
	.size	_ZN2at4cuda17kernelHistogram1DIddlLi1ELi2ELin1ELNS0_23CUDAHistogramMemoryTypeE1EZNS0_21CUDA_tensor_histogramIddLb0EEEbNS_6TensorES4_S4_lNS_14AccumulateTypeIT0_Lb1EE4typeES8_NS0_13TensorArgTypeES9_S9_EUllE0_EEvNS0_6detail10TensorInfoIT_T1_EESF_NSC_IKS6_SE_EElS8_S8_SE_T6_, .Lfunc_end79-_ZN2at4cuda17kernelHistogram1DIddlLi1ELi2ELin1ELNS0_23CUDAHistogramMemoryTypeE1EZNS0_21CUDA_tensor_histogramIddLb0EEEbNS_6TensorES4_S4_lNS_14AccumulateTypeIT0_Lb1EE4typeES8_NS0_13TensorArgTypeES9_S9_EUllE0_EEvNS0_6detail10TensorInfoIT_T1_EESF_NSC_IKS6_SE_EElS8_S8_SE_T6_
                                        ; -- End function
	.set _ZN2at4cuda17kernelHistogram1DIddlLi1ELi2ELin1ELNS0_23CUDAHistogramMemoryTypeE1EZNS0_21CUDA_tensor_histogramIddLb0EEEbNS_6TensorES4_S4_lNS_14AccumulateTypeIT0_Lb1EE4typeES8_NS0_13TensorArgTypeES9_S9_EUllE0_EEvNS0_6detail10TensorInfoIT_T1_EESF_NSC_IKS6_SE_EElS8_S8_SE_T6_.num_vgpr, 28
	.set _ZN2at4cuda17kernelHistogram1DIddlLi1ELi2ELin1ELNS0_23CUDAHistogramMemoryTypeE1EZNS0_21CUDA_tensor_histogramIddLb0EEEbNS_6TensorES4_S4_lNS_14AccumulateTypeIT0_Lb1EE4typeES8_NS0_13TensorArgTypeES9_S9_EUllE0_EEvNS0_6detail10TensorInfoIT_T1_EESF_NSC_IKS6_SE_EElS8_S8_SE_T6_.num_agpr, 0
	.set _ZN2at4cuda17kernelHistogram1DIddlLi1ELi2ELin1ELNS0_23CUDAHistogramMemoryTypeE1EZNS0_21CUDA_tensor_histogramIddLb0EEEbNS_6TensorES4_S4_lNS_14AccumulateTypeIT0_Lb1EE4typeES8_NS0_13TensorArgTypeES9_S9_EUllE0_EEvNS0_6detail10TensorInfoIT_T1_EESF_NSC_IKS6_SE_EElS8_S8_SE_T6_.numbered_sgpr, 48
	.set _ZN2at4cuda17kernelHistogram1DIddlLi1ELi2ELin1ELNS0_23CUDAHistogramMemoryTypeE1EZNS0_21CUDA_tensor_histogramIddLb0EEEbNS_6TensorES4_S4_lNS_14AccumulateTypeIT0_Lb1EE4typeES8_NS0_13TensorArgTypeES9_S9_EUllE0_EEvNS0_6detail10TensorInfoIT_T1_EESF_NSC_IKS6_SE_EElS8_S8_SE_T6_.num_named_barrier, 0
	.set _ZN2at4cuda17kernelHistogram1DIddlLi1ELi2ELin1ELNS0_23CUDAHistogramMemoryTypeE1EZNS0_21CUDA_tensor_histogramIddLb0EEEbNS_6TensorES4_S4_lNS_14AccumulateTypeIT0_Lb1EE4typeES8_NS0_13TensorArgTypeES9_S9_EUllE0_EEvNS0_6detail10TensorInfoIT_T1_EESF_NSC_IKS6_SE_EElS8_S8_SE_T6_.private_seg_size, 0
	.set _ZN2at4cuda17kernelHistogram1DIddlLi1ELi2ELin1ELNS0_23CUDAHistogramMemoryTypeE1EZNS0_21CUDA_tensor_histogramIddLb0EEEbNS_6TensorES4_S4_lNS_14AccumulateTypeIT0_Lb1EE4typeES8_NS0_13TensorArgTypeES9_S9_EUllE0_EEvNS0_6detail10TensorInfoIT_T1_EESF_NSC_IKS6_SE_EElS8_S8_SE_T6_.uses_vcc, 1
	.set _ZN2at4cuda17kernelHistogram1DIddlLi1ELi2ELin1ELNS0_23CUDAHistogramMemoryTypeE1EZNS0_21CUDA_tensor_histogramIddLb0EEEbNS_6TensorES4_S4_lNS_14AccumulateTypeIT0_Lb1EE4typeES8_NS0_13TensorArgTypeES9_S9_EUllE0_EEvNS0_6detail10TensorInfoIT_T1_EESF_NSC_IKS6_SE_EElS8_S8_SE_T6_.uses_flat_scratch, 0
	.set _ZN2at4cuda17kernelHistogram1DIddlLi1ELi2ELin1ELNS0_23CUDAHistogramMemoryTypeE1EZNS0_21CUDA_tensor_histogramIddLb0EEEbNS_6TensorES4_S4_lNS_14AccumulateTypeIT0_Lb1EE4typeES8_NS0_13TensorArgTypeES9_S9_EUllE0_EEvNS0_6detail10TensorInfoIT_T1_EESF_NSC_IKS6_SE_EElS8_S8_SE_T6_.has_dyn_sized_stack, 0
	.set _ZN2at4cuda17kernelHistogram1DIddlLi1ELi2ELin1ELNS0_23CUDAHistogramMemoryTypeE1EZNS0_21CUDA_tensor_histogramIddLb0EEEbNS_6TensorES4_S4_lNS_14AccumulateTypeIT0_Lb1EE4typeES8_NS0_13TensorArgTypeES9_S9_EUllE0_EEvNS0_6detail10TensorInfoIT_T1_EESF_NSC_IKS6_SE_EElS8_S8_SE_T6_.has_recursion, 0
	.set _ZN2at4cuda17kernelHistogram1DIddlLi1ELi2ELin1ELNS0_23CUDAHistogramMemoryTypeE1EZNS0_21CUDA_tensor_histogramIddLb0EEEbNS_6TensorES4_S4_lNS_14AccumulateTypeIT0_Lb1EE4typeES8_NS0_13TensorArgTypeES9_S9_EUllE0_EEvNS0_6detail10TensorInfoIT_T1_EESF_NSC_IKS6_SE_EElS8_S8_SE_T6_.has_indirect_call, 0
	.section	.AMDGPU.csdata,"",@progbits
; Kernel info:
; codeLenInByte = 1420
; TotalNumSgprs: 50
; NumVgprs: 28
; ScratchSize: 0
; MemoryBound: 0
; FloatMode: 240
; IeeeMode: 1
; LDSByteSize: 0 bytes/workgroup (compile time only)
; SGPRBlocks: 0
; VGPRBlocks: 1
; NumSGPRsForWavesPerEU: 50
; NumVGPRsForWavesPerEU: 28
; NamedBarCnt: 0
; Occupancy: 16
; WaveLimiterHint : 1
; COMPUTE_PGM_RSRC2:SCRATCH_EN: 0
; COMPUTE_PGM_RSRC2:USER_SGPR: 2
; COMPUTE_PGM_RSRC2:TRAP_HANDLER: 0
; COMPUTE_PGM_RSRC2:TGID_X_EN: 1
; COMPUTE_PGM_RSRC2:TGID_Y_EN: 0
; COMPUTE_PGM_RSRC2:TGID_Z_EN: 0
; COMPUTE_PGM_RSRC2:TIDIG_COMP_CNT: 0
	.section	.text._ZN2at4cuda17kernelHistogram1DIfflLi1ELi2ELin1ELNS0_23CUDAHistogramMemoryTypeE0EZNS0_21CUDA_tensor_histogramIffLb0EEEbNS_6TensorES4_S4_lNS_14AccumulateTypeIT0_Lb1EE4typeES8_NS0_13TensorArgTypeES9_S9_EUllE_EEvNS0_6detail10TensorInfoIT_T1_EESF_NSC_IKS6_SE_EElS8_S8_SE_T6_,"axG",@progbits,_ZN2at4cuda17kernelHistogram1DIfflLi1ELi2ELin1ELNS0_23CUDAHistogramMemoryTypeE0EZNS0_21CUDA_tensor_histogramIffLb0EEEbNS_6TensorES4_S4_lNS_14AccumulateTypeIT0_Lb1EE4typeES8_NS0_13TensorArgTypeES9_S9_EUllE_EEvNS0_6detail10TensorInfoIT_T1_EESF_NSC_IKS6_SE_EElS8_S8_SE_T6_,comdat
	.protected	_ZN2at4cuda17kernelHistogram1DIfflLi1ELi2ELin1ELNS0_23CUDAHistogramMemoryTypeE0EZNS0_21CUDA_tensor_histogramIffLb0EEEbNS_6TensorES4_S4_lNS_14AccumulateTypeIT0_Lb1EE4typeES8_NS0_13TensorArgTypeES9_S9_EUllE_EEvNS0_6detail10TensorInfoIT_T1_EESF_NSC_IKS6_SE_EElS8_S8_SE_T6_ ; -- Begin function _ZN2at4cuda17kernelHistogram1DIfflLi1ELi2ELin1ELNS0_23CUDAHistogramMemoryTypeE0EZNS0_21CUDA_tensor_histogramIffLb0EEEbNS_6TensorES4_S4_lNS_14AccumulateTypeIT0_Lb1EE4typeES8_NS0_13TensorArgTypeES9_S9_EUllE_EEvNS0_6detail10TensorInfoIT_T1_EESF_NSC_IKS6_SE_EElS8_S8_SE_T6_
	.globl	_ZN2at4cuda17kernelHistogram1DIfflLi1ELi2ELin1ELNS0_23CUDAHistogramMemoryTypeE0EZNS0_21CUDA_tensor_histogramIffLb0EEEbNS_6TensorES4_S4_lNS_14AccumulateTypeIT0_Lb1EE4typeES8_NS0_13TensorArgTypeES9_S9_EUllE_EEvNS0_6detail10TensorInfoIT_T1_EESF_NSC_IKS6_SE_EElS8_S8_SE_T6_
	.p2align	8
	.type	_ZN2at4cuda17kernelHistogram1DIfflLi1ELi2ELin1ELNS0_23CUDAHistogramMemoryTypeE0EZNS0_21CUDA_tensor_histogramIffLb0EEEbNS_6TensorES4_S4_lNS_14AccumulateTypeIT0_Lb1EE4typeES8_NS0_13TensorArgTypeES9_S9_EUllE_EEvNS0_6detail10TensorInfoIT_T1_EESF_NSC_IKS6_SE_EElS8_S8_SE_T6_,@function
_ZN2at4cuda17kernelHistogram1DIfflLi1ELi2ELin1ELNS0_23CUDAHistogramMemoryTypeE0EZNS0_21CUDA_tensor_histogramIffLb0EEEbNS_6TensorES4_S4_lNS_14AccumulateTypeIT0_Lb1EE4typeES8_NS0_13TensorArgTypeES9_S9_EUllE_EEvNS0_6detail10TensorInfoIT_T1_EESF_NSC_IKS6_SE_EElS8_S8_SE_T6_: ; @_ZN2at4cuda17kernelHistogram1DIfflLi1ELi2ELin1ELNS0_23CUDAHistogramMemoryTypeE0EZNS0_21CUDA_tensor_histogramIffLb0EEEbNS_6TensorES4_S4_lNS_14AccumulateTypeIT0_Lb1EE4typeES8_NS0_13TensorArgTypeES9_S9_EUllE_EEvNS0_6detail10TensorInfoIT_T1_EESF_NSC_IKS6_SE_EElS8_S8_SE_T6_
; %bb.0:
	s_load_b128 s[4:7], s[0:1], 0x0
	v_mov_b32_e32 v1, 0
	s_add_nc_u64 s[20:21], s[0:1], 0x698
	s_mov_b32 s3, exec_lo
                                        ; implicit-def: $sgpr12
	s_wait_kmcnt 0x0
	s_delay_alu instid0(VALU_DEP_1)
	v_cmp_gt_i64_e64 s2, s[6:7], v[0:1]
	v_cmpx_le_i64_e64 s[6:7], v[0:1]
	s_xor_b32 s3, exec_lo, s3
; %bb.1:
	s_load_b32 s12, s[20:21], 0xc
; %bb.2:
	s_or_saveexec_b32 s3, s3
	s_load_b128 s[8:11], s[0:1], 0x4f0
	s_wait_kmcnt 0x0
	v_mov_b32_e32 v4, s12
	s_xor_b32 exec_lo, exec_lo, s3
	s_cbranch_execz .LBB80_12
; %bb.3:
	v_dual_mov_b32 v5, 0 :: v_dual_add_nc_u32 v4, 1, v0
	s_load_b32 s14, s[20:21], 0xc
	s_mov_b32 s16, -1
	s_delay_alu instid0(VALU_DEP_1) | instskip(SKIP_2) | instid1(SALU_CYCLE_1)
	v_max_i64 v[2:3], s[6:7], v[4:5]
	s_wait_kmcnt 0x0
	s_and_b32 s12, s14, 0xffff
	s_cmp_eq_u32 s12, 1
	s_cselect_b32 s13, -1, 0
	s_delay_alu instid0(VALU_DEP_1) | instskip(SKIP_1) | instid1(VALU_DEP_2)
	v_sub_nc_u64_e32 v[6:7], v[2:3], v[0:1]
	v_mov_b64_e32 v[2:3], v[0:1]
	v_cmp_lt_u64_e32 vcc_lo, 1, v[6:7]
	s_and_b32 s15, vcc_lo, s13
	s_delay_alu instid0(SALU_CYCLE_1)
	s_and_saveexec_b32 s13, s15
	s_cbranch_execz .LBB80_7
; %bb.4:
	v_dual_mov_b32 v3, v7 :: v_dual_bitop2_b32 v2, -2, v6 bitop3:0x40
	v_lshl_add_u32 v4, v0, 2, 0
	s_mov_b32 s15, 0
	s_delay_alu instid0(VALU_DEP_2)
	v_mov_b64_e32 v[8:9], v[2:3]
.LBB80_5:                               ; =>This Inner Loop Header: Depth=1
	s_delay_alu instid0(VALU_DEP_1) | instskip(SKIP_4) | instid1(SALU_CYCLE_1)
	v_add_nc_u64_e32 v[8:9], -2, v[8:9]
	ds_store_2addr_b32 v4, v5, v5 offset1:1
	v_add_nc_u32_e32 v4, 8, v4
	v_cmp_eq_u64_e32 vcc_lo, 0, v[8:9]
	s_or_b32 s15, vcc_lo, s15
	s_and_not1_b32 exec_lo, exec_lo, s15
	s_cbranch_execnz .LBB80_5
; %bb.6:
	s_or_b32 exec_lo, exec_lo, s15
	v_cmp_ne_u64_e32 vcc_lo, v[6:7], v[2:3]
	v_add_nc_u64_e32 v[2:3], v[2:3], v[0:1]
	s_or_not1_b32 s16, vcc_lo, exec_lo
.LBB80_7:
	s_or_b32 exec_lo, exec_lo, s13
	v_mov_b32_e32 v4, 1
	s_and_saveexec_b32 s15, s16
	s_cbranch_execz .LBB80_11
; %bb.8:
	s_delay_alu instid0(VALU_DEP_2)
	v_lshl_add_u32 v4, v2, 2, 0
	v_mov_b32_e32 v5, 0
	s_mov_b32 s13, 0
	s_lshl_b32 s17, s12, 2
	s_mov_b32 s16, s13
.LBB80_9:                               ; =>This Inner Loop Header: Depth=1
	v_add_nc_u64_e32 v[2:3], s[12:13], v[2:3]
	ds_store_b32 v4, v5
	v_add_nc_u32_e32 v4, s17, v4
	v_cmp_le_i64_e32 vcc_lo, s[6:7], v[2:3]
	s_or_b32 s16, vcc_lo, s16
	s_delay_alu instid0(SALU_CYCLE_1)
	s_and_not1_b32 exec_lo, exec_lo, s16
	s_cbranch_execnz .LBB80_9
; %bb.10:
	s_or_b32 exec_lo, exec_lo, s16
	v_mov_b32_e32 v4, s14
.LBB80_11:
	s_or_b32 exec_lo, exec_lo, s15
.LBB80_12:
	s_delay_alu instid0(SALU_CYCLE_1)
	s_or_b32 exec_lo, exec_lo, s3
	s_bfe_u32 s3, ttmp6, 0x4000c
	s_and_b32 s12, ttmp6, 15
	s_add_co_i32 s3, s3, 1
	s_getreg_b32 s13, hwreg(HW_REG_IB_STS2, 6, 4)
	s_mul_i32 s3, ttmp9, s3
	v_and_b32_e32 v2, 0xffff, v4
	s_add_co_i32 s12, s12, s3
	s_cmp_eq_u32 s13, 0
	v_mov_b32_e32 v6, 0
	s_cselect_b32 s3, ttmp9, s12
	s_mov_b32 s17, 0
	v_mad_u32 v4, s3, v2, v0
	s_mov_b32 s33, exec_lo
	v_mov_b32_e32 v5, v6
	s_wait_dscnt 0x0
	s_barrier_signal -1
	s_barrier_wait -1
	s_delay_alu instid0(VALU_DEP_1)
	v_cmpx_gt_i64_e64 s[8:9], v[4:5]
	s_cbranch_execz .LBB80_24
; %bb.13:
	s_clause 0x1
	s_load_b32 s3, s[0:1], 0x4d8
	s_load_b128 s[12:15], s[0:1], 0x4e0
	s_load_b32 s16, s[20:21], 0x0
	s_clause 0x1
	s_load_b64 s[18:19], s[0:1], 0x5c8
	s_load_b64 s[22:23], s[0:1], 0x340
	s_add_nc_u64 s[26:27], s[0:1], 0x340
	s_wait_xcnt 0x0
	s_load_b64 s[20:21], s[0:1], 0x410
	v_mov_b32_e32 v9, v6
	s_mov_b32 s41, 0
	s_wait_kmcnt 0x0
	s_cmp_gt_i32 s3, 1
	s_cls_i32 s25, s13
	s_cselect_b32 s38, -1, 0
	s_xor_b32 s24, s12, s13
	s_add_co_i32 s25, s25, -1
	s_ashr_i32 s24, s24, 31
	v_mul_lo_u32 v8, s16, v2
	s_add_co_i32 s24, s24, 32
	s_add_co_i32 s16, s3, -1
	s_min_u32 s30, s25, s24
	s_sub_f32 s39, s15, s14
	s_lshl_b64 s[28:29], s[12:13], s30
	s_mov_b64 s[24:25], 0xffffffff
	s_min_u32 s28, s28, 1
	s_add_co_i32 s40, s3, 1
	s_or_b32 s28, s29, s28
	s_delay_alu instid0(SALU_CYCLE_1)
	s_cvt_f32_i32 s31, s28
	s_lshl_b64 s[28:29], s[16:17], 3
	s_sub_co_i32 s16, 32, s30
	s_add_nc_u64 s[26:27], s[26:27], s[28:29]
	v_ldexp_f32 v3, s31, s16
	s_add_nc_u64 s[26:27], s[26:27], 8
	s_branch .LBB80_15
.LBB80_14:                              ;   in Loop: Header=BB80_15 Depth=1
	s_or_b32 exec_lo, exec_lo, s3
	v_add_nc_u64_e32 v[4:5], v[4:5], v[8:9]
	s_delay_alu instid0(VALU_DEP_1) | instskip(SKIP_1) | instid1(SALU_CYCLE_1)
	v_cmp_le_i64_e32 vcc_lo, s[8:9], v[4:5]
	s_or_b32 s41, vcc_lo, s41
	s_and_not1_b32 exec_lo, exec_lo, s41
	s_cbranch_execz .LBB80_24
.LBB80_15:                              ; =>This Loop Header: Depth=1
                                        ;     Child Loop BB80_16 Depth 2
	v_mov_b64_e32 v[10:11], 0
	v_mov_b64_e32 v[12:13], v[4:5]
	;; [unrolled: 1-line block ×3, first 2 shown]
	s_and_not1_b32 vcc_lo, exec_lo, s38
	s_mov_b64 s[28:29], s[26:27]
	s_mov_b32 s42, s40
	s_cbranch_vccnz .LBB80_22
.LBB80_16:                              ;   Parent Loop BB80_15 Depth=1
                                        ; =>  This Inner Loop Header: Depth=2
	s_load_b64 s[30:31], s[28:29], 0x0
                                        ; implicit-def: $vgpr14_vgpr15
	s_mov_b32 s3, exec_lo
	s_wait_kmcnt 0x0
	s_delay_alu instid0(VALU_DEP_1) | instskip(NEXT) | instid1(VALU_DEP_1)
	v_or_b32_e32 v7, s31, v13
	v_cmpx_ne_u64_e32 0, v[6:7]
	s_xor_b32 s43, exec_lo, s3
	s_cbranch_execz .LBB80_18
; %bb.17:                               ;   in Loop: Header=BB80_16 Depth=2
	s_ashr_i32 s34, s31, 31
	v_dual_mov_b32 v19, v6 :: v_dual_ashrrev_i32 v14, 31, v13
	s_mov_b32 s35, s34
	v_mov_b32_e32 v27, v6
	s_add_nc_u64 s[36:37], s[30:31], s[34:35]
	s_delay_alu instid0(VALU_DEP_2) | instskip(SKIP_1) | instid1(SALU_CYCLE_1)
	v_mov_b32_e32 v15, v14
	s_xor_b64 s[36:37], s[36:37], s[34:35]
	s_cvt_f32_u32 s3, s36
	s_cvt_f32_u32 s16, s37
	s_sub_nc_u64 s[46:47], 0, s[36:37]
	v_add_nc_u64_e32 v[16:17], v[12:13], v[14:15]
	v_mov_b32_e32 v23, v6
	s_fmamk_f32 s3, s16, 0x4f800000, s3
	s_delay_alu instid0(SALU_CYCLE_3) | instskip(NEXT) | instid1(VALU_DEP_2)
	v_s_rcp_f32 s3, s3
	v_xor_b32_e32 v18, v16, v14
	s_delay_alu instid0(VALU_DEP_3) | instskip(NEXT) | instid1(TRANS32_DEP_1)
	v_xor_b32_e32 v22, v17, v14
	s_mul_f32 s3, s3, 0x5f7ffffc
	s_delay_alu instid0(SALU_CYCLE_3) | instskip(NEXT) | instid1(SALU_CYCLE_3)
	s_mul_f32 s16, s3, 0x2f800000
	s_trunc_f32 s16, s16
	s_delay_alu instid0(SALU_CYCLE_3) | instskip(SKIP_1) | instid1(SALU_CYCLE_2)
	s_fmamk_f32 s3, s16, 0xcf800000, s3
	s_cvt_u32_f32 s45, s16
	s_cvt_u32_f32 s44, s3
	s_delay_alu instid0(SALU_CYCLE_3) | instskip(NEXT) | instid1(SALU_CYCLE_1)
	s_mul_u64 s[48:49], s[46:47], s[44:45]
	s_mul_hi_u32 s51, s44, s49
	s_mul_i32 s50, s44, s49
	s_mul_hi_u32 s16, s44, s48
	s_mul_i32 s35, s45, s48
	s_add_nc_u64 s[50:51], s[16:17], s[50:51]
	s_mul_hi_u32 s3, s45, s48
	s_mul_hi_u32 s52, s45, s49
	s_add_co_u32 s16, s50, s35
	s_add_co_ci_u32 s16, s51, s3
	s_mul_i32 s48, s45, s49
	s_add_co_ci_u32 s49, s52, 0
	s_delay_alu instid0(SALU_CYCLE_1) | instskip(NEXT) | instid1(SALU_CYCLE_1)
	s_add_nc_u64 s[48:49], s[16:17], s[48:49]
	s_add_co_u32 s44, s44, s48
	s_cselect_b32 s3, -1, 0
	s_delay_alu instid0(SALU_CYCLE_1) | instskip(SKIP_1) | instid1(SALU_CYCLE_1)
	s_cmp_lg_u32 s3, 0
	s_add_co_ci_u32 s45, s45, s49
	s_mul_u64 s[46:47], s[46:47], s[44:45]
	s_delay_alu instid0(SALU_CYCLE_1)
	s_mul_hi_u32 s49, s44, s47
	s_mul_i32 s48, s44, s47
	s_mul_hi_u32 s16, s44, s46
	s_mul_i32 s35, s45, s46
	s_add_nc_u64 s[48:49], s[16:17], s[48:49]
	s_mul_hi_u32 s3, s45, s46
	s_mul_hi_u32 s50, s45, s47
	s_add_co_u32 s16, s48, s35
	s_add_co_ci_u32 s16, s49, s3
	s_mul_i32 s46, s45, s47
	s_add_co_ci_u32 s47, s50, 0
	s_delay_alu instid0(SALU_CYCLE_1) | instskip(NEXT) | instid1(SALU_CYCLE_1)
	s_add_nc_u64 s[46:47], s[16:17], s[46:47]
	s_add_co_u32 s44, s44, s46
	s_cselect_b32 s3, -1, 0
	v_mul_hi_u32 v26, v18, s44
	s_cmp_lg_u32 s3, 0
	s_add_co_ci_u32 s16, s45, s47
	s_and_b64 s[46:47], s[44:45], s[24:25]
	v_mul_u64_e32 v[20:21], s[16:17], v[18:19]
	v_mul_u64_e32 v[16:17], s[46:47], v[22:23]
	;; [unrolled: 1-line block ×3, first 2 shown]
	s_delay_alu instid0(VALU_DEP_3) | instskip(NEXT) | instid1(VALU_DEP_1)
	v_add_nc_u64_e32 v[20:21], v[26:27], v[20:21]
	v_add_co_u32 v7, vcc_lo, v20, v16
	s_delay_alu instid0(VALU_DEP_2) | instskip(NEXT) | instid1(VALU_DEP_4)
	v_add_co_ci_u32_e32 v26, vcc_lo, v21, v17, vcc_lo
	v_add_co_ci_u32_e32 v25, vcc_lo, 0, v25, vcc_lo
	s_delay_alu instid0(VALU_DEP_1) | instskip(NEXT) | instid1(VALU_DEP_1)
	v_add_nc_u64_e32 v[16:17], v[26:27], v[24:25]
	v_mul_u64_e32 v[20:21], s[36:37], v[16:17]
	s_delay_alu instid0(VALU_DEP_1) | instskip(NEXT) | instid1(VALU_DEP_2)
	v_sub_nc_u32_e32 v7, v22, v21
	v_sub_co_u32 v15, vcc_lo, v18, v20
	s_delay_alu instid0(VALU_DEP_1) | instskip(NEXT) | instid1(VALU_DEP_3)
	v_sub_co_ci_u32_e64 v22, null, v22, v21, vcc_lo
	v_subrev_co_ci_u32_e64 v7, null, s37, v7, vcc_lo
	s_delay_alu instid0(VALU_DEP_3) | instskip(SKIP_1) | instid1(VALU_DEP_3)
	v_sub_co_u32 v18, s3, v15, s36
	v_add_nc_u64_e32 v[20:21], 1, v[16:17]
	v_subrev_co_ci_u32_e64 v7, null, 0, v7, s3
	s_delay_alu instid0(VALU_DEP_3) | instskip(SKIP_1) | instid1(VALU_DEP_3)
	v_cmp_le_u32_e32 vcc_lo, s36, v18
	v_cndmask_b32_e64 v18, 0, -1, vcc_lo
	v_cmp_le_u32_e32 vcc_lo, s37, v7
	v_cndmask_b32_e64 v19, 0, -1, vcc_lo
	;; [unrolled: 2-line block ×4, first 2 shown]
	v_cmp_eq_u32_e32 vcc_lo, s37, v7
	v_cndmask_b32_e32 v7, v19, v18, vcc_lo
	v_cmp_eq_u32_e32 vcc_lo, s37, v22
	v_add_nc_u64_e32 v[18:19], 2, v[16:17]
	v_cndmask_b32_e32 v15, v23, v15, vcc_lo
	s_delay_alu instid0(VALU_DEP_4) | instskip(NEXT) | instid1(VALU_DEP_2)
	v_cmp_ne_u32_e32 vcc_lo, 0, v7
	v_cmp_ne_u32_e64 s3, 0, v15
	s_delay_alu instid0(VALU_DEP_4) | instskip(NEXT) | instid1(VALU_DEP_1)
	v_dual_cndmask_b32 v7, v21, v19, vcc_lo :: v_dual_cndmask_b32 v15, v20, v18, vcc_lo
	v_dual_cndmask_b32 v7, v17, v7, s3 :: v_dual_bitop2_b32 v14, s34, v14 bitop3:0x14
	s_delay_alu instid0(VALU_DEP_1) | instskip(NEXT) | instid1(VALU_DEP_2)
	v_dual_cndmask_b32 v16, v16, v15, s3 :: v_dual_mov_b32 v15, v14
	v_xor_b32_e32 v17, v7, v14
	s_delay_alu instid0(VALU_DEP_2) | instskip(NEXT) | instid1(VALU_DEP_1)
	v_xor_b32_e32 v16, v16, v14
	v_sub_nc_u64_e32 v[14:15], v[16:17], v[14:15]
.LBB80_18:                              ;   in Loop: Header=BB80_16 Depth=2
	s_and_not1_saveexec_b32 s3, s43
	s_cbranch_execz .LBB80_20
; %bb.19:                               ;   in Loop: Header=BB80_16 Depth=2
	v_cvt_f32_u32_e32 v7, s30
	s_sub_co_i32 s16, 0, s30
	s_delay_alu instid0(VALU_DEP_1) | instskip(SKIP_1) | instid1(TRANS32_DEP_1)
	v_rcp_iflag_f32_e32 v7, v7
	v_nop
	v_mul_f32_e32 v7, 0x4f7ffffe, v7
	s_delay_alu instid0(VALU_DEP_1) | instskip(NEXT) | instid1(VALU_DEP_1)
	v_cvt_u32_f32_e32 v7, v7
	v_mul_lo_u32 v14, s16, v7
	s_delay_alu instid0(VALU_DEP_1) | instskip(NEXT) | instid1(VALU_DEP_1)
	v_mul_hi_u32 v14, v7, v14
	v_add_nc_u32_e32 v7, v7, v14
	s_delay_alu instid0(VALU_DEP_1) | instskip(NEXT) | instid1(VALU_DEP_1)
	v_mul_hi_u32 v7, v12, v7
	v_mul_lo_u32 v14, v7, s30
	s_delay_alu instid0(VALU_DEP_1) | instskip(NEXT) | instid1(VALU_DEP_1)
	v_dual_add_nc_u32 v15, 1, v7 :: v_dual_sub_nc_u32 v14, v12, v14
	v_subrev_nc_u32_e32 v16, s30, v14
	v_cmp_le_u32_e32 vcc_lo, s30, v14
	s_delay_alu instid0(VALU_DEP_2) | instskip(NEXT) | instid1(VALU_DEP_1)
	v_dual_cndmask_b32 v14, v14, v16 :: v_dual_cndmask_b32 v7, v7, v15
	v_cmp_le_u32_e32 vcc_lo, s30, v14
	s_delay_alu instid0(VALU_DEP_2) | instskip(NEXT) | instid1(VALU_DEP_1)
	v_add_nc_u32_e32 v15, 1, v7
	v_dual_cndmask_b32 v14, v7, v15 :: v_dual_mov_b32 v15, v6
.LBB80_20:                              ;   in Loop: Header=BB80_16 Depth=2
	s_or_b32 exec_lo, exec_lo, s3
	s_delay_alu instid0(VALU_DEP_1)
	v_mul_u64_e32 v[16:17], s[30:31], v[14:15]
	s_load_b64 s[30:31], s[28:29], 0xc8
	s_add_co_i32 s42, s42, -1
	s_wait_xcnt 0x0
	s_add_nc_u64 s[28:29], s[28:29], -8
	s_cmp_gt_u32 s42, 2
	s_delay_alu instid0(VALU_DEP_1) | instskip(SKIP_1) | instid1(VALU_DEP_1)
	v_sub_nc_u64_e32 v[12:13], v[12:13], v[16:17]
	s_wait_kmcnt 0x0
	v_mad_nc_u64_u32 v[10:11], s30, v12, v[10:11]
	s_delay_alu instid0(VALU_DEP_1) | instskip(NEXT) | instid1(VALU_DEP_1)
	v_mad_u32 v7, s31, v12, v11
	v_mad_u32 v11, s30, v13, v7
	s_cbranch_scc0 .LBB80_22
; %bb.21:                               ;   in Loop: Header=BB80_16 Depth=2
	v_mov_b64_e32 v[12:13], v[14:15]
	s_branch .LBB80_16
.LBB80_22:                              ;   in Loop: Header=BB80_15 Depth=1
	s_delay_alu instid0(VALU_DEP_1) | instskip(NEXT) | instid1(VALU_DEP_1)
	v_mul_u64_e32 v[12:13], s[20:21], v[14:15]
	v_lshl_add_u64 v[12:13], v[12:13], 2, s[22:23]
	s_delay_alu instid0(VALU_DEP_1)
	v_lshl_add_u64 v[10:11], v[10:11], 2, v[12:13]
	global_load_b32 v7, v[10:11], off
	s_wait_loadcnt 0x0
	v_cmp_le_f32_e32 vcc_lo, s14, v7
	v_cmp_ge_f32_e64 s3, s15, v7
	s_and_b32 s16, vcc_lo, s3
	s_wait_xcnt 0x0
	s_and_saveexec_b32 s3, s16
	s_cbranch_execz .LBB80_14
; %bb.23:                               ;   in Loop: Header=BB80_15 Depth=1
	v_mul_u64_e32 v[10:11], s[18:19], v[4:5]
	v_subrev_f32_e32 v7, s14, v7
	s_delay_alu instid0(VALU_DEP_1) | instskip(NEXT) | instid1(VALU_DEP_3)
	v_mul_f32_e32 v7, v7, v3
	v_lshl_add_u64 v[10:11], v[10:11], 2, s[10:11]
	global_load_b32 v12, v[10:11], off
	s_wait_xcnt 0x0
	v_div_scale_f32 v10, null, s39, s39, v7
	s_delay_alu instid0(VALU_DEP_1) | instskip(SKIP_1) | instid1(TRANS32_DEP_1)
	v_rcp_f32_e32 v11, v10
	v_nop
	v_fma_f32 v13, -v10, v11, 1.0
	s_delay_alu instid0(VALU_DEP_1) | instskip(SKIP_1) | instid1(VALU_DEP_1)
	v_fmac_f32_e32 v11, v13, v11
	v_div_scale_f32 v13, vcc_lo, v7, s39, v7
	v_mul_f32_e32 v14, v13, v11
	s_delay_alu instid0(VALU_DEP_1) | instskip(NEXT) | instid1(VALU_DEP_1)
	v_fma_f32 v15, -v10, v14, v13
	v_fmac_f32_e32 v14, v15, v11
	s_delay_alu instid0(VALU_DEP_1) | instskip(NEXT) | instid1(VALU_DEP_1)
	v_fma_f32 v10, -v10, v14, v13
	v_div_fmas_f32 v10, v10, v11, v14
	s_delay_alu instid0(VALU_DEP_1) | instskip(NEXT) | instid1(VALU_DEP_1)
	v_div_fixup_f32 v7, v10, s39, v7
	v_cvt_i32_f32_e32 v10, v7
	s_delay_alu instid0(VALU_DEP_1) | instskip(NEXT) | instid1(VALU_DEP_1)
	v_ashrrev_i32_e32 v11, 31, v10
	v_cmp_eq_u64_e32 vcc_lo, s[12:13], v[10:11]
	v_lshlrev_b32_e32 v10, 2, v10
	v_cndmask_b32_e64 v7, 0, -1, vcc_lo
	s_delay_alu instid0(VALU_DEP_1) | instskip(NEXT) | instid1(VALU_DEP_1)
	v_lshlrev_b32_e32 v7, 2, v7
	v_add3_u32 v7, 0, v7, v10
	s_wait_loadcnt 0x0
	ds_add_f32 v7, v12
	s_branch .LBB80_14
.LBB80_24:
	s_or_b32 exec_lo, exec_lo, s33
	s_load_b64 s[0:1], s[0:1], 0xd0
; %bb.25:
	s_wait_dscnt 0x0
	s_barrier_signal -1
	s_barrier_wait -1
	s_and_saveexec_b32 s3, s2
	s_cbranch_execz .LBB80_28
; %bb.26:
	v_dual_mov_b32 v3, 0 :: v_dual_lshlrev_b32 v9, 2, v2
	s_wait_kmcnt 0x0
	v_mul_u64_e32 v[4:5], s[0:1], v[0:1]
	v_lshl_add_u32 v8, v0, 2, 0
	s_delay_alu instid0(VALU_DEP_3) | instskip(SKIP_1) | instid1(VALU_DEP_3)
	v_mul_u64_e32 v[6:7], s[0:1], v[2:3]
	s_mov_b32 s0, 0
	v_lshl_add_u64 v[4:5], v[4:5], 2, s[4:5]
	s_delay_alu instid0(VALU_DEP_2)
	v_lshlrev_b64_e32 v[6:7], 2, v[6:7]
.LBB80_27:                              ; =>This Inner Loop Header: Depth=1
	ds_load_b32 v10, v8
	v_add_nc_u64_e32 v[0:1], v[0:1], v[2:3]
	v_add_nc_u32_e32 v8, v8, v9
	s_delay_alu instid0(VALU_DEP_2)
	v_cmp_le_i64_e32 vcc_lo, s[6:7], v[0:1]
	s_or_b32 s0, vcc_lo, s0
	s_wait_dscnt 0x0
	global_atomic_add_f32 v[4:5], v10, off scope:SCOPE_DEV
	s_wait_xcnt 0x0
	v_add_nc_u64_e32 v[4:5], v[4:5], v[6:7]
	s_and_not1_b32 exec_lo, exec_lo, s0
	s_cbranch_execnz .LBB80_27
.LBB80_28:
	s_endpgm
	.section	.rodata,"a",@progbits
	.p2align	6, 0x0
	.amdhsa_kernel _ZN2at4cuda17kernelHistogram1DIfflLi1ELi2ELin1ELNS0_23CUDAHistogramMemoryTypeE0EZNS0_21CUDA_tensor_histogramIffLb0EEEbNS_6TensorES4_S4_lNS_14AccumulateTypeIT0_Lb1EE4typeES8_NS0_13TensorArgTypeES9_S9_EUllE_EEvNS0_6detail10TensorInfoIT_T1_EESF_NSC_IKS6_SE_EElS8_S8_SE_T6_
		.amdhsa_group_segment_fixed_size 0
		.amdhsa_private_segment_fixed_size 0
		.amdhsa_kernarg_size 1944
		.amdhsa_user_sgpr_count 2
		.amdhsa_user_sgpr_dispatch_ptr 0
		.amdhsa_user_sgpr_queue_ptr 0
		.amdhsa_user_sgpr_kernarg_segment_ptr 1
		.amdhsa_user_sgpr_dispatch_id 0
		.amdhsa_user_sgpr_kernarg_preload_length 0
		.amdhsa_user_sgpr_kernarg_preload_offset 0
		.amdhsa_user_sgpr_private_segment_size 0
		.amdhsa_wavefront_size32 1
		.amdhsa_uses_dynamic_stack 0
		.amdhsa_enable_private_segment 0
		.amdhsa_system_sgpr_workgroup_id_x 1
		.amdhsa_system_sgpr_workgroup_id_y 0
		.amdhsa_system_sgpr_workgroup_id_z 0
		.amdhsa_system_sgpr_workgroup_info 0
		.amdhsa_system_vgpr_workitem_id 0
		.amdhsa_next_free_vgpr 28
		.amdhsa_next_free_sgpr 53
		.amdhsa_named_barrier_count 0
		.amdhsa_reserve_vcc 1
		.amdhsa_float_round_mode_32 0
		.amdhsa_float_round_mode_16_64 0
		.amdhsa_float_denorm_mode_32 3
		.amdhsa_float_denorm_mode_16_64 3
		.amdhsa_fp16_overflow 0
		.amdhsa_memory_ordered 1
		.amdhsa_forward_progress 1
		.amdhsa_inst_pref_size 16
		.amdhsa_round_robin_scheduling 0
		.amdhsa_exception_fp_ieee_invalid_op 0
		.amdhsa_exception_fp_denorm_src 0
		.amdhsa_exception_fp_ieee_div_zero 0
		.amdhsa_exception_fp_ieee_overflow 0
		.amdhsa_exception_fp_ieee_underflow 0
		.amdhsa_exception_fp_ieee_inexact 0
		.amdhsa_exception_int_div_zero 0
	.end_amdhsa_kernel
	.section	.text._ZN2at4cuda17kernelHistogram1DIfflLi1ELi2ELin1ELNS0_23CUDAHistogramMemoryTypeE0EZNS0_21CUDA_tensor_histogramIffLb0EEEbNS_6TensorES4_S4_lNS_14AccumulateTypeIT0_Lb1EE4typeES8_NS0_13TensorArgTypeES9_S9_EUllE_EEvNS0_6detail10TensorInfoIT_T1_EESF_NSC_IKS6_SE_EElS8_S8_SE_T6_,"axG",@progbits,_ZN2at4cuda17kernelHistogram1DIfflLi1ELi2ELin1ELNS0_23CUDAHistogramMemoryTypeE0EZNS0_21CUDA_tensor_histogramIffLb0EEEbNS_6TensorES4_S4_lNS_14AccumulateTypeIT0_Lb1EE4typeES8_NS0_13TensorArgTypeES9_S9_EUllE_EEvNS0_6detail10TensorInfoIT_T1_EESF_NSC_IKS6_SE_EElS8_S8_SE_T6_,comdat
.Lfunc_end80:
	.size	_ZN2at4cuda17kernelHistogram1DIfflLi1ELi2ELin1ELNS0_23CUDAHistogramMemoryTypeE0EZNS0_21CUDA_tensor_histogramIffLb0EEEbNS_6TensorES4_S4_lNS_14AccumulateTypeIT0_Lb1EE4typeES8_NS0_13TensorArgTypeES9_S9_EUllE_EEvNS0_6detail10TensorInfoIT_T1_EESF_NSC_IKS6_SE_EElS8_S8_SE_T6_, .Lfunc_end80-_ZN2at4cuda17kernelHistogram1DIfflLi1ELi2ELin1ELNS0_23CUDAHistogramMemoryTypeE0EZNS0_21CUDA_tensor_histogramIffLb0EEEbNS_6TensorES4_S4_lNS_14AccumulateTypeIT0_Lb1EE4typeES8_NS0_13TensorArgTypeES9_S9_EUllE_EEvNS0_6detail10TensorInfoIT_T1_EESF_NSC_IKS6_SE_EElS8_S8_SE_T6_
                                        ; -- End function
	.set _ZN2at4cuda17kernelHistogram1DIfflLi1ELi2ELin1ELNS0_23CUDAHistogramMemoryTypeE0EZNS0_21CUDA_tensor_histogramIffLb0EEEbNS_6TensorES4_S4_lNS_14AccumulateTypeIT0_Lb1EE4typeES8_NS0_13TensorArgTypeES9_S9_EUllE_EEvNS0_6detail10TensorInfoIT_T1_EESF_NSC_IKS6_SE_EElS8_S8_SE_T6_.num_vgpr, 28
	.set _ZN2at4cuda17kernelHistogram1DIfflLi1ELi2ELin1ELNS0_23CUDAHistogramMemoryTypeE0EZNS0_21CUDA_tensor_histogramIffLb0EEEbNS_6TensorES4_S4_lNS_14AccumulateTypeIT0_Lb1EE4typeES8_NS0_13TensorArgTypeES9_S9_EUllE_EEvNS0_6detail10TensorInfoIT_T1_EESF_NSC_IKS6_SE_EElS8_S8_SE_T6_.num_agpr, 0
	.set _ZN2at4cuda17kernelHistogram1DIfflLi1ELi2ELin1ELNS0_23CUDAHistogramMemoryTypeE0EZNS0_21CUDA_tensor_histogramIffLb0EEEbNS_6TensorES4_S4_lNS_14AccumulateTypeIT0_Lb1EE4typeES8_NS0_13TensorArgTypeES9_S9_EUllE_EEvNS0_6detail10TensorInfoIT_T1_EESF_NSC_IKS6_SE_EElS8_S8_SE_T6_.numbered_sgpr, 53
	.set _ZN2at4cuda17kernelHistogram1DIfflLi1ELi2ELin1ELNS0_23CUDAHistogramMemoryTypeE0EZNS0_21CUDA_tensor_histogramIffLb0EEEbNS_6TensorES4_S4_lNS_14AccumulateTypeIT0_Lb1EE4typeES8_NS0_13TensorArgTypeES9_S9_EUllE_EEvNS0_6detail10TensorInfoIT_T1_EESF_NSC_IKS6_SE_EElS8_S8_SE_T6_.num_named_barrier, 0
	.set _ZN2at4cuda17kernelHistogram1DIfflLi1ELi2ELin1ELNS0_23CUDAHistogramMemoryTypeE0EZNS0_21CUDA_tensor_histogramIffLb0EEEbNS_6TensorES4_S4_lNS_14AccumulateTypeIT0_Lb1EE4typeES8_NS0_13TensorArgTypeES9_S9_EUllE_EEvNS0_6detail10TensorInfoIT_T1_EESF_NSC_IKS6_SE_EElS8_S8_SE_T6_.private_seg_size, 0
	.set _ZN2at4cuda17kernelHistogram1DIfflLi1ELi2ELin1ELNS0_23CUDAHistogramMemoryTypeE0EZNS0_21CUDA_tensor_histogramIffLb0EEEbNS_6TensorES4_S4_lNS_14AccumulateTypeIT0_Lb1EE4typeES8_NS0_13TensorArgTypeES9_S9_EUllE_EEvNS0_6detail10TensorInfoIT_T1_EESF_NSC_IKS6_SE_EElS8_S8_SE_T6_.uses_vcc, 1
	.set _ZN2at4cuda17kernelHistogram1DIfflLi1ELi2ELin1ELNS0_23CUDAHistogramMemoryTypeE0EZNS0_21CUDA_tensor_histogramIffLb0EEEbNS_6TensorES4_S4_lNS_14AccumulateTypeIT0_Lb1EE4typeES8_NS0_13TensorArgTypeES9_S9_EUllE_EEvNS0_6detail10TensorInfoIT_T1_EESF_NSC_IKS6_SE_EElS8_S8_SE_T6_.uses_flat_scratch, 0
	.set _ZN2at4cuda17kernelHistogram1DIfflLi1ELi2ELin1ELNS0_23CUDAHistogramMemoryTypeE0EZNS0_21CUDA_tensor_histogramIffLb0EEEbNS_6TensorES4_S4_lNS_14AccumulateTypeIT0_Lb1EE4typeES8_NS0_13TensorArgTypeES9_S9_EUllE_EEvNS0_6detail10TensorInfoIT_T1_EESF_NSC_IKS6_SE_EElS8_S8_SE_T6_.has_dyn_sized_stack, 0
	.set _ZN2at4cuda17kernelHistogram1DIfflLi1ELi2ELin1ELNS0_23CUDAHistogramMemoryTypeE0EZNS0_21CUDA_tensor_histogramIffLb0EEEbNS_6TensorES4_S4_lNS_14AccumulateTypeIT0_Lb1EE4typeES8_NS0_13TensorArgTypeES9_S9_EUllE_EEvNS0_6detail10TensorInfoIT_T1_EESF_NSC_IKS6_SE_EElS8_S8_SE_T6_.has_recursion, 0
	.set _ZN2at4cuda17kernelHistogram1DIfflLi1ELi2ELin1ELNS0_23CUDAHistogramMemoryTypeE0EZNS0_21CUDA_tensor_histogramIffLb0EEEbNS_6TensorES4_S4_lNS_14AccumulateTypeIT0_Lb1EE4typeES8_NS0_13TensorArgTypeES9_S9_EUllE_EEvNS0_6detail10TensorInfoIT_T1_EESF_NSC_IKS6_SE_EElS8_S8_SE_T6_.has_indirect_call, 0
	.section	.AMDGPU.csdata,"",@progbits
; Kernel info:
; codeLenInByte = 1944
; TotalNumSgprs: 55
; NumVgprs: 28
; ScratchSize: 0
; MemoryBound: 0
; FloatMode: 240
; IeeeMode: 1
; LDSByteSize: 0 bytes/workgroup (compile time only)
; SGPRBlocks: 0
; VGPRBlocks: 1
; NumSGPRsForWavesPerEU: 55
; NumVGPRsForWavesPerEU: 28
; NamedBarCnt: 0
; Occupancy: 16
; WaveLimiterHint : 1
; COMPUTE_PGM_RSRC2:SCRATCH_EN: 0
; COMPUTE_PGM_RSRC2:USER_SGPR: 2
; COMPUTE_PGM_RSRC2:TRAP_HANDLER: 0
; COMPUTE_PGM_RSRC2:TGID_X_EN: 1
; COMPUTE_PGM_RSRC2:TGID_Y_EN: 0
; COMPUTE_PGM_RSRC2:TGID_Z_EN: 0
; COMPUTE_PGM_RSRC2:TIDIG_COMP_CNT: 0
	.section	.text._ZN2at4cuda17kernelHistogram1DIfflLi1ELi2ELin1ELNS0_23CUDAHistogramMemoryTypeE1EZNS0_21CUDA_tensor_histogramIffLb0EEEbNS_6TensorES4_S4_lNS_14AccumulateTypeIT0_Lb1EE4typeES8_NS0_13TensorArgTypeES9_S9_EUllE_EEvNS0_6detail10TensorInfoIT_T1_EESF_NSC_IKS6_SE_EElS8_S8_SE_T6_,"axG",@progbits,_ZN2at4cuda17kernelHistogram1DIfflLi1ELi2ELin1ELNS0_23CUDAHistogramMemoryTypeE1EZNS0_21CUDA_tensor_histogramIffLb0EEEbNS_6TensorES4_S4_lNS_14AccumulateTypeIT0_Lb1EE4typeES8_NS0_13TensorArgTypeES9_S9_EUllE_EEvNS0_6detail10TensorInfoIT_T1_EESF_NSC_IKS6_SE_EElS8_S8_SE_T6_,comdat
	.protected	_ZN2at4cuda17kernelHistogram1DIfflLi1ELi2ELin1ELNS0_23CUDAHistogramMemoryTypeE1EZNS0_21CUDA_tensor_histogramIffLb0EEEbNS_6TensorES4_S4_lNS_14AccumulateTypeIT0_Lb1EE4typeES8_NS0_13TensorArgTypeES9_S9_EUllE_EEvNS0_6detail10TensorInfoIT_T1_EESF_NSC_IKS6_SE_EElS8_S8_SE_T6_ ; -- Begin function _ZN2at4cuda17kernelHistogram1DIfflLi1ELi2ELin1ELNS0_23CUDAHistogramMemoryTypeE1EZNS0_21CUDA_tensor_histogramIffLb0EEEbNS_6TensorES4_S4_lNS_14AccumulateTypeIT0_Lb1EE4typeES8_NS0_13TensorArgTypeES9_S9_EUllE_EEvNS0_6detail10TensorInfoIT_T1_EESF_NSC_IKS6_SE_EElS8_S8_SE_T6_
	.globl	_ZN2at4cuda17kernelHistogram1DIfflLi1ELi2ELin1ELNS0_23CUDAHistogramMemoryTypeE1EZNS0_21CUDA_tensor_histogramIffLb0EEEbNS_6TensorES4_S4_lNS_14AccumulateTypeIT0_Lb1EE4typeES8_NS0_13TensorArgTypeES9_S9_EUllE_EEvNS0_6detail10TensorInfoIT_T1_EESF_NSC_IKS6_SE_EElS8_S8_SE_T6_
	.p2align	8
	.type	_ZN2at4cuda17kernelHistogram1DIfflLi1ELi2ELin1ELNS0_23CUDAHistogramMemoryTypeE1EZNS0_21CUDA_tensor_histogramIffLb0EEEbNS_6TensorES4_S4_lNS_14AccumulateTypeIT0_Lb1EE4typeES8_NS0_13TensorArgTypeES9_S9_EUllE_EEvNS0_6detail10TensorInfoIT_T1_EESF_NSC_IKS6_SE_EElS8_S8_SE_T6_,@function
_ZN2at4cuda17kernelHistogram1DIfflLi1ELi2ELin1ELNS0_23CUDAHistogramMemoryTypeE1EZNS0_21CUDA_tensor_histogramIffLb0EEEbNS_6TensorES4_S4_lNS_14AccumulateTypeIT0_Lb1EE4typeES8_NS0_13TensorArgTypeES9_S9_EUllE_EEvNS0_6detail10TensorInfoIT_T1_EESF_NSC_IKS6_SE_EElS8_S8_SE_T6_: ; @_ZN2at4cuda17kernelHistogram1DIfflLi1ELi2ELin1ELNS0_23CUDAHistogramMemoryTypeE1EZNS0_21CUDA_tensor_histogramIffLb0EEEbNS_6TensorES4_S4_lNS_14AccumulateTypeIT0_Lb1EE4typeES8_NS0_13TensorArgTypeES9_S9_EUllE_EEvNS0_6detail10TensorInfoIT_T1_EESF_NSC_IKS6_SE_EElS8_S8_SE_T6_
; %bb.0:
	s_clause 0x1
	s_load_b32 s2, s[0:1], 0x6a4
	s_load_b128 s[4:7], s[0:1], 0x4f0
	s_bfe_u32 s3, ttmp6, 0x4000c
	s_and_b32 s8, ttmp6, 15
	s_add_co_i32 s3, s3, 1
	s_getreg_b32 s9, hwreg(HW_REG_IB_STS2, 6, 4)
	s_mul_i32 s3, ttmp9, s3
	v_mov_b32_e32 v2, 0
	s_add_co_i32 s8, s8, s3
	s_delay_alu instid0(VALU_DEP_1)
	v_mov_b32_e32 v1, v2
	s_wait_kmcnt 0x0
	s_and_b32 s2, s2, 0xffff
	s_cmp_eq_u32 s9, 0
	s_cselect_b32 s3, ttmp9, s8
	s_mov_b32 s8, exec_lo
	v_mad_u32 v0, s3, s2, v0
	s_mov_b32 s3, 0
	s_delay_alu instid0(VALU_DEP_1)
	v_cmpx_gt_i64_e64 s[4:5], v[0:1]
	s_cbranch_execz .LBB81_12
; %bb.1:
	s_clause 0x1
	s_load_b32 s30, s[0:1], 0x4d8
	s_load_b128 s[8:11], s[0:1], 0x4e0
	s_add_nc_u64 s[14:15], s[0:1], 0x698
	s_load_b32 s22, s[14:15], 0x0
	s_load_b64 s[12:13], s[0:1], 0x5c8
	s_add_nc_u64 s[26:27], s[0:1], 0x340
	s_wait_xcnt 0x0
	s_clause 0x3
	s_load_b64 s[14:15], s[0:1], 0x0
	s_load_b64 s[16:17], s[0:1], 0xd0
	;; [unrolled: 1-line block ×4, first 2 shown]
	s_mov_b32 s39, 0
	s_wait_kmcnt 0x0
	s_cmp_gt_i32 s30, 1
	s_cls_i32 s23, s9
	s_cselect_b32 s1, -1, 0
	s_xor_b32 s0, s8, s9
	s_add_co_i32 s24, s23, -1
	s_ashr_i32 s0, s0, 31
	s_mul_i32 s22, s22, s2
	s_add_co_i32 s0, s0, 32
	s_add_co_i32 s2, s30, -1
	s_min_u32 s0, s24, s0
	s_sub_f32 s33, s11, s10
	s_lshl_b64 s[28:29], s[8:9], s0
	s_sub_co_i32 s0, 32, s0
	s_min_u32 s28, s28, 1
	s_mov_b32 s23, s3
	s_or_b32 s28, s29, s28
	s_mov_b64 s[24:25], 0xffffffff
	s_cvt_f32_i32 s31, s28
	s_lshl_b64 s[28:29], s[2:3], 3
	s_add_co_i32 s38, s30, 1
	s_add_nc_u64 s[26:27], s[26:27], s[28:29]
	v_ldexp_f32 v10, s31, s0
	s_add_nc_u64 s[26:27], s[26:27], 8
	s_branch .LBB81_3
.LBB81_2:                               ;   in Loop: Header=BB81_3 Depth=1
	s_wait_xcnt 0x0
	s_or_b32 exec_lo, exec_lo, s0
	v_add_nc_u64_e32 v[0:1], s[22:23], v[0:1]
	s_delay_alu instid0(VALU_DEP_1) | instskip(SKIP_1) | instid1(SALU_CYCLE_1)
	v_cmp_le_i64_e32 vcc_lo, s[4:5], v[0:1]
	s_or_b32 s39, vcc_lo, s39
	s_and_not1_b32 exec_lo, exec_lo, s39
	s_cbranch_execz .LBB81_12
.LBB81_3:                               ; =>This Loop Header: Depth=1
                                        ;     Child Loop BB81_4 Depth 2
	v_mov_b64_e32 v[4:5], 0
	v_mov_b64_e32 v[6:7], v[0:1]
	;; [unrolled: 1-line block ×3, first 2 shown]
	s_and_not1_b32 vcc_lo, exec_lo, s1
	s_mov_b64 s[28:29], s[26:27]
	s_mov_b32 s40, s38
	s_cbranch_vccnz .LBB81_10
.LBB81_4:                               ;   Parent Loop BB81_3 Depth=1
                                        ; =>  This Inner Loop Header: Depth=2
	s_load_b64 s[30:31], s[28:29], 0x0
                                        ; implicit-def: $vgpr8_vgpr9
	s_mov_b32 s0, exec_lo
	s_wait_kmcnt 0x0
	s_delay_alu instid0(VALU_DEP_1) | instskip(NEXT) | instid1(VALU_DEP_1)
	v_or_b32_e32 v3, s31, v7
	v_cmpx_ne_u64_e32 0, v[2:3]
	s_xor_b32 s41, exec_lo, s0
	s_cbranch_execz .LBB81_6
; %bb.5:                                ;   in Loop: Header=BB81_4 Depth=2
	s_ashr_i32 s34, s31, 31
	v_dual_mov_b32 v15, v2 :: v_dual_ashrrev_i32 v8, 31, v7
	s_mov_b32 s35, s34
	v_mov_b32_e32 v19, v2
	s_add_nc_u64 s[36:37], s[30:31], s[34:35]
	s_delay_alu instid0(VALU_DEP_2)
	v_mov_b32_e32 v9, v8
	s_xor_b64 s[36:37], s[36:37], s[34:35]
	v_mov_b32_e32 v23, v2
	s_cvt_f32_u32 s0, s36
	s_cvt_f32_u32 s2, s37
	s_sub_nc_u64 s[44:45], 0, s[36:37]
	v_add_nc_u64_e32 v[12:13], v[6:7], v[8:9]
	s_delay_alu instid0(SALU_CYCLE_1) | instskip(NEXT) | instid1(SALU_CYCLE_3)
	s_fmamk_f32 s0, s2, 0x4f800000, s0
	v_s_rcp_f32 s0, s0
	s_delay_alu instid0(VALU_DEP_1) | instskip(NEXT) | instid1(VALU_DEP_2)
	v_xor_b32_e32 v14, v12, v8
	v_xor_b32_e32 v18, v13, v8
	s_delay_alu instid0(TRANS32_DEP_1) | instskip(NEXT) | instid1(SALU_CYCLE_3)
	s_mul_f32 s0, s0, 0x5f7ffffc
	s_mul_f32 s2, s0, 0x2f800000
	s_delay_alu instid0(SALU_CYCLE_3) | instskip(NEXT) | instid1(SALU_CYCLE_3)
	s_trunc_f32 s2, s2
	s_fmamk_f32 s0, s2, 0xcf800000, s0
	s_cvt_u32_f32 s43, s2
	s_delay_alu instid0(SALU_CYCLE_2) | instskip(NEXT) | instid1(SALU_CYCLE_3)
	s_cvt_u32_f32 s42, s0
	s_mul_u64 s[46:47], s[44:45], s[42:43]
	s_delay_alu instid0(SALU_CYCLE_1)
	s_mul_hi_u32 s49, s42, s47
	s_mul_i32 s48, s42, s47
	s_mul_hi_u32 s2, s42, s46
	s_mul_i32 s35, s43, s46
	s_add_nc_u64 s[48:49], s[2:3], s[48:49]
	s_mul_hi_u32 s0, s43, s46
	s_mul_hi_u32 s50, s43, s47
	s_add_co_u32 s2, s48, s35
	s_add_co_ci_u32 s2, s49, s0
	s_mul_i32 s46, s43, s47
	s_add_co_ci_u32 s47, s50, 0
	s_delay_alu instid0(SALU_CYCLE_1) | instskip(NEXT) | instid1(SALU_CYCLE_1)
	s_add_nc_u64 s[46:47], s[2:3], s[46:47]
	s_add_co_u32 s42, s42, s46
	s_cselect_b32 s0, -1, 0
	s_delay_alu instid0(SALU_CYCLE_1) | instskip(SKIP_1) | instid1(SALU_CYCLE_1)
	s_cmp_lg_u32 s0, 0
	s_add_co_ci_u32 s43, s43, s47
	s_mul_u64 s[44:45], s[44:45], s[42:43]
	s_delay_alu instid0(SALU_CYCLE_1)
	s_mul_hi_u32 s47, s42, s45
	s_mul_i32 s46, s42, s45
	s_mul_hi_u32 s2, s42, s44
	s_mul_i32 s35, s43, s44
	s_add_nc_u64 s[46:47], s[2:3], s[46:47]
	s_mul_hi_u32 s0, s43, s44
	s_mul_hi_u32 s48, s43, s45
	s_add_co_u32 s2, s46, s35
	s_add_co_ci_u32 s2, s47, s0
	s_mul_i32 s44, s43, s45
	s_add_co_ci_u32 s45, s48, 0
	s_delay_alu instid0(SALU_CYCLE_1) | instskip(NEXT) | instid1(SALU_CYCLE_1)
	s_add_nc_u64 s[44:45], s[2:3], s[44:45]
	s_add_co_u32 s0, s42, s44
	s_cselect_b32 s2, -1, 0
	v_mul_hi_u32 v22, v14, s0
	s_cmp_lg_u32 s2, 0
	s_add_co_ci_u32 s2, s43, s45
	s_and_b64 s[42:43], s[0:1], s[24:25]
	v_mul_u64_e32 v[16:17], s[2:3], v[14:15]
	v_mul_u64_e32 v[12:13], s[42:43], v[18:19]
	;; [unrolled: 1-line block ×3, first 2 shown]
	s_delay_alu instid0(VALU_DEP_3) | instskip(NEXT) | instid1(VALU_DEP_1)
	v_add_nc_u64_e32 v[16:17], v[22:23], v[16:17]
	v_add_co_u32 v3, vcc_lo, v16, v12
	s_delay_alu instid0(VALU_DEP_2) | instskip(NEXT) | instid1(VALU_DEP_4)
	v_add_co_ci_u32_e32 v22, vcc_lo, v17, v13, vcc_lo
	v_add_co_ci_u32_e32 v21, vcc_lo, 0, v21, vcc_lo
	s_delay_alu instid0(VALU_DEP_1) | instskip(NEXT) | instid1(VALU_DEP_1)
	v_add_nc_u64_e32 v[12:13], v[22:23], v[20:21]
	v_mul_u64_e32 v[16:17], s[36:37], v[12:13]
	s_delay_alu instid0(VALU_DEP_1) | instskip(NEXT) | instid1(VALU_DEP_2)
	v_sub_nc_u32_e32 v3, v18, v17
	v_sub_co_u32 v9, vcc_lo, v14, v16
	s_delay_alu instid0(VALU_DEP_1) | instskip(NEXT) | instid1(VALU_DEP_3)
	v_sub_co_ci_u32_e64 v18, null, v18, v17, vcc_lo
	v_subrev_co_ci_u32_e64 v3, null, s37, v3, vcc_lo
	s_delay_alu instid0(VALU_DEP_3) | instskip(SKIP_1) | instid1(VALU_DEP_3)
	v_sub_co_u32 v11, s0, v9, s36
	v_add_nc_u64_e32 v[16:17], 1, v[12:13]
	v_subrev_co_ci_u32_e64 v3, null, 0, v3, s0
	s_delay_alu instid0(VALU_DEP_3) | instskip(SKIP_1) | instid1(VALU_DEP_3)
	v_cmp_le_u32_e32 vcc_lo, s36, v11
	v_cndmask_b32_e64 v11, 0, -1, vcc_lo
	v_cmp_le_u32_e32 vcc_lo, s37, v3
	v_cndmask_b32_e64 v14, 0, -1, vcc_lo
	;; [unrolled: 2-line block ×4, first 2 shown]
	v_cmp_eq_u32_e32 vcc_lo, s37, v3
	v_cndmask_b32_e32 v3, v14, v11, vcc_lo
	v_cmp_eq_u32_e32 vcc_lo, s37, v18
	v_add_nc_u64_e32 v[14:15], 2, v[12:13]
	v_cndmask_b32_e32 v9, v19, v9, vcc_lo
	s_delay_alu instid0(VALU_DEP_4) | instskip(NEXT) | instid1(VALU_DEP_3)
	v_cmp_ne_u32_e32 vcc_lo, 0, v3
	v_cndmask_b32_e32 v3, v17, v15, vcc_lo
	s_delay_alu instid0(VALU_DEP_3) | instskip(SKIP_1) | instid1(VALU_DEP_1)
	v_cmp_ne_u32_e64 s0, 0, v9
	v_dual_cndmask_b32 v9, v16, v14, vcc_lo :: v_dual_bitop2_b32 v8, s34, v8 bitop3:0x14
	v_dual_cndmask_b32 v3, v13, v3, s0 :: v_dual_cndmask_b32 v11, v12, v9, s0
	s_delay_alu instid0(VALU_DEP_1) | instskip(NEXT) | instid1(VALU_DEP_2)
	v_dual_mov_b32 v9, v8 :: v_dual_bitop2_b32 v13, v3, v8 bitop3:0x14
	v_xor_b32_e32 v12, v11, v8
	s_delay_alu instid0(VALU_DEP_1)
	v_sub_nc_u64_e32 v[8:9], v[12:13], v[8:9]
.LBB81_6:                               ;   in Loop: Header=BB81_4 Depth=2
	s_and_not1_saveexec_b32 s0, s41
	s_cbranch_execz .LBB81_8
; %bb.7:                                ;   in Loop: Header=BB81_4 Depth=2
	v_cvt_f32_u32_e32 v3, s30
	s_sub_co_i32 s2, 0, s30
	s_delay_alu instid0(VALU_DEP_1) | instskip(SKIP_1) | instid1(TRANS32_DEP_1)
	v_rcp_iflag_f32_e32 v3, v3
	v_nop
	v_mul_f32_e32 v3, 0x4f7ffffe, v3
	s_delay_alu instid0(VALU_DEP_1) | instskip(NEXT) | instid1(VALU_DEP_1)
	v_cvt_u32_f32_e32 v3, v3
	v_mul_lo_u32 v8, s2, v3
	s_delay_alu instid0(VALU_DEP_1) | instskip(NEXT) | instid1(VALU_DEP_1)
	v_mul_hi_u32 v8, v3, v8
	v_add_nc_u32_e32 v3, v3, v8
	s_delay_alu instid0(VALU_DEP_1) | instskip(NEXT) | instid1(VALU_DEP_1)
	v_mul_hi_u32 v3, v6, v3
	v_mul_lo_u32 v8, v3, s30
	s_delay_alu instid0(VALU_DEP_1) | instskip(NEXT) | instid1(VALU_DEP_1)
	v_dual_add_nc_u32 v9, 1, v3 :: v_dual_sub_nc_u32 v8, v6, v8
	v_subrev_nc_u32_e32 v11, s30, v8
	v_cmp_le_u32_e32 vcc_lo, s30, v8
	s_delay_alu instid0(VALU_DEP_2) | instskip(NEXT) | instid1(VALU_DEP_1)
	v_dual_cndmask_b32 v8, v8, v11 :: v_dual_cndmask_b32 v3, v3, v9
	v_cmp_le_u32_e32 vcc_lo, s30, v8
	s_delay_alu instid0(VALU_DEP_2) | instskip(NEXT) | instid1(VALU_DEP_1)
	v_add_nc_u32_e32 v9, 1, v3
	v_dual_cndmask_b32 v8, v3, v9 :: v_dual_mov_b32 v9, v2
.LBB81_8:                               ;   in Loop: Header=BB81_4 Depth=2
	s_or_b32 exec_lo, exec_lo, s0
	s_delay_alu instid0(VALU_DEP_1)
	v_mul_u64_e32 v[12:13], s[30:31], v[8:9]
	s_load_b64 s[30:31], s[28:29], 0xc8
	s_add_co_i32 s40, s40, -1
	s_wait_xcnt 0x0
	s_add_nc_u64 s[28:29], s[28:29], -8
	s_cmp_gt_u32 s40, 2
	s_delay_alu instid0(VALU_DEP_1) | instskip(SKIP_1) | instid1(VALU_DEP_1)
	v_sub_nc_u64_e32 v[6:7], v[6:7], v[12:13]
	s_wait_kmcnt 0x0
	v_mad_nc_u64_u32 v[4:5], s30, v6, v[4:5]
	s_delay_alu instid0(VALU_DEP_1) | instskip(NEXT) | instid1(VALU_DEP_1)
	v_mad_u32 v3, s31, v6, v5
	v_mad_u32 v5, s30, v7, v3
	s_cbranch_scc0 .LBB81_10
; %bb.9:                                ;   in Loop: Header=BB81_4 Depth=2
	v_mov_b64_e32 v[6:7], v[8:9]
	s_branch .LBB81_4
.LBB81_10:                              ;   in Loop: Header=BB81_3 Depth=1
	s_delay_alu instid0(VALU_DEP_1) | instskip(NEXT) | instid1(VALU_DEP_1)
	v_mul_u64_e32 v[6:7], s[18:19], v[8:9]
	v_lshl_add_u64 v[6:7], v[6:7], 2, s[20:21]
	s_delay_alu instid0(VALU_DEP_1)
	v_lshl_add_u64 v[4:5], v[4:5], 2, v[6:7]
	global_load_b32 v3, v[4:5], off
	s_wait_loadcnt 0x0
	v_cmp_le_f32_e32 vcc_lo, s10, v3
	v_cmp_ge_f32_e64 s0, s11, v3
	s_and_b32 s2, vcc_lo, s0
	s_wait_xcnt 0x0
	s_and_saveexec_b32 s0, s2
	s_cbranch_execz .LBB81_2
; %bb.11:                               ;   in Loop: Header=BB81_3 Depth=1
	v_mul_u64_e32 v[4:5], s[12:13], v[0:1]
	v_subrev_f32_e32 v3, s10, v3
	s_delay_alu instid0(VALU_DEP_1) | instskip(NEXT) | instid1(VALU_DEP_3)
	v_mul_f32_e32 v3, v3, v10
	v_lshl_add_u64 v[4:5], v[4:5], 2, s[6:7]
	global_load_b32 v8, v[4:5], off
	s_wait_xcnt 0x0
	v_div_scale_f32 v4, null, s33, s33, v3
	s_delay_alu instid0(VALU_DEP_1) | instskip(SKIP_1) | instid1(TRANS32_DEP_1)
	v_rcp_f32_e32 v5, v4
	v_nop
	v_fma_f32 v6, -v4, v5, 1.0
	s_delay_alu instid0(VALU_DEP_1) | instskip(SKIP_1) | instid1(VALU_DEP_1)
	v_fmac_f32_e32 v5, v6, v5
	v_div_scale_f32 v6, vcc_lo, v3, s33, v3
	v_mul_f32_e32 v7, v6, v5
	s_delay_alu instid0(VALU_DEP_1) | instskip(NEXT) | instid1(VALU_DEP_1)
	v_fma_f32 v9, -v4, v7, v6
	v_fmac_f32_e32 v7, v9, v5
	s_delay_alu instid0(VALU_DEP_1) | instskip(NEXT) | instid1(VALU_DEP_1)
	v_fma_f32 v4, -v4, v7, v6
	v_div_fmas_f32 v4, v4, v5, v7
	v_mov_b32_e32 v7, s3
	s_delay_alu instid0(VALU_DEP_2) | instskip(NEXT) | instid1(VALU_DEP_1)
	v_div_fixup_f32 v3, v4, s33, v3
	v_cvt_i32_f32_e32 v4, v3
	s_delay_alu instid0(VALU_DEP_1) | instskip(NEXT) | instid1(VALU_DEP_1)
	v_ashrrev_i32_e32 v5, 31, v4
	v_cmp_eq_u64_e32 vcc_lo, s[8:9], v[4:5]
	v_cndmask_b32_e64 v6, 0, 1, vcc_lo
	s_delay_alu instid0(VALU_DEP_1) | instskip(NEXT) | instid1(VALU_DEP_1)
	v_sub_nc_u64_e32 v[4:5], v[4:5], v[6:7]
	v_mul_u64_e32 v[4:5], s[16:17], v[4:5]
	s_delay_alu instid0(VALU_DEP_1)
	v_lshl_add_u64 v[4:5], v[4:5], 2, s[14:15]
	s_wait_loadcnt 0x0
	global_atomic_add_f32 v[4:5], v8, off scope:SCOPE_DEV
	s_branch .LBB81_2
.LBB81_12:
	s_endpgm
	.section	.rodata,"a",@progbits
	.p2align	6, 0x0
	.amdhsa_kernel _ZN2at4cuda17kernelHistogram1DIfflLi1ELi2ELin1ELNS0_23CUDAHistogramMemoryTypeE1EZNS0_21CUDA_tensor_histogramIffLb0EEEbNS_6TensorES4_S4_lNS_14AccumulateTypeIT0_Lb1EE4typeES8_NS0_13TensorArgTypeES9_S9_EUllE_EEvNS0_6detail10TensorInfoIT_T1_EESF_NSC_IKS6_SE_EElS8_S8_SE_T6_
		.amdhsa_group_segment_fixed_size 0
		.amdhsa_private_segment_fixed_size 0
		.amdhsa_kernarg_size 1944
		.amdhsa_user_sgpr_count 2
		.amdhsa_user_sgpr_dispatch_ptr 0
		.amdhsa_user_sgpr_queue_ptr 0
		.amdhsa_user_sgpr_kernarg_segment_ptr 1
		.amdhsa_user_sgpr_dispatch_id 0
		.amdhsa_user_sgpr_kernarg_preload_length 0
		.amdhsa_user_sgpr_kernarg_preload_offset 0
		.amdhsa_user_sgpr_private_segment_size 0
		.amdhsa_wavefront_size32 1
		.amdhsa_uses_dynamic_stack 0
		.amdhsa_enable_private_segment 0
		.amdhsa_system_sgpr_workgroup_id_x 1
		.amdhsa_system_sgpr_workgroup_id_y 0
		.amdhsa_system_sgpr_workgroup_id_z 0
		.amdhsa_system_sgpr_workgroup_info 0
		.amdhsa_system_vgpr_workitem_id 0
		.amdhsa_next_free_vgpr 24
		.amdhsa_next_free_sgpr 51
		.amdhsa_named_barrier_count 0
		.amdhsa_reserve_vcc 1
		.amdhsa_float_round_mode_32 0
		.amdhsa_float_round_mode_16_64 0
		.amdhsa_float_denorm_mode_32 3
		.amdhsa_float_denorm_mode_16_64 3
		.amdhsa_fp16_overflow 0
		.amdhsa_memory_ordered 1
		.amdhsa_forward_progress 1
		.amdhsa_inst_pref_size 12
		.amdhsa_round_robin_scheduling 0
		.amdhsa_exception_fp_ieee_invalid_op 0
		.amdhsa_exception_fp_denorm_src 0
		.amdhsa_exception_fp_ieee_div_zero 0
		.amdhsa_exception_fp_ieee_overflow 0
		.amdhsa_exception_fp_ieee_underflow 0
		.amdhsa_exception_fp_ieee_inexact 0
		.amdhsa_exception_int_div_zero 0
	.end_amdhsa_kernel
	.section	.text._ZN2at4cuda17kernelHistogram1DIfflLi1ELi2ELin1ELNS0_23CUDAHistogramMemoryTypeE1EZNS0_21CUDA_tensor_histogramIffLb0EEEbNS_6TensorES4_S4_lNS_14AccumulateTypeIT0_Lb1EE4typeES8_NS0_13TensorArgTypeES9_S9_EUllE_EEvNS0_6detail10TensorInfoIT_T1_EESF_NSC_IKS6_SE_EElS8_S8_SE_T6_,"axG",@progbits,_ZN2at4cuda17kernelHistogram1DIfflLi1ELi2ELin1ELNS0_23CUDAHistogramMemoryTypeE1EZNS0_21CUDA_tensor_histogramIffLb0EEEbNS_6TensorES4_S4_lNS_14AccumulateTypeIT0_Lb1EE4typeES8_NS0_13TensorArgTypeES9_S9_EUllE_EEvNS0_6detail10TensorInfoIT_T1_EESF_NSC_IKS6_SE_EElS8_S8_SE_T6_,comdat
.Lfunc_end81:
	.size	_ZN2at4cuda17kernelHistogram1DIfflLi1ELi2ELin1ELNS0_23CUDAHistogramMemoryTypeE1EZNS0_21CUDA_tensor_histogramIffLb0EEEbNS_6TensorES4_S4_lNS_14AccumulateTypeIT0_Lb1EE4typeES8_NS0_13TensorArgTypeES9_S9_EUllE_EEvNS0_6detail10TensorInfoIT_T1_EESF_NSC_IKS6_SE_EElS8_S8_SE_T6_, .Lfunc_end81-_ZN2at4cuda17kernelHistogram1DIfflLi1ELi2ELin1ELNS0_23CUDAHistogramMemoryTypeE1EZNS0_21CUDA_tensor_histogramIffLb0EEEbNS_6TensorES4_S4_lNS_14AccumulateTypeIT0_Lb1EE4typeES8_NS0_13TensorArgTypeES9_S9_EUllE_EEvNS0_6detail10TensorInfoIT_T1_EESF_NSC_IKS6_SE_EElS8_S8_SE_T6_
                                        ; -- End function
	.set _ZN2at4cuda17kernelHistogram1DIfflLi1ELi2ELin1ELNS0_23CUDAHistogramMemoryTypeE1EZNS0_21CUDA_tensor_histogramIffLb0EEEbNS_6TensorES4_S4_lNS_14AccumulateTypeIT0_Lb1EE4typeES8_NS0_13TensorArgTypeES9_S9_EUllE_EEvNS0_6detail10TensorInfoIT_T1_EESF_NSC_IKS6_SE_EElS8_S8_SE_T6_.num_vgpr, 24
	.set _ZN2at4cuda17kernelHistogram1DIfflLi1ELi2ELin1ELNS0_23CUDAHistogramMemoryTypeE1EZNS0_21CUDA_tensor_histogramIffLb0EEEbNS_6TensorES4_S4_lNS_14AccumulateTypeIT0_Lb1EE4typeES8_NS0_13TensorArgTypeES9_S9_EUllE_EEvNS0_6detail10TensorInfoIT_T1_EESF_NSC_IKS6_SE_EElS8_S8_SE_T6_.num_agpr, 0
	.set _ZN2at4cuda17kernelHistogram1DIfflLi1ELi2ELin1ELNS0_23CUDAHistogramMemoryTypeE1EZNS0_21CUDA_tensor_histogramIffLb0EEEbNS_6TensorES4_S4_lNS_14AccumulateTypeIT0_Lb1EE4typeES8_NS0_13TensorArgTypeES9_S9_EUllE_EEvNS0_6detail10TensorInfoIT_T1_EESF_NSC_IKS6_SE_EElS8_S8_SE_T6_.numbered_sgpr, 51
	.set _ZN2at4cuda17kernelHistogram1DIfflLi1ELi2ELin1ELNS0_23CUDAHistogramMemoryTypeE1EZNS0_21CUDA_tensor_histogramIffLb0EEEbNS_6TensorES4_S4_lNS_14AccumulateTypeIT0_Lb1EE4typeES8_NS0_13TensorArgTypeES9_S9_EUllE_EEvNS0_6detail10TensorInfoIT_T1_EESF_NSC_IKS6_SE_EElS8_S8_SE_T6_.num_named_barrier, 0
	.set _ZN2at4cuda17kernelHistogram1DIfflLi1ELi2ELin1ELNS0_23CUDAHistogramMemoryTypeE1EZNS0_21CUDA_tensor_histogramIffLb0EEEbNS_6TensorES4_S4_lNS_14AccumulateTypeIT0_Lb1EE4typeES8_NS0_13TensorArgTypeES9_S9_EUllE_EEvNS0_6detail10TensorInfoIT_T1_EESF_NSC_IKS6_SE_EElS8_S8_SE_T6_.private_seg_size, 0
	.set _ZN2at4cuda17kernelHistogram1DIfflLi1ELi2ELin1ELNS0_23CUDAHistogramMemoryTypeE1EZNS0_21CUDA_tensor_histogramIffLb0EEEbNS_6TensorES4_S4_lNS_14AccumulateTypeIT0_Lb1EE4typeES8_NS0_13TensorArgTypeES9_S9_EUllE_EEvNS0_6detail10TensorInfoIT_T1_EESF_NSC_IKS6_SE_EElS8_S8_SE_T6_.uses_vcc, 1
	.set _ZN2at4cuda17kernelHistogram1DIfflLi1ELi2ELin1ELNS0_23CUDAHistogramMemoryTypeE1EZNS0_21CUDA_tensor_histogramIffLb0EEEbNS_6TensorES4_S4_lNS_14AccumulateTypeIT0_Lb1EE4typeES8_NS0_13TensorArgTypeES9_S9_EUllE_EEvNS0_6detail10TensorInfoIT_T1_EESF_NSC_IKS6_SE_EElS8_S8_SE_T6_.uses_flat_scratch, 0
	.set _ZN2at4cuda17kernelHistogram1DIfflLi1ELi2ELin1ELNS0_23CUDAHistogramMemoryTypeE1EZNS0_21CUDA_tensor_histogramIffLb0EEEbNS_6TensorES4_S4_lNS_14AccumulateTypeIT0_Lb1EE4typeES8_NS0_13TensorArgTypeES9_S9_EUllE_EEvNS0_6detail10TensorInfoIT_T1_EESF_NSC_IKS6_SE_EElS8_S8_SE_T6_.has_dyn_sized_stack, 0
	.set _ZN2at4cuda17kernelHistogram1DIfflLi1ELi2ELin1ELNS0_23CUDAHistogramMemoryTypeE1EZNS0_21CUDA_tensor_histogramIffLb0EEEbNS_6TensorES4_S4_lNS_14AccumulateTypeIT0_Lb1EE4typeES8_NS0_13TensorArgTypeES9_S9_EUllE_EEvNS0_6detail10TensorInfoIT_T1_EESF_NSC_IKS6_SE_EElS8_S8_SE_T6_.has_recursion, 0
	.set _ZN2at4cuda17kernelHistogram1DIfflLi1ELi2ELin1ELNS0_23CUDAHistogramMemoryTypeE1EZNS0_21CUDA_tensor_histogramIffLb0EEEbNS_6TensorES4_S4_lNS_14AccumulateTypeIT0_Lb1EE4typeES8_NS0_13TensorArgTypeES9_S9_EUllE_EEvNS0_6detail10TensorInfoIT_T1_EESF_NSC_IKS6_SE_EElS8_S8_SE_T6_.has_indirect_call, 0
	.section	.AMDGPU.csdata,"",@progbits
; Kernel info:
; codeLenInByte = 1492
; TotalNumSgprs: 53
; NumVgprs: 24
; ScratchSize: 0
; MemoryBound: 0
; FloatMode: 240
; IeeeMode: 1
; LDSByteSize: 0 bytes/workgroup (compile time only)
; SGPRBlocks: 0
; VGPRBlocks: 1
; NumSGPRsForWavesPerEU: 53
; NumVGPRsForWavesPerEU: 24
; NamedBarCnt: 0
; Occupancy: 16
; WaveLimiterHint : 1
; COMPUTE_PGM_RSRC2:SCRATCH_EN: 0
; COMPUTE_PGM_RSRC2:USER_SGPR: 2
; COMPUTE_PGM_RSRC2:TRAP_HANDLER: 0
; COMPUTE_PGM_RSRC2:TGID_X_EN: 1
; COMPUTE_PGM_RSRC2:TGID_Y_EN: 0
; COMPUTE_PGM_RSRC2:TGID_Z_EN: 0
; COMPUTE_PGM_RSRC2:TIDIG_COMP_CNT: 0
	.section	.text._ZN2at4cuda17kernelHistogram1DIfflLi1ELi2ELin1ELNS0_23CUDAHistogramMemoryTypeE0EZNS0_21CUDA_tensor_histogramIffLb0EEEbNS_6TensorES4_S4_lNS_14AccumulateTypeIT0_Lb1EE4typeES8_NS0_13TensorArgTypeES9_S9_EUllE0_EEvNS0_6detail10TensorInfoIT_T1_EESF_NSC_IKS6_SE_EElS8_S8_SE_T6_,"axG",@progbits,_ZN2at4cuda17kernelHistogram1DIfflLi1ELi2ELin1ELNS0_23CUDAHistogramMemoryTypeE0EZNS0_21CUDA_tensor_histogramIffLb0EEEbNS_6TensorES4_S4_lNS_14AccumulateTypeIT0_Lb1EE4typeES8_NS0_13TensorArgTypeES9_S9_EUllE0_EEvNS0_6detail10TensorInfoIT_T1_EESF_NSC_IKS6_SE_EElS8_S8_SE_T6_,comdat
	.protected	_ZN2at4cuda17kernelHistogram1DIfflLi1ELi2ELin1ELNS0_23CUDAHistogramMemoryTypeE0EZNS0_21CUDA_tensor_histogramIffLb0EEEbNS_6TensorES4_S4_lNS_14AccumulateTypeIT0_Lb1EE4typeES8_NS0_13TensorArgTypeES9_S9_EUllE0_EEvNS0_6detail10TensorInfoIT_T1_EESF_NSC_IKS6_SE_EElS8_S8_SE_T6_ ; -- Begin function _ZN2at4cuda17kernelHistogram1DIfflLi1ELi2ELin1ELNS0_23CUDAHistogramMemoryTypeE0EZNS0_21CUDA_tensor_histogramIffLb0EEEbNS_6TensorES4_S4_lNS_14AccumulateTypeIT0_Lb1EE4typeES8_NS0_13TensorArgTypeES9_S9_EUllE0_EEvNS0_6detail10TensorInfoIT_T1_EESF_NSC_IKS6_SE_EElS8_S8_SE_T6_
	.globl	_ZN2at4cuda17kernelHistogram1DIfflLi1ELi2ELin1ELNS0_23CUDAHistogramMemoryTypeE0EZNS0_21CUDA_tensor_histogramIffLb0EEEbNS_6TensorES4_S4_lNS_14AccumulateTypeIT0_Lb1EE4typeES8_NS0_13TensorArgTypeES9_S9_EUllE0_EEvNS0_6detail10TensorInfoIT_T1_EESF_NSC_IKS6_SE_EElS8_S8_SE_T6_
	.p2align	8
	.type	_ZN2at4cuda17kernelHistogram1DIfflLi1ELi2ELin1ELNS0_23CUDAHistogramMemoryTypeE0EZNS0_21CUDA_tensor_histogramIffLb0EEEbNS_6TensorES4_S4_lNS_14AccumulateTypeIT0_Lb1EE4typeES8_NS0_13TensorArgTypeES9_S9_EUllE0_EEvNS0_6detail10TensorInfoIT_T1_EESF_NSC_IKS6_SE_EElS8_S8_SE_T6_,@function
_ZN2at4cuda17kernelHistogram1DIfflLi1ELi2ELin1ELNS0_23CUDAHistogramMemoryTypeE0EZNS0_21CUDA_tensor_histogramIffLb0EEEbNS_6TensorES4_S4_lNS_14AccumulateTypeIT0_Lb1EE4typeES8_NS0_13TensorArgTypeES9_S9_EUllE0_EEvNS0_6detail10TensorInfoIT_T1_EESF_NSC_IKS6_SE_EElS8_S8_SE_T6_: ; @_ZN2at4cuda17kernelHistogram1DIfflLi1ELi2ELin1ELNS0_23CUDAHistogramMemoryTypeE0EZNS0_21CUDA_tensor_histogramIffLb0EEEbNS_6TensorES4_S4_lNS_14AccumulateTypeIT0_Lb1EE4typeES8_NS0_13TensorArgTypeES9_S9_EUllE0_EEvNS0_6detail10TensorInfoIT_T1_EESF_NSC_IKS6_SE_EElS8_S8_SE_T6_
; %bb.0:
	s_load_b128 s[4:7], s[0:1], 0x0
	v_mov_b32_e32 v1, 0
	s_add_nc_u64 s[16:17], s[0:1], 0x500
	s_mov_b32 s3, exec_lo
                                        ; implicit-def: $sgpr8
	s_wait_kmcnt 0x0
	s_delay_alu instid0(VALU_DEP_1)
	v_cmp_gt_i64_e64 s2, s[6:7], v[0:1]
	v_cmpx_le_i64_e64 s[6:7], v[0:1]
	s_xor_b32 s3, exec_lo, s3
; %bb.1:
	s_load_b32 s8, s[16:17], 0xc
; %bb.2:
	s_or_saveexec_b32 s3, s3
	s_wait_kmcnt 0x0
	v_mov_b32_e32 v4, s8
	s_xor_b32 exec_lo, exec_lo, s3
	s_cbranch_execz .LBB82_12
; %bb.3:
	v_dual_mov_b32 v5, 0 :: v_dual_add_nc_u32 v4, 1, v0
	s_load_b32 s10, s[16:17], 0xc
	s_mov_b32 s12, -1
	s_delay_alu instid0(VALU_DEP_1) | instskip(SKIP_2) | instid1(SALU_CYCLE_1)
	v_max_i64 v[2:3], s[6:7], v[4:5]
	s_wait_kmcnt 0x0
	s_and_b32 s8, s10, 0xffff
	s_cmp_eq_u32 s8, 1
	s_cselect_b32 s9, -1, 0
	s_delay_alu instid0(VALU_DEP_1) | instskip(SKIP_1) | instid1(VALU_DEP_2)
	v_sub_nc_u64_e32 v[6:7], v[2:3], v[0:1]
	v_mov_b64_e32 v[2:3], v[0:1]
	v_cmp_lt_u64_e32 vcc_lo, 1, v[6:7]
	s_and_b32 s11, vcc_lo, s9
	s_delay_alu instid0(SALU_CYCLE_1)
	s_and_saveexec_b32 s9, s11
	s_cbranch_execz .LBB82_7
; %bb.4:
	v_dual_mov_b32 v3, v7 :: v_dual_bitop2_b32 v2, -2, v6 bitop3:0x40
	v_lshl_add_u32 v4, v0, 2, 0
	s_mov_b32 s11, 0
	s_delay_alu instid0(VALU_DEP_2)
	v_mov_b64_e32 v[8:9], v[2:3]
.LBB82_5:                               ; =>This Inner Loop Header: Depth=1
	s_delay_alu instid0(VALU_DEP_1) | instskip(SKIP_4) | instid1(SALU_CYCLE_1)
	v_add_nc_u64_e32 v[8:9], -2, v[8:9]
	ds_store_2addr_b32 v4, v5, v5 offset1:1
	v_add_nc_u32_e32 v4, 8, v4
	v_cmp_eq_u64_e32 vcc_lo, 0, v[8:9]
	s_or_b32 s11, vcc_lo, s11
	s_and_not1_b32 exec_lo, exec_lo, s11
	s_cbranch_execnz .LBB82_5
; %bb.6:
	s_or_b32 exec_lo, exec_lo, s11
	v_cmp_ne_u64_e32 vcc_lo, v[6:7], v[2:3]
	v_add_nc_u64_e32 v[2:3], v[2:3], v[0:1]
	s_or_not1_b32 s12, vcc_lo, exec_lo
.LBB82_7:
	s_or_b32 exec_lo, exec_lo, s9
	v_mov_b32_e32 v4, 1
	s_and_saveexec_b32 s11, s12
	s_cbranch_execz .LBB82_11
; %bb.8:
	s_delay_alu instid0(VALU_DEP_2)
	v_lshl_add_u32 v4, v2, 2, 0
	v_mov_b32_e32 v5, 0
	s_mov_b32 s9, 0
	s_lshl_b32 s13, s8, 2
	s_mov_b32 s12, s9
.LBB82_9:                               ; =>This Inner Loop Header: Depth=1
	v_add_nc_u64_e32 v[2:3], s[8:9], v[2:3]
	ds_store_b32 v4, v5
	v_add_nc_u32_e32 v4, s13, v4
	v_cmp_le_i64_e32 vcc_lo, s[6:7], v[2:3]
	s_or_b32 s12, vcc_lo, s12
	s_delay_alu instid0(SALU_CYCLE_1)
	s_and_not1_b32 exec_lo, exec_lo, s12
	s_cbranch_execnz .LBB82_9
; %bb.10:
	s_or_b32 exec_lo, exec_lo, s12
	v_mov_b32_e32 v4, s10
.LBB82_11:
	s_or_b32 exec_lo, exec_lo, s11
.LBB82_12:
	s_delay_alu instid0(SALU_CYCLE_1)
	s_or_b32 exec_lo, exec_lo, s3
	s_bfe_u32 s3, ttmp6, 0x4000c
	s_load_b64 s[12:13], s[0:1], 0x4f0
	s_add_co_i32 s3, s3, 1
	s_and_b32 s8, ttmp6, 15
	s_mul_i32 s3, ttmp9, s3
	s_getreg_b32 s9, hwreg(HW_REG_IB_STS2, 6, 4)
	v_and_b32_e32 v2, 0xffff, v4
	s_add_co_i32 s8, s8, s3
	s_cmp_eq_u32 s9, 0
	v_mov_b32_e32 v6, 0
	s_cselect_b32 s3, ttmp9, s8
	s_mov_b32 s15, 0
	v_mad_u32 v4, s3, v2, v0
	s_mov_b32 s33, exec_lo
	v_mov_b32_e32 v5, v6
	s_wait_dscnt 0x0
	s_barrier_signal -1
	s_barrier_wait -1
	s_wait_kmcnt 0x0
	s_delay_alu instid0(VALU_DEP_2)
	v_cmpx_gt_i64_e64 s[12:13], v[4:5]
	s_cbranch_execz .LBB82_24
; %bb.13:
	s_clause 0x1
	s_load_b32 s3, s[0:1], 0x4d8
	s_load_b128 s[8:11], s[0:1], 0x4e0
	s_load_b32 s14, s[16:17], 0x0
	s_wait_xcnt 0x0
	s_clause 0x1
	s_load_b64 s[16:17], s[0:1], 0x410
	s_load_b64 s[18:19], s[0:1], 0x340
	s_add_nc_u64 s[22:23], s[0:1], 0x340
	v_dual_mov_b32 v9, v6 :: v_dual_mov_b32 v16, 1.0
	s_mov_b32 s37, 0
	s_wait_kmcnt 0x0
	s_cmp_gt_i32 s3, 1
	s_cls_i32 s21, s9
	s_cselect_b32 s34, -1, 0
	s_xor_b32 s20, s8, s9
	s_add_co_i32 s24, s21, -1
	s_ashr_i32 s20, s20, 31
	v_mul_lo_u32 v8, s14, v2
	s_add_co_i32 s25, s20, 32
	s_add_co_i32 s14, s3, -1
	s_min_u32 s26, s24, s25
	s_sub_f32 s35, s11, s10
	s_lshl_b64 s[24:25], s[8:9], s26
	s_mov_b64 s[20:21], 0xffffffff
	s_min_u32 s24, s24, 1
	s_add_co_i32 s36, s3, 1
	s_or_b32 s24, s25, s24
	s_delay_alu instid0(SALU_CYCLE_1)
	s_cvt_f32_i32 s27, s24
	s_lshl_b64 s[24:25], s[14:15], 3
	s_sub_co_i32 s14, 32, s26
	s_add_nc_u64 s[22:23], s[22:23], s[24:25]
	v_ldexp_f32 v3, s27, s14
	s_add_nc_u64 s[22:23], s[22:23], 8
	s_branch .LBB82_15
.LBB82_14:                              ;   in Loop: Header=BB82_15 Depth=1
	s_or_b32 exec_lo, exec_lo, s3
	v_add_nc_u64_e32 v[4:5], v[4:5], v[8:9]
	s_delay_alu instid0(VALU_DEP_1) | instskip(SKIP_1) | instid1(SALU_CYCLE_1)
	v_cmp_le_i64_e32 vcc_lo, s[12:13], v[4:5]
	s_or_b32 s37, vcc_lo, s37
	s_and_not1_b32 exec_lo, exec_lo, s37
	s_cbranch_execz .LBB82_24
.LBB82_15:                              ; =>This Loop Header: Depth=1
                                        ;     Child Loop BB82_16 Depth 2
	v_mov_b64_e32 v[10:11], 0
	v_mov_b64_e32 v[12:13], v[4:5]
	;; [unrolled: 1-line block ×3, first 2 shown]
	s_and_not1_b32 vcc_lo, exec_lo, s34
	s_mov_b64 s[24:25], s[22:23]
	s_mov_b32 s38, s36
	s_cbranch_vccnz .LBB82_22
.LBB82_16:                              ;   Parent Loop BB82_15 Depth=1
                                        ; =>  This Inner Loop Header: Depth=2
	s_load_b64 s[26:27], s[24:25], 0x0
                                        ; implicit-def: $vgpr14_vgpr15
	s_mov_b32 s3, exec_lo
	s_wait_kmcnt 0x0
	s_delay_alu instid0(VALU_DEP_1) | instskip(NEXT) | instid1(VALU_DEP_1)
	v_or_b32_e32 v7, s27, v13
	v_cmpx_ne_u64_e32 0, v[6:7]
	s_xor_b32 s39, exec_lo, s3
	s_cbranch_execz .LBB82_18
; %bb.17:                               ;   in Loop: Header=BB82_16 Depth=2
	s_ashr_i32 s28, s27, 31
	v_dual_mov_b32 v21, v6 :: v_dual_ashrrev_i32 v14, 31, v13
	s_mov_b32 s29, s28
	v_mov_b32_e32 v25, v6
	s_add_nc_u64 s[30:31], s[26:27], s[28:29]
	s_delay_alu instid0(VALU_DEP_2)
	v_mov_b32_e32 v15, v14
	s_xor_b64 s[30:31], s[30:31], s[28:29]
	v_mov_b32_e32 v29, v6
	s_cvt_f32_u32 s3, s30
	s_cvt_f32_u32 s14, s31
	s_sub_nc_u64 s[42:43], 0, s[30:31]
	v_add_nc_u64_e32 v[18:19], v[12:13], v[14:15]
	s_delay_alu instid0(SALU_CYCLE_1) | instskip(NEXT) | instid1(SALU_CYCLE_3)
	s_fmamk_f32 s3, s14, 0x4f800000, s3
	v_s_rcp_f32 s3, s3
	s_delay_alu instid0(VALU_DEP_1) | instskip(NEXT) | instid1(VALU_DEP_2)
	v_xor_b32_e32 v24, v19, v14
	v_xor_b32_e32 v20, v18, v14
	s_delay_alu instid0(TRANS32_DEP_1) | instskip(NEXT) | instid1(SALU_CYCLE_3)
	s_mul_f32 s3, s3, 0x5f7ffffc
	s_mul_f32 s14, s3, 0x2f800000
	s_delay_alu instid0(SALU_CYCLE_3) | instskip(NEXT) | instid1(SALU_CYCLE_3)
	s_trunc_f32 s14, s14
	s_fmamk_f32 s3, s14, 0xcf800000, s3
	s_cvt_u32_f32 s41, s14
	s_delay_alu instid0(SALU_CYCLE_2) | instskip(NEXT) | instid1(SALU_CYCLE_3)
	s_cvt_u32_f32 s40, s3
	s_mul_u64 s[44:45], s[42:43], s[40:41]
	s_delay_alu instid0(SALU_CYCLE_1)
	s_mul_hi_u32 s47, s40, s45
	s_mul_i32 s46, s40, s45
	s_mul_hi_u32 s14, s40, s44
	s_mul_i32 s29, s41, s44
	s_add_nc_u64 s[46:47], s[14:15], s[46:47]
	s_mul_hi_u32 s3, s41, s44
	s_mul_hi_u32 s48, s41, s45
	s_add_co_u32 s14, s46, s29
	s_add_co_ci_u32 s14, s47, s3
	s_mul_i32 s44, s41, s45
	s_add_co_ci_u32 s45, s48, 0
	s_delay_alu instid0(SALU_CYCLE_1) | instskip(NEXT) | instid1(SALU_CYCLE_1)
	s_add_nc_u64 s[44:45], s[14:15], s[44:45]
	s_add_co_u32 s40, s40, s44
	s_cselect_b32 s3, -1, 0
	s_delay_alu instid0(SALU_CYCLE_1) | instskip(SKIP_1) | instid1(SALU_CYCLE_1)
	s_cmp_lg_u32 s3, 0
	s_add_co_ci_u32 s41, s41, s45
	s_mul_u64 s[42:43], s[42:43], s[40:41]
	s_delay_alu instid0(SALU_CYCLE_1)
	s_mul_hi_u32 s45, s40, s43
	s_mul_i32 s44, s40, s43
	s_mul_hi_u32 s14, s40, s42
	s_mul_i32 s29, s41, s42
	s_add_nc_u64 s[44:45], s[14:15], s[44:45]
	s_mul_hi_u32 s3, s41, s42
	s_mul_hi_u32 s46, s41, s43
	s_add_co_u32 s14, s44, s29
	s_add_co_ci_u32 s14, s45, s3
	s_mul_i32 s42, s41, s43
	s_add_co_ci_u32 s43, s46, 0
	s_delay_alu instid0(SALU_CYCLE_1) | instskip(NEXT) | instid1(SALU_CYCLE_1)
	s_add_nc_u64 s[42:43], s[14:15], s[42:43]
	s_add_co_u32 s40, s40, s42
	s_cselect_b32 s3, -1, 0
	v_mul_hi_u32 v28, v20, s40
	s_cmp_lg_u32 s3, 0
	s_add_co_ci_u32 s14, s41, s43
	s_and_b64 s[42:43], s[40:41], s[20:21]
	v_mul_u64_e32 v[22:23], s[14:15], v[20:21]
	v_mul_u64_e32 v[18:19], s[42:43], v[24:25]
	;; [unrolled: 1-line block ×3, first 2 shown]
	s_delay_alu instid0(VALU_DEP_3) | instskip(NEXT) | instid1(VALU_DEP_1)
	v_add_nc_u64_e32 v[22:23], v[28:29], v[22:23]
	v_add_co_u32 v7, vcc_lo, v22, v18
	s_delay_alu instid0(VALU_DEP_2) | instskip(NEXT) | instid1(VALU_DEP_4)
	v_add_co_ci_u32_e32 v28, vcc_lo, v23, v19, vcc_lo
	v_add_co_ci_u32_e32 v27, vcc_lo, 0, v27, vcc_lo
	s_delay_alu instid0(VALU_DEP_1) | instskip(NEXT) | instid1(VALU_DEP_1)
	v_add_nc_u64_e32 v[18:19], v[28:29], v[26:27]
	v_mul_u64_e32 v[22:23], s[30:31], v[18:19]
	s_delay_alu instid0(VALU_DEP_1) | instskip(NEXT) | instid1(VALU_DEP_2)
	v_sub_nc_u32_e32 v7, v24, v23
	v_sub_co_u32 v15, vcc_lo, v20, v22
	s_delay_alu instid0(VALU_DEP_1) | instskip(NEXT) | instid1(VALU_DEP_3)
	v_sub_co_ci_u32_e64 v24, null, v24, v23, vcc_lo
	v_subrev_co_ci_u32_e64 v7, null, s31, v7, vcc_lo
	s_delay_alu instid0(VALU_DEP_3) | instskip(SKIP_1) | instid1(VALU_DEP_3)
	v_sub_co_u32 v17, s3, v15, s30
	v_add_nc_u64_e32 v[22:23], 1, v[18:19]
	v_subrev_co_ci_u32_e64 v7, null, 0, v7, s3
	s_delay_alu instid0(VALU_DEP_3) | instskip(SKIP_1) | instid1(VALU_DEP_3)
	v_cmp_le_u32_e32 vcc_lo, s30, v17
	v_cndmask_b32_e64 v17, 0, -1, vcc_lo
	v_cmp_le_u32_e32 vcc_lo, s31, v7
	v_cndmask_b32_e64 v20, 0, -1, vcc_lo
	;; [unrolled: 2-line block ×4, first 2 shown]
	v_cmp_eq_u32_e32 vcc_lo, s31, v7
	v_cndmask_b32_e32 v7, v20, v17, vcc_lo
	v_cmp_eq_u32_e32 vcc_lo, s31, v24
	v_add_nc_u64_e32 v[20:21], 2, v[18:19]
	v_cndmask_b32_e32 v15, v25, v15, vcc_lo
	s_delay_alu instid0(VALU_DEP_4) | instskip(NEXT) | instid1(VALU_DEP_2)
	v_cmp_ne_u32_e32 vcc_lo, 0, v7
	v_cmp_ne_u32_e64 s3, 0, v15
	s_delay_alu instid0(VALU_DEP_4) | instskip(NEXT) | instid1(VALU_DEP_1)
	v_dual_cndmask_b32 v7, v23, v21, vcc_lo :: v_dual_cndmask_b32 v15, v22, v20, vcc_lo
	v_dual_cndmask_b32 v7, v19, v7, s3 :: v_dual_bitop2_b32 v14, s28, v14 bitop3:0x14
	s_delay_alu instid0(VALU_DEP_1) | instskip(NEXT) | instid1(VALU_DEP_1)
	v_dual_cndmask_b32 v17, v18, v15, s3 :: v_dual_bitop2_b32 v19, v7, v14 bitop3:0x14
	v_dual_mov_b32 v15, v14 :: v_dual_bitop2_b32 v18, v17, v14 bitop3:0x14
	s_delay_alu instid0(VALU_DEP_1)
	v_sub_nc_u64_e32 v[14:15], v[18:19], v[14:15]
.LBB82_18:                              ;   in Loop: Header=BB82_16 Depth=2
	s_and_not1_saveexec_b32 s3, s39
	s_cbranch_execz .LBB82_20
; %bb.19:                               ;   in Loop: Header=BB82_16 Depth=2
	v_cvt_f32_u32_e32 v7, s26
	s_sub_co_i32 s14, 0, s26
	s_delay_alu instid0(VALU_DEP_1) | instskip(SKIP_1) | instid1(TRANS32_DEP_1)
	v_rcp_iflag_f32_e32 v7, v7
	v_nop
	v_mul_f32_e32 v7, 0x4f7ffffe, v7
	s_delay_alu instid0(VALU_DEP_1) | instskip(NEXT) | instid1(VALU_DEP_1)
	v_cvt_u32_f32_e32 v7, v7
	v_mul_lo_u32 v14, s14, v7
	s_delay_alu instid0(VALU_DEP_1) | instskip(NEXT) | instid1(VALU_DEP_1)
	v_mul_hi_u32 v14, v7, v14
	v_add_nc_u32_e32 v7, v7, v14
	s_delay_alu instid0(VALU_DEP_1) | instskip(NEXT) | instid1(VALU_DEP_1)
	v_mul_hi_u32 v7, v12, v7
	v_mul_lo_u32 v14, v7, s26
	s_delay_alu instid0(VALU_DEP_1) | instskip(NEXT) | instid1(VALU_DEP_1)
	v_dual_add_nc_u32 v15, 1, v7 :: v_dual_sub_nc_u32 v14, v12, v14
	v_subrev_nc_u32_e32 v17, s26, v14
	v_cmp_le_u32_e32 vcc_lo, s26, v14
	s_delay_alu instid0(VALU_DEP_2) | instskip(NEXT) | instid1(VALU_DEP_1)
	v_dual_cndmask_b32 v14, v14, v17 :: v_dual_cndmask_b32 v7, v7, v15
	v_cmp_le_u32_e32 vcc_lo, s26, v14
	s_delay_alu instid0(VALU_DEP_2) | instskip(NEXT) | instid1(VALU_DEP_1)
	v_add_nc_u32_e32 v15, 1, v7
	v_dual_cndmask_b32 v14, v7, v15 :: v_dual_mov_b32 v15, v6
.LBB82_20:                              ;   in Loop: Header=BB82_16 Depth=2
	s_or_b32 exec_lo, exec_lo, s3
	s_delay_alu instid0(VALU_DEP_1)
	v_mul_u64_e32 v[18:19], s[26:27], v[14:15]
	s_load_b64 s[26:27], s[24:25], 0xc8
	s_add_co_i32 s38, s38, -1
	s_wait_xcnt 0x0
	s_add_nc_u64 s[24:25], s[24:25], -8
	s_cmp_gt_u32 s38, 2
	s_delay_alu instid0(VALU_DEP_1) | instskip(SKIP_1) | instid1(VALU_DEP_1)
	v_sub_nc_u64_e32 v[12:13], v[12:13], v[18:19]
	s_wait_kmcnt 0x0
	v_mad_nc_u64_u32 v[10:11], s26, v12, v[10:11]
	s_delay_alu instid0(VALU_DEP_1) | instskip(NEXT) | instid1(VALU_DEP_1)
	v_mad_u32 v7, s27, v12, v11
	v_mad_u32 v11, s26, v13, v7
	s_cbranch_scc0 .LBB82_22
; %bb.21:                               ;   in Loop: Header=BB82_16 Depth=2
	v_mov_b64_e32 v[12:13], v[14:15]
	s_branch .LBB82_16
.LBB82_22:                              ;   in Loop: Header=BB82_15 Depth=1
	s_delay_alu instid0(VALU_DEP_1) | instskip(NEXT) | instid1(VALU_DEP_1)
	v_mul_u64_e32 v[12:13], s[16:17], v[14:15]
	v_lshl_add_u64 v[12:13], v[12:13], 2, s[18:19]
	s_delay_alu instid0(VALU_DEP_1)
	v_lshl_add_u64 v[10:11], v[10:11], 2, v[12:13]
	global_load_b32 v7, v[10:11], off
	s_wait_loadcnt 0x0
	v_cmp_le_f32_e32 vcc_lo, s10, v7
	v_cmp_ge_f32_e64 s3, s11, v7
	s_and_b32 s14, vcc_lo, s3
	s_wait_xcnt 0x0
	s_and_saveexec_b32 s3, s14
	s_cbranch_execz .LBB82_14
; %bb.23:                               ;   in Loop: Header=BB82_15 Depth=1
	v_subrev_f32_e32 v7, s10, v7
	s_delay_alu instid0(VALU_DEP_1) | instskip(NEXT) | instid1(VALU_DEP_1)
	v_mul_f32_e32 v7, v7, v3
	v_div_scale_f32 v10, null, s35, s35, v7
	v_div_scale_f32 v13, vcc_lo, v7, s35, v7
	s_delay_alu instid0(VALU_DEP_2) | instskip(SKIP_1) | instid1(TRANS32_DEP_1)
	v_rcp_f32_e32 v11, v10
	v_nop
	v_fma_f32 v12, -v10, v11, 1.0
	s_delay_alu instid0(VALU_DEP_1) | instskip(NEXT) | instid1(VALU_DEP_1)
	v_fmac_f32_e32 v11, v12, v11
	v_mul_f32_e32 v12, v13, v11
	s_delay_alu instid0(VALU_DEP_1) | instskip(NEXT) | instid1(VALU_DEP_1)
	v_fma_f32 v14, -v10, v12, v13
	v_fmac_f32_e32 v12, v14, v11
	s_delay_alu instid0(VALU_DEP_1) | instskip(NEXT) | instid1(VALU_DEP_1)
	v_fma_f32 v10, -v10, v12, v13
	v_div_fmas_f32 v10, v10, v11, v12
	s_delay_alu instid0(VALU_DEP_1) | instskip(NEXT) | instid1(VALU_DEP_1)
	v_div_fixup_f32 v7, v10, s35, v7
	v_cvt_i32_f32_e32 v10, v7
	s_delay_alu instid0(VALU_DEP_1) | instskip(NEXT) | instid1(VALU_DEP_1)
	v_ashrrev_i32_e32 v11, 31, v10
	v_cmp_eq_u64_e32 vcc_lo, s[8:9], v[10:11]
	v_lshlrev_b32_e32 v10, 2, v10
	v_cndmask_b32_e64 v7, 0, -1, vcc_lo
	s_delay_alu instid0(VALU_DEP_1) | instskip(NEXT) | instid1(VALU_DEP_1)
	v_lshlrev_b32_e32 v7, 2, v7
	v_add3_u32 v7, 0, v7, v10
	ds_add_f32 v7, v16
	s_branch .LBB82_14
.LBB82_24:
	s_or_b32 exec_lo, exec_lo, s33
	s_load_b64 s[0:1], s[0:1], 0xd0
; %bb.25:
	s_wait_dscnt 0x0
	s_barrier_signal -1
	s_barrier_wait -1
	s_and_saveexec_b32 s3, s2
	s_cbranch_execz .LBB82_28
; %bb.26:
	v_dual_mov_b32 v3, 0 :: v_dual_lshlrev_b32 v9, 2, v2
	s_wait_kmcnt 0x0
	v_mul_u64_e32 v[4:5], s[0:1], v[0:1]
	v_lshl_add_u32 v8, v0, 2, 0
	s_delay_alu instid0(VALU_DEP_3) | instskip(SKIP_1) | instid1(VALU_DEP_3)
	v_mul_u64_e32 v[6:7], s[0:1], v[2:3]
	s_mov_b32 s0, 0
	v_lshl_add_u64 v[4:5], v[4:5], 2, s[4:5]
	s_delay_alu instid0(VALU_DEP_2)
	v_lshlrev_b64_e32 v[6:7], 2, v[6:7]
.LBB82_27:                              ; =>This Inner Loop Header: Depth=1
	ds_load_b32 v10, v8
	v_add_nc_u64_e32 v[0:1], v[0:1], v[2:3]
	v_add_nc_u32_e32 v8, v8, v9
	s_delay_alu instid0(VALU_DEP_2)
	v_cmp_le_i64_e32 vcc_lo, s[6:7], v[0:1]
	s_or_b32 s0, vcc_lo, s0
	s_wait_dscnt 0x0
	global_atomic_add_f32 v[4:5], v10, off scope:SCOPE_DEV
	s_wait_xcnt 0x0
	v_add_nc_u64_e32 v[4:5], v[4:5], v[6:7]
	s_and_not1_b32 exec_lo, exec_lo, s0
	s_cbranch_execnz .LBB82_27
.LBB82_28:
	s_endpgm
	.section	.rodata,"a",@progbits
	.p2align	6, 0x0
	.amdhsa_kernel _ZN2at4cuda17kernelHistogram1DIfflLi1ELi2ELin1ELNS0_23CUDAHistogramMemoryTypeE0EZNS0_21CUDA_tensor_histogramIffLb0EEEbNS_6TensorES4_S4_lNS_14AccumulateTypeIT0_Lb1EE4typeES8_NS0_13TensorArgTypeES9_S9_EUllE0_EEvNS0_6detail10TensorInfoIT_T1_EESF_NSC_IKS6_SE_EElS8_S8_SE_T6_
		.amdhsa_group_segment_fixed_size 0
		.amdhsa_private_segment_fixed_size 0
		.amdhsa_kernarg_size 1536
		.amdhsa_user_sgpr_count 2
		.amdhsa_user_sgpr_dispatch_ptr 0
		.amdhsa_user_sgpr_queue_ptr 0
		.amdhsa_user_sgpr_kernarg_segment_ptr 1
		.amdhsa_user_sgpr_dispatch_id 0
		.amdhsa_user_sgpr_kernarg_preload_length 0
		.amdhsa_user_sgpr_kernarg_preload_offset 0
		.amdhsa_user_sgpr_private_segment_size 0
		.amdhsa_wavefront_size32 1
		.amdhsa_uses_dynamic_stack 0
		.amdhsa_enable_private_segment 0
		.amdhsa_system_sgpr_workgroup_id_x 1
		.amdhsa_system_sgpr_workgroup_id_y 0
		.amdhsa_system_sgpr_workgroup_id_z 0
		.amdhsa_system_sgpr_workgroup_info 0
		.amdhsa_system_vgpr_workitem_id 0
		.amdhsa_next_free_vgpr 30
		.amdhsa_next_free_sgpr 49
		.amdhsa_named_barrier_count 0
		.amdhsa_reserve_vcc 1
		.amdhsa_float_round_mode_32 0
		.amdhsa_float_round_mode_16_64 0
		.amdhsa_float_denorm_mode_32 3
		.amdhsa_float_denorm_mode_16_64 3
		.amdhsa_fp16_overflow 0
		.amdhsa_memory_ordered 1
		.amdhsa_forward_progress 1
		.amdhsa_inst_pref_size 15
		.amdhsa_round_robin_scheduling 0
		.amdhsa_exception_fp_ieee_invalid_op 0
		.amdhsa_exception_fp_denorm_src 0
		.amdhsa_exception_fp_ieee_div_zero 0
		.amdhsa_exception_fp_ieee_overflow 0
		.amdhsa_exception_fp_ieee_underflow 0
		.amdhsa_exception_fp_ieee_inexact 0
		.amdhsa_exception_int_div_zero 0
	.end_amdhsa_kernel
	.section	.text._ZN2at4cuda17kernelHistogram1DIfflLi1ELi2ELin1ELNS0_23CUDAHistogramMemoryTypeE0EZNS0_21CUDA_tensor_histogramIffLb0EEEbNS_6TensorES4_S4_lNS_14AccumulateTypeIT0_Lb1EE4typeES8_NS0_13TensorArgTypeES9_S9_EUllE0_EEvNS0_6detail10TensorInfoIT_T1_EESF_NSC_IKS6_SE_EElS8_S8_SE_T6_,"axG",@progbits,_ZN2at4cuda17kernelHistogram1DIfflLi1ELi2ELin1ELNS0_23CUDAHistogramMemoryTypeE0EZNS0_21CUDA_tensor_histogramIffLb0EEEbNS_6TensorES4_S4_lNS_14AccumulateTypeIT0_Lb1EE4typeES8_NS0_13TensorArgTypeES9_S9_EUllE0_EEvNS0_6detail10TensorInfoIT_T1_EESF_NSC_IKS6_SE_EElS8_S8_SE_T6_,comdat
.Lfunc_end82:
	.size	_ZN2at4cuda17kernelHistogram1DIfflLi1ELi2ELin1ELNS0_23CUDAHistogramMemoryTypeE0EZNS0_21CUDA_tensor_histogramIffLb0EEEbNS_6TensorES4_S4_lNS_14AccumulateTypeIT0_Lb1EE4typeES8_NS0_13TensorArgTypeES9_S9_EUllE0_EEvNS0_6detail10TensorInfoIT_T1_EESF_NSC_IKS6_SE_EElS8_S8_SE_T6_, .Lfunc_end82-_ZN2at4cuda17kernelHistogram1DIfflLi1ELi2ELin1ELNS0_23CUDAHistogramMemoryTypeE0EZNS0_21CUDA_tensor_histogramIffLb0EEEbNS_6TensorES4_S4_lNS_14AccumulateTypeIT0_Lb1EE4typeES8_NS0_13TensorArgTypeES9_S9_EUllE0_EEvNS0_6detail10TensorInfoIT_T1_EESF_NSC_IKS6_SE_EElS8_S8_SE_T6_
                                        ; -- End function
	.set _ZN2at4cuda17kernelHistogram1DIfflLi1ELi2ELin1ELNS0_23CUDAHistogramMemoryTypeE0EZNS0_21CUDA_tensor_histogramIffLb0EEEbNS_6TensorES4_S4_lNS_14AccumulateTypeIT0_Lb1EE4typeES8_NS0_13TensorArgTypeES9_S9_EUllE0_EEvNS0_6detail10TensorInfoIT_T1_EESF_NSC_IKS6_SE_EElS8_S8_SE_T6_.num_vgpr, 30
	.set _ZN2at4cuda17kernelHistogram1DIfflLi1ELi2ELin1ELNS0_23CUDAHistogramMemoryTypeE0EZNS0_21CUDA_tensor_histogramIffLb0EEEbNS_6TensorES4_S4_lNS_14AccumulateTypeIT0_Lb1EE4typeES8_NS0_13TensorArgTypeES9_S9_EUllE0_EEvNS0_6detail10TensorInfoIT_T1_EESF_NSC_IKS6_SE_EElS8_S8_SE_T6_.num_agpr, 0
	.set _ZN2at4cuda17kernelHistogram1DIfflLi1ELi2ELin1ELNS0_23CUDAHistogramMemoryTypeE0EZNS0_21CUDA_tensor_histogramIffLb0EEEbNS_6TensorES4_S4_lNS_14AccumulateTypeIT0_Lb1EE4typeES8_NS0_13TensorArgTypeES9_S9_EUllE0_EEvNS0_6detail10TensorInfoIT_T1_EESF_NSC_IKS6_SE_EElS8_S8_SE_T6_.numbered_sgpr, 49
	.set _ZN2at4cuda17kernelHistogram1DIfflLi1ELi2ELin1ELNS0_23CUDAHistogramMemoryTypeE0EZNS0_21CUDA_tensor_histogramIffLb0EEEbNS_6TensorES4_S4_lNS_14AccumulateTypeIT0_Lb1EE4typeES8_NS0_13TensorArgTypeES9_S9_EUllE0_EEvNS0_6detail10TensorInfoIT_T1_EESF_NSC_IKS6_SE_EElS8_S8_SE_T6_.num_named_barrier, 0
	.set _ZN2at4cuda17kernelHistogram1DIfflLi1ELi2ELin1ELNS0_23CUDAHistogramMemoryTypeE0EZNS0_21CUDA_tensor_histogramIffLb0EEEbNS_6TensorES4_S4_lNS_14AccumulateTypeIT0_Lb1EE4typeES8_NS0_13TensorArgTypeES9_S9_EUllE0_EEvNS0_6detail10TensorInfoIT_T1_EESF_NSC_IKS6_SE_EElS8_S8_SE_T6_.private_seg_size, 0
	.set _ZN2at4cuda17kernelHistogram1DIfflLi1ELi2ELin1ELNS0_23CUDAHistogramMemoryTypeE0EZNS0_21CUDA_tensor_histogramIffLb0EEEbNS_6TensorES4_S4_lNS_14AccumulateTypeIT0_Lb1EE4typeES8_NS0_13TensorArgTypeES9_S9_EUllE0_EEvNS0_6detail10TensorInfoIT_T1_EESF_NSC_IKS6_SE_EElS8_S8_SE_T6_.uses_vcc, 1
	.set _ZN2at4cuda17kernelHistogram1DIfflLi1ELi2ELin1ELNS0_23CUDAHistogramMemoryTypeE0EZNS0_21CUDA_tensor_histogramIffLb0EEEbNS_6TensorES4_S4_lNS_14AccumulateTypeIT0_Lb1EE4typeES8_NS0_13TensorArgTypeES9_S9_EUllE0_EEvNS0_6detail10TensorInfoIT_T1_EESF_NSC_IKS6_SE_EElS8_S8_SE_T6_.uses_flat_scratch, 0
	.set _ZN2at4cuda17kernelHistogram1DIfflLi1ELi2ELin1ELNS0_23CUDAHistogramMemoryTypeE0EZNS0_21CUDA_tensor_histogramIffLb0EEEbNS_6TensorES4_S4_lNS_14AccumulateTypeIT0_Lb1EE4typeES8_NS0_13TensorArgTypeES9_S9_EUllE0_EEvNS0_6detail10TensorInfoIT_T1_EESF_NSC_IKS6_SE_EElS8_S8_SE_T6_.has_dyn_sized_stack, 0
	.set _ZN2at4cuda17kernelHistogram1DIfflLi1ELi2ELin1ELNS0_23CUDAHistogramMemoryTypeE0EZNS0_21CUDA_tensor_histogramIffLb0EEEbNS_6TensorES4_S4_lNS_14AccumulateTypeIT0_Lb1EE4typeES8_NS0_13TensorArgTypeES9_S9_EUllE0_EEvNS0_6detail10TensorInfoIT_T1_EESF_NSC_IKS6_SE_EElS8_S8_SE_T6_.has_recursion, 0
	.set _ZN2at4cuda17kernelHistogram1DIfflLi1ELi2ELin1ELNS0_23CUDAHistogramMemoryTypeE0EZNS0_21CUDA_tensor_histogramIffLb0EEEbNS_6TensorES4_S4_lNS_14AccumulateTypeIT0_Lb1EE4typeES8_NS0_13TensorArgTypeES9_S9_EUllE0_EEvNS0_6detail10TensorInfoIT_T1_EESF_NSC_IKS6_SE_EElS8_S8_SE_T6_.has_indirect_call, 0
	.section	.AMDGPU.csdata,"",@progbits
; Kernel info:
; codeLenInByte = 1920
; TotalNumSgprs: 51
; NumVgprs: 30
; ScratchSize: 0
; MemoryBound: 0
; FloatMode: 240
; IeeeMode: 1
; LDSByteSize: 0 bytes/workgroup (compile time only)
; SGPRBlocks: 0
; VGPRBlocks: 1
; NumSGPRsForWavesPerEU: 51
; NumVGPRsForWavesPerEU: 30
; NamedBarCnt: 0
; Occupancy: 16
; WaveLimiterHint : 1
; COMPUTE_PGM_RSRC2:SCRATCH_EN: 0
; COMPUTE_PGM_RSRC2:USER_SGPR: 2
; COMPUTE_PGM_RSRC2:TRAP_HANDLER: 0
; COMPUTE_PGM_RSRC2:TGID_X_EN: 1
; COMPUTE_PGM_RSRC2:TGID_Y_EN: 0
; COMPUTE_PGM_RSRC2:TGID_Z_EN: 0
; COMPUTE_PGM_RSRC2:TIDIG_COMP_CNT: 0
	.section	.text._ZN2at4cuda17kernelHistogram1DIfflLi1ELi2ELin1ELNS0_23CUDAHistogramMemoryTypeE1EZNS0_21CUDA_tensor_histogramIffLb0EEEbNS_6TensorES4_S4_lNS_14AccumulateTypeIT0_Lb1EE4typeES8_NS0_13TensorArgTypeES9_S9_EUllE0_EEvNS0_6detail10TensorInfoIT_T1_EESF_NSC_IKS6_SE_EElS8_S8_SE_T6_,"axG",@progbits,_ZN2at4cuda17kernelHistogram1DIfflLi1ELi2ELin1ELNS0_23CUDAHistogramMemoryTypeE1EZNS0_21CUDA_tensor_histogramIffLb0EEEbNS_6TensorES4_S4_lNS_14AccumulateTypeIT0_Lb1EE4typeES8_NS0_13TensorArgTypeES9_S9_EUllE0_EEvNS0_6detail10TensorInfoIT_T1_EESF_NSC_IKS6_SE_EElS8_S8_SE_T6_,comdat
	.protected	_ZN2at4cuda17kernelHistogram1DIfflLi1ELi2ELin1ELNS0_23CUDAHistogramMemoryTypeE1EZNS0_21CUDA_tensor_histogramIffLb0EEEbNS_6TensorES4_S4_lNS_14AccumulateTypeIT0_Lb1EE4typeES8_NS0_13TensorArgTypeES9_S9_EUllE0_EEvNS0_6detail10TensorInfoIT_T1_EESF_NSC_IKS6_SE_EElS8_S8_SE_T6_ ; -- Begin function _ZN2at4cuda17kernelHistogram1DIfflLi1ELi2ELin1ELNS0_23CUDAHistogramMemoryTypeE1EZNS0_21CUDA_tensor_histogramIffLb0EEEbNS_6TensorES4_S4_lNS_14AccumulateTypeIT0_Lb1EE4typeES8_NS0_13TensorArgTypeES9_S9_EUllE0_EEvNS0_6detail10TensorInfoIT_T1_EESF_NSC_IKS6_SE_EElS8_S8_SE_T6_
	.globl	_ZN2at4cuda17kernelHistogram1DIfflLi1ELi2ELin1ELNS0_23CUDAHistogramMemoryTypeE1EZNS0_21CUDA_tensor_histogramIffLb0EEEbNS_6TensorES4_S4_lNS_14AccumulateTypeIT0_Lb1EE4typeES8_NS0_13TensorArgTypeES9_S9_EUllE0_EEvNS0_6detail10TensorInfoIT_T1_EESF_NSC_IKS6_SE_EElS8_S8_SE_T6_
	.p2align	8
	.type	_ZN2at4cuda17kernelHistogram1DIfflLi1ELi2ELin1ELNS0_23CUDAHistogramMemoryTypeE1EZNS0_21CUDA_tensor_histogramIffLb0EEEbNS_6TensorES4_S4_lNS_14AccumulateTypeIT0_Lb1EE4typeES8_NS0_13TensorArgTypeES9_S9_EUllE0_EEvNS0_6detail10TensorInfoIT_T1_EESF_NSC_IKS6_SE_EElS8_S8_SE_T6_,@function
_ZN2at4cuda17kernelHistogram1DIfflLi1ELi2ELin1ELNS0_23CUDAHistogramMemoryTypeE1EZNS0_21CUDA_tensor_histogramIffLb0EEEbNS_6TensorES4_S4_lNS_14AccumulateTypeIT0_Lb1EE4typeES8_NS0_13TensorArgTypeES9_S9_EUllE0_EEvNS0_6detail10TensorInfoIT_T1_EESF_NSC_IKS6_SE_EElS8_S8_SE_T6_: ; @_ZN2at4cuda17kernelHistogram1DIfflLi1ELi2ELin1ELNS0_23CUDAHistogramMemoryTypeE1EZNS0_21CUDA_tensor_histogramIffLb0EEEbNS_6TensorES4_S4_lNS_14AccumulateTypeIT0_Lb1EE4typeES8_NS0_13TensorArgTypeES9_S9_EUllE0_EEvNS0_6detail10TensorInfoIT_T1_EESF_NSC_IKS6_SE_EElS8_S8_SE_T6_
; %bb.0:
	s_clause 0x1
	s_load_b32 s4, s[0:1], 0x50c
	s_load_b64 s[2:3], s[0:1], 0x4f0
	s_bfe_u32 s5, ttmp6, 0x4000c
	s_and_b32 s6, ttmp6, 15
	s_add_co_i32 s5, s5, 1
	s_getreg_b32 s7, hwreg(HW_REG_IB_STS2, 6, 4)
	s_mul_i32 s5, ttmp9, s5
	v_mov_b32_e32 v2, 0
	s_add_co_i32 s6, s6, s5
	s_mov_b32 s9, 0
	s_delay_alu instid0(VALU_DEP_1) | instskip(SKIP_4) | instid1(SALU_CYCLE_1)
	v_mov_b32_e32 v1, v2
	s_wait_kmcnt 0x0
	s_and_b32 s8, s4, 0xffff
	s_cmp_eq_u32 s7, 0
	s_cselect_b32 s4, ttmp9, s6
	v_mad_u32 v0, s4, s8, v0
	s_mov_b32 s4, exec_lo
	s_delay_alu instid0(VALU_DEP_1)
	v_cmpx_gt_i64_e64 s[2:3], v[0:1]
	s_cbranch_execz .LBB83_12
; %bb.1:
	s_clause 0x1
	s_load_b32 s26, s[0:1], 0x4d8
	s_load_b128 s[4:7], s[0:1], 0x4e0
	s_add_nc_u64 s[10:11], s[0:1], 0x500
	s_add_nc_u64 s[22:23], s[0:1], 0x340
	s_load_b32 s18, s[10:11], 0x0
	s_wait_xcnt 0x0
	s_clause 0x3
	s_load_b64 s[10:11], s[0:1], 0x0
	s_load_b64 s[12:13], s[0:1], 0xd0
	;; [unrolled: 1-line block ×4, first 2 shown]
	v_mov_b32_e32 v11, 1.0
	s_mov_b32 s19, s9
	s_mov_b32 s35, 0
	s_wait_kmcnt 0x0
	s_cmp_gt_i32 s26, 1
	s_cls_i32 s20, s5
	s_cselect_b32 s1, -1, 0
	s_xor_b32 s0, s4, s5
	s_add_co_i32 s24, s20, -1
	s_ashr_i32 s0, s0, 31
	s_mul_i32 s18, s18, s8
	s_add_co_i32 s0, s0, 32
	s_add_co_i32 s8, s26, -1
	s_min_u32 s0, s24, s0
	s_sub_f32 s33, s7, s6
	s_lshl_b64 s[24:25], s[4:5], s0
	s_sub_co_i32 s0, 32, s0
	s_min_u32 s24, s24, 1
	s_mov_b64 s[20:21], 0xffffffff
	s_or_b32 s24, s25, s24
	s_add_co_i32 s34, s26, 1
	s_cvt_f32_i32 s27, s24
	s_lshl_b64 s[24:25], s[8:9], 3
	s_delay_alu instid0(SALU_CYCLE_1) | instskip(NEXT) | instid1(SALU_CYCLE_1)
	s_add_nc_u64 s[22:23], s[22:23], s[24:25]
	v_ldexp_f32 v10, s27, s0
	s_add_nc_u64 s[22:23], s[22:23], 8
	s_branch .LBB83_3
.LBB83_2:                               ;   in Loop: Header=BB83_3 Depth=1
	s_wait_xcnt 0x0
	s_or_b32 exec_lo, exec_lo, s0
	v_add_nc_u64_e32 v[0:1], s[18:19], v[0:1]
	s_delay_alu instid0(VALU_DEP_1) | instskip(SKIP_1) | instid1(SALU_CYCLE_1)
	v_cmp_le_i64_e32 vcc_lo, s[2:3], v[0:1]
	s_or_b32 s35, vcc_lo, s35
	s_and_not1_b32 exec_lo, exec_lo, s35
	s_cbranch_execz .LBB83_12
.LBB83_3:                               ; =>This Loop Header: Depth=1
                                        ;     Child Loop BB83_4 Depth 2
	v_mov_b64_e32 v[4:5], 0
	v_mov_b64_e32 v[6:7], v[0:1]
	;; [unrolled: 1-line block ×3, first 2 shown]
	s_and_not1_b32 vcc_lo, exec_lo, s1
	s_mov_b64 s[24:25], s[22:23]
	s_mov_b32 s36, s34
	s_cbranch_vccnz .LBB83_10
.LBB83_4:                               ;   Parent Loop BB83_3 Depth=1
                                        ; =>  This Inner Loop Header: Depth=2
	s_load_b64 s[26:27], s[24:25], 0x0
                                        ; implicit-def: $vgpr8_vgpr9
	s_mov_b32 s0, exec_lo
	s_wait_kmcnt 0x0
	s_delay_alu instid0(VALU_DEP_1) | instskip(NEXT) | instid1(VALU_DEP_1)
	v_or_b32_e32 v3, s27, v7
	v_cmpx_ne_u64_e32 0, v[2:3]
	s_xor_b32 s37, exec_lo, s0
	s_cbranch_execz .LBB83_6
; %bb.5:                                ;   in Loop: Header=BB83_4 Depth=2
	s_ashr_i32 s28, s27, 31
	v_dual_mov_b32 v15, v2 :: v_dual_ashrrev_i32 v8, 31, v7
	s_mov_b32 s29, s28
	v_mov_b32_e32 v19, v2
	s_add_nc_u64 s[30:31], s[26:27], s[28:29]
	s_delay_alu instid0(VALU_DEP_2)
	v_mov_b32_e32 v9, v8
	s_xor_b64 s[30:31], s[30:31], s[28:29]
	v_mov_b32_e32 v23, v2
	s_cvt_f32_u32 s0, s30
	s_cvt_f32_u32 s8, s31
	s_sub_nc_u64 s[40:41], 0, s[30:31]
	v_add_nc_u64_e32 v[12:13], v[6:7], v[8:9]
	s_delay_alu instid0(SALU_CYCLE_1) | instskip(NEXT) | instid1(SALU_CYCLE_3)
	s_fmamk_f32 s0, s8, 0x4f800000, s0
	v_s_rcp_f32 s0, s0
	s_delay_alu instid0(VALU_DEP_1) | instskip(NEXT) | instid1(VALU_DEP_2)
	v_xor_b32_e32 v14, v12, v8
	v_xor_b32_e32 v18, v13, v8
	s_delay_alu instid0(TRANS32_DEP_1) | instskip(NEXT) | instid1(SALU_CYCLE_3)
	s_mul_f32 s0, s0, 0x5f7ffffc
	s_mul_f32 s8, s0, 0x2f800000
	s_delay_alu instid0(SALU_CYCLE_3) | instskip(NEXT) | instid1(SALU_CYCLE_3)
	s_trunc_f32 s8, s8
	s_fmamk_f32 s0, s8, 0xcf800000, s0
	s_cvt_u32_f32 s39, s8
	s_delay_alu instid0(SALU_CYCLE_2) | instskip(NEXT) | instid1(SALU_CYCLE_3)
	s_cvt_u32_f32 s38, s0
	s_mul_u64 s[42:43], s[40:41], s[38:39]
	s_delay_alu instid0(SALU_CYCLE_1)
	s_mul_hi_u32 s45, s38, s43
	s_mul_i32 s44, s38, s43
	s_mul_hi_u32 s8, s38, s42
	s_mul_i32 s29, s39, s42
	s_add_nc_u64 s[44:45], s[8:9], s[44:45]
	s_mul_hi_u32 s0, s39, s42
	s_mul_hi_u32 s46, s39, s43
	s_add_co_u32 s8, s44, s29
	s_add_co_ci_u32 s8, s45, s0
	s_mul_i32 s42, s39, s43
	s_add_co_ci_u32 s43, s46, 0
	s_delay_alu instid0(SALU_CYCLE_1) | instskip(NEXT) | instid1(SALU_CYCLE_1)
	s_add_nc_u64 s[42:43], s[8:9], s[42:43]
	s_add_co_u32 s38, s38, s42
	s_cselect_b32 s0, -1, 0
	s_delay_alu instid0(SALU_CYCLE_1) | instskip(SKIP_1) | instid1(SALU_CYCLE_1)
	s_cmp_lg_u32 s0, 0
	s_add_co_ci_u32 s39, s39, s43
	s_mul_u64 s[40:41], s[40:41], s[38:39]
	s_delay_alu instid0(SALU_CYCLE_1)
	s_mul_hi_u32 s43, s38, s41
	s_mul_i32 s42, s38, s41
	s_mul_hi_u32 s8, s38, s40
	s_mul_i32 s29, s39, s40
	s_add_nc_u64 s[42:43], s[8:9], s[42:43]
	s_mul_hi_u32 s0, s39, s40
	s_mul_hi_u32 s44, s39, s41
	s_add_co_u32 s8, s42, s29
	s_add_co_ci_u32 s8, s43, s0
	s_mul_i32 s40, s39, s41
	s_add_co_ci_u32 s41, s44, 0
	s_delay_alu instid0(SALU_CYCLE_1) | instskip(NEXT) | instid1(SALU_CYCLE_1)
	s_add_nc_u64 s[40:41], s[8:9], s[40:41]
	s_add_co_u32 s0, s38, s40
	s_cselect_b32 s8, -1, 0
	v_mul_hi_u32 v22, v14, s0
	s_cmp_lg_u32 s8, 0
	s_add_co_ci_u32 s8, s39, s41
	s_and_b64 s[38:39], s[0:1], s[20:21]
	v_mul_u64_e32 v[16:17], s[8:9], v[14:15]
	v_mul_u64_e32 v[12:13], s[38:39], v[18:19]
	;; [unrolled: 1-line block ×3, first 2 shown]
	s_delay_alu instid0(VALU_DEP_3) | instskip(NEXT) | instid1(VALU_DEP_1)
	v_add_nc_u64_e32 v[16:17], v[22:23], v[16:17]
	v_add_co_u32 v3, vcc_lo, v16, v12
	s_delay_alu instid0(VALU_DEP_2) | instskip(NEXT) | instid1(VALU_DEP_4)
	v_add_co_ci_u32_e32 v22, vcc_lo, v17, v13, vcc_lo
	v_add_co_ci_u32_e32 v21, vcc_lo, 0, v21, vcc_lo
	s_delay_alu instid0(VALU_DEP_1) | instskip(NEXT) | instid1(VALU_DEP_1)
	v_add_nc_u64_e32 v[12:13], v[22:23], v[20:21]
	v_mul_u64_e32 v[16:17], s[30:31], v[12:13]
	s_delay_alu instid0(VALU_DEP_1) | instskip(NEXT) | instid1(VALU_DEP_2)
	v_sub_nc_u32_e32 v3, v18, v17
	v_sub_co_u32 v9, vcc_lo, v14, v16
	s_delay_alu instid0(VALU_DEP_1) | instskip(NEXT) | instid1(VALU_DEP_3)
	v_sub_co_ci_u32_e64 v18, null, v18, v17, vcc_lo
	v_subrev_co_ci_u32_e64 v3, null, s31, v3, vcc_lo
	s_delay_alu instid0(VALU_DEP_3) | instskip(SKIP_1) | instid1(VALU_DEP_3)
	v_sub_co_u32 v14, s0, v9, s30
	v_add_nc_u64_e32 v[16:17], 1, v[12:13]
	v_subrev_co_ci_u32_e64 v3, null, 0, v3, s0
	s_delay_alu instid0(VALU_DEP_3) | instskip(SKIP_1) | instid1(VALU_DEP_3)
	v_cmp_le_u32_e32 vcc_lo, s30, v14
	v_cndmask_b32_e64 v14, 0, -1, vcc_lo
	v_cmp_le_u32_e32 vcc_lo, s31, v3
	v_cndmask_b32_e64 v15, 0, -1, vcc_lo
	;; [unrolled: 2-line block ×4, first 2 shown]
	v_cmp_eq_u32_e32 vcc_lo, s31, v3
	v_cndmask_b32_e32 v3, v15, v14, vcc_lo
	v_cmp_eq_u32_e32 vcc_lo, s31, v18
	v_add_nc_u64_e32 v[14:15], 2, v[12:13]
	v_cndmask_b32_e32 v9, v19, v9, vcc_lo
	s_delay_alu instid0(VALU_DEP_4) | instskip(NEXT) | instid1(VALU_DEP_3)
	v_cmp_ne_u32_e32 vcc_lo, 0, v3
	v_cndmask_b32_e32 v3, v17, v15, vcc_lo
	s_delay_alu instid0(VALU_DEP_3) | instskip(SKIP_1) | instid1(VALU_DEP_1)
	v_cmp_ne_u32_e64 s0, 0, v9
	v_dual_cndmask_b32 v9, v16, v14, vcc_lo :: v_dual_bitop2_b32 v8, s28, v8 bitop3:0x14
	v_dual_cndmask_b32 v3, v13, v3, s0 :: v_dual_cndmask_b32 v12, v12, v9, s0
	s_delay_alu instid0(VALU_DEP_1) | instskip(NEXT) | instid1(VALU_DEP_2)
	v_dual_mov_b32 v9, v8 :: v_dual_bitop2_b32 v13, v3, v8 bitop3:0x14
	v_xor_b32_e32 v12, v12, v8
	s_delay_alu instid0(VALU_DEP_1)
	v_sub_nc_u64_e32 v[8:9], v[12:13], v[8:9]
.LBB83_6:                               ;   in Loop: Header=BB83_4 Depth=2
	s_and_not1_saveexec_b32 s0, s37
	s_cbranch_execz .LBB83_8
; %bb.7:                                ;   in Loop: Header=BB83_4 Depth=2
	v_cvt_f32_u32_e32 v3, s26
	s_sub_co_i32 s8, 0, s26
	s_delay_alu instid0(VALU_DEP_1) | instskip(SKIP_1) | instid1(TRANS32_DEP_1)
	v_rcp_iflag_f32_e32 v3, v3
	v_nop
	v_mul_f32_e32 v3, 0x4f7ffffe, v3
	s_delay_alu instid0(VALU_DEP_1) | instskip(NEXT) | instid1(VALU_DEP_1)
	v_cvt_u32_f32_e32 v3, v3
	v_mul_lo_u32 v8, s8, v3
	s_delay_alu instid0(VALU_DEP_1) | instskip(NEXT) | instid1(VALU_DEP_1)
	v_mul_hi_u32 v8, v3, v8
	v_add_nc_u32_e32 v3, v3, v8
	s_delay_alu instid0(VALU_DEP_1) | instskip(NEXT) | instid1(VALU_DEP_1)
	v_mul_hi_u32 v3, v6, v3
	v_mul_lo_u32 v8, v3, s26
	s_delay_alu instid0(VALU_DEP_1) | instskip(NEXT) | instid1(VALU_DEP_1)
	v_sub_nc_u32_e32 v8, v6, v8
	v_subrev_nc_u32_e32 v12, s26, v8
	v_cmp_le_u32_e32 vcc_lo, s26, v8
	s_delay_alu instid0(VALU_DEP_2) | instskip(NEXT) | instid1(VALU_DEP_1)
	v_dual_cndmask_b32 v8, v8, v12 :: v_dual_add_nc_u32 v9, 1, v3
	v_cndmask_b32_e32 v3, v3, v9, vcc_lo
	s_delay_alu instid0(VALU_DEP_2) | instskip(NEXT) | instid1(VALU_DEP_2)
	v_cmp_le_u32_e32 vcc_lo, s26, v8
	v_add_nc_u32_e32 v9, 1, v3
	s_delay_alu instid0(VALU_DEP_1)
	v_dual_cndmask_b32 v8, v3, v9 :: v_dual_mov_b32 v9, v2
.LBB83_8:                               ;   in Loop: Header=BB83_4 Depth=2
	s_or_b32 exec_lo, exec_lo, s0
	s_delay_alu instid0(VALU_DEP_1)
	v_mul_u64_e32 v[12:13], s[26:27], v[8:9]
	s_load_b64 s[26:27], s[24:25], 0xc8
	s_add_co_i32 s36, s36, -1
	s_wait_xcnt 0x0
	s_add_nc_u64 s[24:25], s[24:25], -8
	s_cmp_gt_u32 s36, 2
	s_delay_alu instid0(VALU_DEP_1) | instskip(SKIP_1) | instid1(VALU_DEP_1)
	v_sub_nc_u64_e32 v[6:7], v[6:7], v[12:13]
	s_wait_kmcnt 0x0
	v_mad_nc_u64_u32 v[4:5], s26, v6, v[4:5]
	s_delay_alu instid0(VALU_DEP_1) | instskip(NEXT) | instid1(VALU_DEP_1)
	v_mad_u32 v3, s27, v6, v5
	v_mad_u32 v5, s26, v7, v3
	s_cbranch_scc0 .LBB83_10
; %bb.9:                                ;   in Loop: Header=BB83_4 Depth=2
	v_mov_b64_e32 v[6:7], v[8:9]
	s_branch .LBB83_4
.LBB83_10:                              ;   in Loop: Header=BB83_3 Depth=1
	s_delay_alu instid0(VALU_DEP_1) | instskip(NEXT) | instid1(VALU_DEP_1)
	v_mul_u64_e32 v[6:7], s[14:15], v[8:9]
	v_lshl_add_u64 v[6:7], v[6:7], 2, s[16:17]
	s_delay_alu instid0(VALU_DEP_1)
	v_lshl_add_u64 v[4:5], v[4:5], 2, v[6:7]
	global_load_b32 v3, v[4:5], off
	s_wait_loadcnt 0x0
	v_cmp_le_f32_e32 vcc_lo, s6, v3
	v_cmp_ge_f32_e64 s0, s7, v3
	s_and_b32 s8, vcc_lo, s0
	s_wait_xcnt 0x0
	s_and_saveexec_b32 s0, s8
	s_cbranch_execz .LBB83_2
; %bb.11:                               ;   in Loop: Header=BB83_3 Depth=1
	v_subrev_f32_e32 v3, s6, v3
	s_delay_alu instid0(VALU_DEP_1) | instskip(NEXT) | instid1(VALU_DEP_1)
	v_mul_f32_e32 v3, v3, v10
	v_div_scale_f32 v4, null, s33, s33, v3
	v_div_scale_f32 v7, vcc_lo, v3, s33, v3
	s_delay_alu instid0(VALU_DEP_2) | instskip(SKIP_1) | instid1(TRANS32_DEP_1)
	v_rcp_f32_e32 v5, v4
	v_nop
	v_fma_f32 v6, -v4, v5, 1.0
	s_delay_alu instid0(VALU_DEP_1) | instskip(NEXT) | instid1(VALU_DEP_1)
	v_fmac_f32_e32 v5, v6, v5
	v_mul_f32_e32 v6, v7, v5
	s_delay_alu instid0(VALU_DEP_1) | instskip(NEXT) | instid1(VALU_DEP_1)
	v_fma_f32 v8, -v4, v6, v7
	v_fmac_f32_e32 v6, v8, v5
	s_delay_alu instid0(VALU_DEP_1) | instskip(NEXT) | instid1(VALU_DEP_1)
	v_dual_fma_f32 v4, -v4, v6, v7 :: v_dual_mov_b32 v7, s9
	v_div_fmas_f32 v4, v4, v5, v6
	s_delay_alu instid0(VALU_DEP_1) | instskip(NEXT) | instid1(VALU_DEP_1)
	v_div_fixup_f32 v3, v4, s33, v3
	v_cvt_i32_f32_e32 v4, v3
	s_delay_alu instid0(VALU_DEP_1) | instskip(NEXT) | instid1(VALU_DEP_1)
	v_ashrrev_i32_e32 v5, 31, v4
	v_cmp_eq_u64_e32 vcc_lo, s[4:5], v[4:5]
	v_cndmask_b32_e64 v6, 0, 1, vcc_lo
	s_delay_alu instid0(VALU_DEP_1) | instskip(NEXT) | instid1(VALU_DEP_1)
	v_sub_nc_u64_e32 v[4:5], v[4:5], v[6:7]
	v_mul_u64_e32 v[4:5], s[12:13], v[4:5]
	s_delay_alu instid0(VALU_DEP_1)
	v_lshl_add_u64 v[4:5], v[4:5], 2, s[10:11]
	global_atomic_add_f32 v[4:5], v11, off scope:SCOPE_DEV
	s_branch .LBB83_2
.LBB83_12:
	s_endpgm
	.section	.rodata,"a",@progbits
	.p2align	6, 0x0
	.amdhsa_kernel _ZN2at4cuda17kernelHistogram1DIfflLi1ELi2ELin1ELNS0_23CUDAHistogramMemoryTypeE1EZNS0_21CUDA_tensor_histogramIffLb0EEEbNS_6TensorES4_S4_lNS_14AccumulateTypeIT0_Lb1EE4typeES8_NS0_13TensorArgTypeES9_S9_EUllE0_EEvNS0_6detail10TensorInfoIT_T1_EESF_NSC_IKS6_SE_EElS8_S8_SE_T6_
		.amdhsa_group_segment_fixed_size 0
		.amdhsa_private_segment_fixed_size 0
		.amdhsa_kernarg_size 1536
		.amdhsa_user_sgpr_count 2
		.amdhsa_user_sgpr_dispatch_ptr 0
		.amdhsa_user_sgpr_queue_ptr 0
		.amdhsa_user_sgpr_kernarg_segment_ptr 1
		.amdhsa_user_sgpr_dispatch_id 0
		.amdhsa_user_sgpr_kernarg_preload_length 0
		.amdhsa_user_sgpr_kernarg_preload_offset 0
		.amdhsa_user_sgpr_private_segment_size 0
		.amdhsa_wavefront_size32 1
		.amdhsa_uses_dynamic_stack 0
		.amdhsa_enable_private_segment 0
		.amdhsa_system_sgpr_workgroup_id_x 1
		.amdhsa_system_sgpr_workgroup_id_y 0
		.amdhsa_system_sgpr_workgroup_id_z 0
		.amdhsa_system_sgpr_workgroup_info 0
		.amdhsa_system_vgpr_workitem_id 0
		.amdhsa_next_free_vgpr 24
		.amdhsa_next_free_sgpr 47
		.amdhsa_named_barrier_count 0
		.amdhsa_reserve_vcc 1
		.amdhsa_float_round_mode_32 0
		.amdhsa_float_round_mode_16_64 0
		.amdhsa_float_denorm_mode_32 3
		.amdhsa_float_denorm_mode_16_64 3
		.amdhsa_fp16_overflow 0
		.amdhsa_memory_ordered 1
		.amdhsa_forward_progress 1
		.amdhsa_inst_pref_size 12
		.amdhsa_round_robin_scheduling 0
		.amdhsa_exception_fp_ieee_invalid_op 0
		.amdhsa_exception_fp_denorm_src 0
		.amdhsa_exception_fp_ieee_div_zero 0
		.amdhsa_exception_fp_ieee_overflow 0
		.amdhsa_exception_fp_ieee_underflow 0
		.amdhsa_exception_fp_ieee_inexact 0
		.amdhsa_exception_int_div_zero 0
	.end_amdhsa_kernel
	.section	.text._ZN2at4cuda17kernelHistogram1DIfflLi1ELi2ELin1ELNS0_23CUDAHistogramMemoryTypeE1EZNS0_21CUDA_tensor_histogramIffLb0EEEbNS_6TensorES4_S4_lNS_14AccumulateTypeIT0_Lb1EE4typeES8_NS0_13TensorArgTypeES9_S9_EUllE0_EEvNS0_6detail10TensorInfoIT_T1_EESF_NSC_IKS6_SE_EElS8_S8_SE_T6_,"axG",@progbits,_ZN2at4cuda17kernelHistogram1DIfflLi1ELi2ELin1ELNS0_23CUDAHistogramMemoryTypeE1EZNS0_21CUDA_tensor_histogramIffLb0EEEbNS_6TensorES4_S4_lNS_14AccumulateTypeIT0_Lb1EE4typeES8_NS0_13TensorArgTypeES9_S9_EUllE0_EEvNS0_6detail10TensorInfoIT_T1_EESF_NSC_IKS6_SE_EElS8_S8_SE_T6_,comdat
.Lfunc_end83:
	.size	_ZN2at4cuda17kernelHistogram1DIfflLi1ELi2ELin1ELNS0_23CUDAHistogramMemoryTypeE1EZNS0_21CUDA_tensor_histogramIffLb0EEEbNS_6TensorES4_S4_lNS_14AccumulateTypeIT0_Lb1EE4typeES8_NS0_13TensorArgTypeES9_S9_EUllE0_EEvNS0_6detail10TensorInfoIT_T1_EESF_NSC_IKS6_SE_EElS8_S8_SE_T6_, .Lfunc_end83-_ZN2at4cuda17kernelHistogram1DIfflLi1ELi2ELin1ELNS0_23CUDAHistogramMemoryTypeE1EZNS0_21CUDA_tensor_histogramIffLb0EEEbNS_6TensorES4_S4_lNS_14AccumulateTypeIT0_Lb1EE4typeES8_NS0_13TensorArgTypeES9_S9_EUllE0_EEvNS0_6detail10TensorInfoIT_T1_EESF_NSC_IKS6_SE_EElS8_S8_SE_T6_
                                        ; -- End function
	.set _ZN2at4cuda17kernelHistogram1DIfflLi1ELi2ELin1ELNS0_23CUDAHistogramMemoryTypeE1EZNS0_21CUDA_tensor_histogramIffLb0EEEbNS_6TensorES4_S4_lNS_14AccumulateTypeIT0_Lb1EE4typeES8_NS0_13TensorArgTypeES9_S9_EUllE0_EEvNS0_6detail10TensorInfoIT_T1_EESF_NSC_IKS6_SE_EElS8_S8_SE_T6_.num_vgpr, 24
	.set _ZN2at4cuda17kernelHistogram1DIfflLi1ELi2ELin1ELNS0_23CUDAHistogramMemoryTypeE1EZNS0_21CUDA_tensor_histogramIffLb0EEEbNS_6TensorES4_S4_lNS_14AccumulateTypeIT0_Lb1EE4typeES8_NS0_13TensorArgTypeES9_S9_EUllE0_EEvNS0_6detail10TensorInfoIT_T1_EESF_NSC_IKS6_SE_EElS8_S8_SE_T6_.num_agpr, 0
	.set _ZN2at4cuda17kernelHistogram1DIfflLi1ELi2ELin1ELNS0_23CUDAHistogramMemoryTypeE1EZNS0_21CUDA_tensor_histogramIffLb0EEEbNS_6TensorES4_S4_lNS_14AccumulateTypeIT0_Lb1EE4typeES8_NS0_13TensorArgTypeES9_S9_EUllE0_EEvNS0_6detail10TensorInfoIT_T1_EESF_NSC_IKS6_SE_EElS8_S8_SE_T6_.numbered_sgpr, 47
	.set _ZN2at4cuda17kernelHistogram1DIfflLi1ELi2ELin1ELNS0_23CUDAHistogramMemoryTypeE1EZNS0_21CUDA_tensor_histogramIffLb0EEEbNS_6TensorES4_S4_lNS_14AccumulateTypeIT0_Lb1EE4typeES8_NS0_13TensorArgTypeES9_S9_EUllE0_EEvNS0_6detail10TensorInfoIT_T1_EESF_NSC_IKS6_SE_EElS8_S8_SE_T6_.num_named_barrier, 0
	.set _ZN2at4cuda17kernelHistogram1DIfflLi1ELi2ELin1ELNS0_23CUDAHistogramMemoryTypeE1EZNS0_21CUDA_tensor_histogramIffLb0EEEbNS_6TensorES4_S4_lNS_14AccumulateTypeIT0_Lb1EE4typeES8_NS0_13TensorArgTypeES9_S9_EUllE0_EEvNS0_6detail10TensorInfoIT_T1_EESF_NSC_IKS6_SE_EElS8_S8_SE_T6_.private_seg_size, 0
	.set _ZN2at4cuda17kernelHistogram1DIfflLi1ELi2ELin1ELNS0_23CUDAHistogramMemoryTypeE1EZNS0_21CUDA_tensor_histogramIffLb0EEEbNS_6TensorES4_S4_lNS_14AccumulateTypeIT0_Lb1EE4typeES8_NS0_13TensorArgTypeES9_S9_EUllE0_EEvNS0_6detail10TensorInfoIT_T1_EESF_NSC_IKS6_SE_EElS8_S8_SE_T6_.uses_vcc, 1
	.set _ZN2at4cuda17kernelHistogram1DIfflLi1ELi2ELin1ELNS0_23CUDAHistogramMemoryTypeE1EZNS0_21CUDA_tensor_histogramIffLb0EEEbNS_6TensorES4_S4_lNS_14AccumulateTypeIT0_Lb1EE4typeES8_NS0_13TensorArgTypeES9_S9_EUllE0_EEvNS0_6detail10TensorInfoIT_T1_EESF_NSC_IKS6_SE_EElS8_S8_SE_T6_.uses_flat_scratch, 0
	.set _ZN2at4cuda17kernelHistogram1DIfflLi1ELi2ELin1ELNS0_23CUDAHistogramMemoryTypeE1EZNS0_21CUDA_tensor_histogramIffLb0EEEbNS_6TensorES4_S4_lNS_14AccumulateTypeIT0_Lb1EE4typeES8_NS0_13TensorArgTypeES9_S9_EUllE0_EEvNS0_6detail10TensorInfoIT_T1_EESF_NSC_IKS6_SE_EElS8_S8_SE_T6_.has_dyn_sized_stack, 0
	.set _ZN2at4cuda17kernelHistogram1DIfflLi1ELi2ELin1ELNS0_23CUDAHistogramMemoryTypeE1EZNS0_21CUDA_tensor_histogramIffLb0EEEbNS_6TensorES4_S4_lNS_14AccumulateTypeIT0_Lb1EE4typeES8_NS0_13TensorArgTypeES9_S9_EUllE0_EEvNS0_6detail10TensorInfoIT_T1_EESF_NSC_IKS6_SE_EElS8_S8_SE_T6_.has_recursion, 0
	.set _ZN2at4cuda17kernelHistogram1DIfflLi1ELi2ELin1ELNS0_23CUDAHistogramMemoryTypeE1EZNS0_21CUDA_tensor_histogramIffLb0EEEbNS_6TensorES4_S4_lNS_14AccumulateTypeIT0_Lb1EE4typeES8_NS0_13TensorArgTypeES9_S9_EUllE0_EEvNS0_6detail10TensorInfoIT_T1_EESF_NSC_IKS6_SE_EElS8_S8_SE_T6_.has_indirect_call, 0
	.section	.AMDGPU.csdata,"",@progbits
; Kernel info:
; codeLenInByte = 1460
; TotalNumSgprs: 49
; NumVgprs: 24
; ScratchSize: 0
; MemoryBound: 0
; FloatMode: 240
; IeeeMode: 1
; LDSByteSize: 0 bytes/workgroup (compile time only)
; SGPRBlocks: 0
; VGPRBlocks: 1
; NumSGPRsForWavesPerEU: 49
; NumVGPRsForWavesPerEU: 24
; NamedBarCnt: 0
; Occupancy: 16
; WaveLimiterHint : 1
; COMPUTE_PGM_RSRC2:SCRATCH_EN: 0
; COMPUTE_PGM_RSRC2:USER_SGPR: 2
; COMPUTE_PGM_RSRC2:TRAP_HANDLER: 0
; COMPUTE_PGM_RSRC2:TGID_X_EN: 1
; COMPUTE_PGM_RSRC2:TGID_Y_EN: 0
; COMPUTE_PGM_RSRC2:TGID_Z_EN: 0
; COMPUTE_PGM_RSRC2:TIDIG_COMP_CNT: 0
	.section	.AMDGPU.gpr_maximums,"",@progbits
	.set amdgpu.max_num_vgpr, 0
	.set amdgpu.max_num_agpr, 0
	.set amdgpu.max_num_sgpr, 0
	.section	.AMDGPU.csdata,"",@progbits
	.type	__hip_cuid_c0bf733581e8c4ae,@object ; @__hip_cuid_c0bf733581e8c4ae
	.section	.bss,"aw",@nobits
	.globl	__hip_cuid_c0bf733581e8c4ae
__hip_cuid_c0bf733581e8c4ae:
	.byte	0                               ; 0x0
	.size	__hip_cuid_c0bf733581e8c4ae, 1

	.ident	"AMD clang version 22.0.0git (https://github.com/RadeonOpenCompute/llvm-project roc-7.2.4 26084 f58b06dce1f9c15707c5f808fd002e18c2accf7e)"
	.section	".note.GNU-stack","",@progbits
	.addrsig
	.addrsig_sym _ZN2at4cuda7my_smemE
	.addrsig_sym __hip_cuid_c0bf733581e8c4ae
	.amdgpu_metadata
---
amdhsa.kernels:
  - .args:
      - .offset:         0
        .size:           416
        .value_kind:     by_value
      - .offset:         416
        .size:           416
        .value_kind:     by_value
      - .offset:         832
        .size:           416
        .value_kind:     by_value
      - .offset:         1248
        .size:           8
        .value_kind:     by_value
      - .offset:         1256
        .size:           8
        .value_kind:     by_value
      - .offset:         1264
        .size:           8
        .value_kind:     by_value
      - .offset:         1272
        .size:           8
        .value_kind:     by_value
      - .offset:         1280
        .size:           416
        .value_kind:     by_value
      - .offset:         1696
        .size:           4
        .value_kind:     hidden_block_count_x
      - .offset:         1700
        .size:           4
        .value_kind:     hidden_block_count_y
      - .offset:         1704
        .size:           4
        .value_kind:     hidden_block_count_z
      - .offset:         1708
        .size:           2
        .value_kind:     hidden_group_size_x
      - .offset:         1710
        .size:           2
        .value_kind:     hidden_group_size_y
      - .offset:         1712
        .size:           2
        .value_kind:     hidden_group_size_z
      - .offset:         1714
        .size:           2
        .value_kind:     hidden_remainder_x
      - .offset:         1716
        .size:           2
        .value_kind:     hidden_remainder_y
      - .offset:         1718
        .size:           2
        .value_kind:     hidden_remainder_z
      - .offset:         1736
        .size:           8
        .value_kind:     hidden_global_offset_x
      - .offset:         1744
        .size:           8
        .value_kind:     hidden_global_offset_y
      - .offset:         1752
        .size:           8
        .value_kind:     hidden_global_offset_z
      - .offset:         1760
        .size:           2
        .value_kind:     hidden_grid_dims
      - .offset:         1816
        .size:           4
        .value_kind:     hidden_dynamic_lds_size
    .group_segment_fixed_size: 0
    .kernarg_segment_align: 8
    .kernarg_segment_size: 1952
    .language:       OpenCL C
    .language_version:
      - 2
      - 0
    .max_flat_workgroup_size: 512
    .name:           _ZN2at4cuda17kernelHistogram1DIfhlLi1ELi2ELin1ELNS0_23CUDAHistogramMemoryTypeE0EZNS0_21CUDA_tensor_histogramIfhLb1EEEbNS_6TensorES4_S4_lNS_14AccumulateTypeIT0_Lb1EE4typeES8_NS0_13TensorArgTypeES9_S9_EUllE_EEvNS0_6detail10TensorInfoIT_T1_EESF_NSC_IKS6_SE_EElS8_S8_SE_T6_
    .private_segment_fixed_size: 0
    .sgpr_count:     59
    .sgpr_spill_count: 0
    .symbol:         _ZN2at4cuda17kernelHistogram1DIfhlLi1ELi2ELin1ELNS0_23CUDAHistogramMemoryTypeE0EZNS0_21CUDA_tensor_histogramIfhLb1EEEbNS_6TensorES4_S4_lNS_14AccumulateTypeIT0_Lb1EE4typeES8_NS0_13TensorArgTypeES9_S9_EUllE_EEvNS0_6detail10TensorInfoIT_T1_EESF_NSC_IKS6_SE_EElS8_S8_SE_T6_.kd
    .uniform_work_group_size: 1
    .uses_dynamic_stack: false
    .vgpr_count:     28
    .vgpr_spill_count: 0
    .wavefront_size: 32
  - .args:
      - .offset:         0
        .size:           416
        .value_kind:     by_value
      - .offset:         416
        .size:           416
        .value_kind:     by_value
      - .offset:         832
        .size:           416
        .value_kind:     by_value
      - .offset:         1248
        .size:           8
        .value_kind:     by_value
      - .offset:         1256
        .size:           8
        .value_kind:     by_value
      - .offset:         1264
        .size:           8
        .value_kind:     by_value
      - .offset:         1272
        .size:           8
        .value_kind:     by_value
      - .offset:         1280
        .size:           416
        .value_kind:     by_value
      - .offset:         1696
        .size:           4
        .value_kind:     hidden_block_count_x
      - .offset:         1700
        .size:           4
        .value_kind:     hidden_block_count_y
      - .offset:         1704
        .size:           4
        .value_kind:     hidden_block_count_z
      - .offset:         1708
        .size:           2
        .value_kind:     hidden_group_size_x
      - .offset:         1710
        .size:           2
        .value_kind:     hidden_group_size_y
      - .offset:         1712
        .size:           2
        .value_kind:     hidden_group_size_z
      - .offset:         1714
        .size:           2
        .value_kind:     hidden_remainder_x
      - .offset:         1716
        .size:           2
        .value_kind:     hidden_remainder_y
      - .offset:         1718
        .size:           2
        .value_kind:     hidden_remainder_z
      - .offset:         1736
        .size:           8
        .value_kind:     hidden_global_offset_x
      - .offset:         1744
        .size:           8
        .value_kind:     hidden_global_offset_y
      - .offset:         1752
        .size:           8
        .value_kind:     hidden_global_offset_z
      - .offset:         1760
        .size:           2
        .value_kind:     hidden_grid_dims
    .group_segment_fixed_size: 0
    .kernarg_segment_align: 8
    .kernarg_segment_size: 1952
    .language:       OpenCL C
    .language_version:
      - 2
      - 0
    .max_flat_workgroup_size: 512
    .name:           _ZN2at4cuda17kernelHistogram1DIfhlLi1ELi2ELin1ELNS0_23CUDAHistogramMemoryTypeE1EZNS0_21CUDA_tensor_histogramIfhLb1EEEbNS_6TensorES4_S4_lNS_14AccumulateTypeIT0_Lb1EE4typeES8_NS0_13TensorArgTypeES9_S9_EUllE_EEvNS0_6detail10TensorInfoIT_T1_EESF_NSC_IKS6_SE_EElS8_S8_SE_T6_
    .private_segment_fixed_size: 0
    .sgpr_count:     57
    .sgpr_spill_count: 0
    .symbol:         _ZN2at4cuda17kernelHistogram1DIfhlLi1ELi2ELin1ELNS0_23CUDAHistogramMemoryTypeE1EZNS0_21CUDA_tensor_histogramIfhLb1EEEbNS_6TensorES4_S4_lNS_14AccumulateTypeIT0_Lb1EE4typeES8_NS0_13TensorArgTypeES9_S9_EUllE_EEvNS0_6detail10TensorInfoIT_T1_EESF_NSC_IKS6_SE_EElS8_S8_SE_T6_.kd
    .uniform_work_group_size: 1
    .uses_dynamic_stack: false
    .vgpr_count:     22
    .vgpr_spill_count: 0
    .wavefront_size: 32
  - .args:
      - .offset:         0
        .size:           416
        .value_kind:     by_value
      - .offset:         416
        .size:           416
        .value_kind:     by_value
      - .offset:         832
        .size:           416
        .value_kind:     by_value
      - .offset:         1248
        .size:           8
        .value_kind:     by_value
      - .offset:         1256
        .size:           8
        .value_kind:     by_value
      - .offset:         1264
        .size:           8
        .value_kind:     by_value
      - .offset:         1272
        .size:           8
        .value_kind:     by_value
      - .offset:         1280
        .size:           1
        .value_kind:     by_value
      - .offset:         1288
        .size:           4
        .value_kind:     hidden_block_count_x
      - .offset:         1292
        .size:           4
        .value_kind:     hidden_block_count_y
      - .offset:         1296
        .size:           4
        .value_kind:     hidden_block_count_z
      - .offset:         1300
        .size:           2
        .value_kind:     hidden_group_size_x
      - .offset:         1302
        .size:           2
        .value_kind:     hidden_group_size_y
      - .offset:         1304
        .size:           2
        .value_kind:     hidden_group_size_z
      - .offset:         1306
        .size:           2
        .value_kind:     hidden_remainder_x
      - .offset:         1308
        .size:           2
        .value_kind:     hidden_remainder_y
      - .offset:         1310
        .size:           2
        .value_kind:     hidden_remainder_z
      - .offset:         1328
        .size:           8
        .value_kind:     hidden_global_offset_x
      - .offset:         1336
        .size:           8
        .value_kind:     hidden_global_offset_y
      - .offset:         1344
        .size:           8
        .value_kind:     hidden_global_offset_z
      - .offset:         1352
        .size:           2
        .value_kind:     hidden_grid_dims
      - .offset:         1408
        .size:           4
        .value_kind:     hidden_dynamic_lds_size
    .group_segment_fixed_size: 0
    .kernarg_segment_align: 8
    .kernarg_segment_size: 1544
    .language:       OpenCL C
    .language_version:
      - 2
      - 0
    .max_flat_workgroup_size: 512
    .name:           _ZN2at4cuda17kernelHistogram1DIfhlLi1ELi2ELin1ELNS0_23CUDAHistogramMemoryTypeE0EZNS0_21CUDA_tensor_histogramIfhLb1EEEbNS_6TensorES4_S4_lNS_14AccumulateTypeIT0_Lb1EE4typeES8_NS0_13TensorArgTypeES9_S9_EUllE0_EEvNS0_6detail10TensorInfoIT_T1_EESF_NSC_IKS6_SE_EElS8_S8_SE_T6_
    .private_segment_fixed_size: 0
    .sgpr_count:     55
    .sgpr_spill_count: 0
    .symbol:         _ZN2at4cuda17kernelHistogram1DIfhlLi1ELi2ELin1ELNS0_23CUDAHistogramMemoryTypeE0EZNS0_21CUDA_tensor_histogramIfhLb1EEEbNS_6TensorES4_S4_lNS_14AccumulateTypeIT0_Lb1EE4typeES8_NS0_13TensorArgTypeES9_S9_EUllE0_EEvNS0_6detail10TensorInfoIT_T1_EESF_NSC_IKS6_SE_EElS8_S8_SE_T6_.kd
    .uniform_work_group_size: 1
    .uses_dynamic_stack: false
    .vgpr_count:     28
    .vgpr_spill_count: 0
    .wavefront_size: 32
  - .args:
      - .offset:         0
        .size:           416
        .value_kind:     by_value
      - .offset:         416
        .size:           416
        .value_kind:     by_value
      - .offset:         832
        .size:           416
        .value_kind:     by_value
      - .offset:         1248
        .size:           8
        .value_kind:     by_value
      - .offset:         1256
        .size:           8
        .value_kind:     by_value
      - .offset:         1264
        .size:           8
        .value_kind:     by_value
      - .offset:         1272
        .size:           8
        .value_kind:     by_value
      - .offset:         1280
        .size:           1
        .value_kind:     by_value
      - .offset:         1288
        .size:           4
        .value_kind:     hidden_block_count_x
      - .offset:         1292
        .size:           4
        .value_kind:     hidden_block_count_y
      - .offset:         1296
        .size:           4
        .value_kind:     hidden_block_count_z
      - .offset:         1300
        .size:           2
        .value_kind:     hidden_group_size_x
      - .offset:         1302
        .size:           2
        .value_kind:     hidden_group_size_y
      - .offset:         1304
        .size:           2
        .value_kind:     hidden_group_size_z
      - .offset:         1306
        .size:           2
        .value_kind:     hidden_remainder_x
      - .offset:         1308
        .size:           2
        .value_kind:     hidden_remainder_y
      - .offset:         1310
        .size:           2
        .value_kind:     hidden_remainder_z
      - .offset:         1328
        .size:           8
        .value_kind:     hidden_global_offset_x
      - .offset:         1336
        .size:           8
        .value_kind:     hidden_global_offset_y
      - .offset:         1344
        .size:           8
        .value_kind:     hidden_global_offset_z
      - .offset:         1352
        .size:           2
        .value_kind:     hidden_grid_dims
    .group_segment_fixed_size: 0
    .kernarg_segment_align: 8
    .kernarg_segment_size: 1544
    .language:       OpenCL C
    .language_version:
      - 2
      - 0
    .max_flat_workgroup_size: 512
    .name:           _ZN2at4cuda17kernelHistogram1DIfhlLi1ELi2ELin1ELNS0_23CUDAHistogramMemoryTypeE1EZNS0_21CUDA_tensor_histogramIfhLb1EEEbNS_6TensorES4_S4_lNS_14AccumulateTypeIT0_Lb1EE4typeES8_NS0_13TensorArgTypeES9_S9_EUllE0_EEvNS0_6detail10TensorInfoIT_T1_EESF_NSC_IKS6_SE_EElS8_S8_SE_T6_
    .private_segment_fixed_size: 0
    .sgpr_count:     53
    .sgpr_spill_count: 0
    .symbol:         _ZN2at4cuda17kernelHistogram1DIfhlLi1ELi2ELin1ELNS0_23CUDAHistogramMemoryTypeE1EZNS0_21CUDA_tensor_histogramIfhLb1EEEbNS_6TensorES4_S4_lNS_14AccumulateTypeIT0_Lb1EE4typeES8_NS0_13TensorArgTypeES9_S9_EUllE0_EEvNS0_6detail10TensorInfoIT_T1_EESF_NSC_IKS6_SE_EElS8_S8_SE_T6_.kd
    .uniform_work_group_size: 1
    .uses_dynamic_stack: false
    .vgpr_count:     24
    .vgpr_spill_count: 0
    .wavefront_size: 32
  - .args:
      - .offset:         0
        .size:           416
        .value_kind:     by_value
      - .offset:         416
        .size:           416
        .value_kind:     by_value
      - .offset:         832
        .size:           416
        .value_kind:     by_value
      - .offset:         1248
        .size:           8
        .value_kind:     by_value
      - .offset:         1256
        .size:           8
        .value_kind:     by_value
      - .offset:         1264
        .size:           8
        .value_kind:     by_value
      - .offset:         1272
        .size:           8
        .value_kind:     by_value
      - .offset:         1280
        .size:           416
        .value_kind:     by_value
      - .offset:         1696
        .size:           4
        .value_kind:     hidden_block_count_x
      - .offset:         1700
        .size:           4
        .value_kind:     hidden_block_count_y
      - .offset:         1704
        .size:           4
        .value_kind:     hidden_block_count_z
      - .offset:         1708
        .size:           2
        .value_kind:     hidden_group_size_x
      - .offset:         1710
        .size:           2
        .value_kind:     hidden_group_size_y
      - .offset:         1712
        .size:           2
        .value_kind:     hidden_group_size_z
      - .offset:         1714
        .size:           2
        .value_kind:     hidden_remainder_x
      - .offset:         1716
        .size:           2
        .value_kind:     hidden_remainder_y
      - .offset:         1718
        .size:           2
        .value_kind:     hidden_remainder_z
      - .offset:         1736
        .size:           8
        .value_kind:     hidden_global_offset_x
      - .offset:         1744
        .size:           8
        .value_kind:     hidden_global_offset_y
      - .offset:         1752
        .size:           8
        .value_kind:     hidden_global_offset_z
      - .offset:         1760
        .size:           2
        .value_kind:     hidden_grid_dims
      - .offset:         1816
        .size:           4
        .value_kind:     hidden_dynamic_lds_size
    .group_segment_fixed_size: 0
    .kernarg_segment_align: 8
    .kernarg_segment_size: 1952
    .language:       OpenCL C
    .language_version:
      - 2
      - 0
    .max_flat_workgroup_size: 512
    .name:           _ZN2at4cuda17kernelHistogram1DIlhlLi1ELi2ELin1ELNS0_23CUDAHistogramMemoryTypeE0EZNS0_21CUDA_tensor_histogramIlhLb0EEEbNS_6TensorES4_S4_lNS_14AccumulateTypeIT0_Lb1EE4typeES8_NS0_13TensorArgTypeES9_S9_EUllE_EEvNS0_6detail10TensorInfoIT_T1_EESF_NSC_IKS6_SE_EElS8_S8_SE_T6_
    .private_segment_fixed_size: 0
    .sgpr_count:     59
    .sgpr_spill_count: 0
    .symbol:         _ZN2at4cuda17kernelHistogram1DIlhlLi1ELi2ELin1ELNS0_23CUDAHistogramMemoryTypeE0EZNS0_21CUDA_tensor_histogramIlhLb0EEEbNS_6TensorES4_S4_lNS_14AccumulateTypeIT0_Lb1EE4typeES8_NS0_13TensorArgTypeES9_S9_EUllE_EEvNS0_6detail10TensorInfoIT_T1_EESF_NSC_IKS6_SE_EElS8_S8_SE_T6_.kd
    .uniform_work_group_size: 1
    .uses_dynamic_stack: false
    .vgpr_count:     30
    .vgpr_spill_count: 0
    .wavefront_size: 32
  - .args:
      - .offset:         0
        .size:           416
        .value_kind:     by_value
      - .offset:         416
        .size:           416
        .value_kind:     by_value
      - .offset:         832
        .size:           416
        .value_kind:     by_value
      - .offset:         1248
        .size:           8
        .value_kind:     by_value
      - .offset:         1256
        .size:           8
        .value_kind:     by_value
      - .offset:         1264
        .size:           8
        .value_kind:     by_value
      - .offset:         1272
        .size:           8
        .value_kind:     by_value
      - .offset:         1280
        .size:           416
        .value_kind:     by_value
      - .offset:         1696
        .size:           4
        .value_kind:     hidden_block_count_x
      - .offset:         1700
        .size:           4
        .value_kind:     hidden_block_count_y
      - .offset:         1704
        .size:           4
        .value_kind:     hidden_block_count_z
      - .offset:         1708
        .size:           2
        .value_kind:     hidden_group_size_x
      - .offset:         1710
        .size:           2
        .value_kind:     hidden_group_size_y
      - .offset:         1712
        .size:           2
        .value_kind:     hidden_group_size_z
      - .offset:         1714
        .size:           2
        .value_kind:     hidden_remainder_x
      - .offset:         1716
        .size:           2
        .value_kind:     hidden_remainder_y
      - .offset:         1718
        .size:           2
        .value_kind:     hidden_remainder_z
      - .offset:         1736
        .size:           8
        .value_kind:     hidden_global_offset_x
      - .offset:         1744
        .size:           8
        .value_kind:     hidden_global_offset_y
      - .offset:         1752
        .size:           8
        .value_kind:     hidden_global_offset_z
      - .offset:         1760
        .size:           2
        .value_kind:     hidden_grid_dims
    .group_segment_fixed_size: 0
    .kernarg_segment_align: 8
    .kernarg_segment_size: 1952
    .language:       OpenCL C
    .language_version:
      - 2
      - 0
    .max_flat_workgroup_size: 512
    .name:           _ZN2at4cuda17kernelHistogram1DIlhlLi1ELi2ELin1ELNS0_23CUDAHistogramMemoryTypeE1EZNS0_21CUDA_tensor_histogramIlhLb0EEEbNS_6TensorES4_S4_lNS_14AccumulateTypeIT0_Lb1EE4typeES8_NS0_13TensorArgTypeES9_S9_EUllE_EEvNS0_6detail10TensorInfoIT_T1_EESF_NSC_IKS6_SE_EElS8_S8_SE_T6_
    .private_segment_fixed_size: 0
    .sgpr_count:     57
    .sgpr_spill_count: 0
    .symbol:         _ZN2at4cuda17kernelHistogram1DIlhlLi1ELi2ELin1ELNS0_23CUDAHistogramMemoryTypeE1EZNS0_21CUDA_tensor_histogramIlhLb0EEEbNS_6TensorES4_S4_lNS_14AccumulateTypeIT0_Lb1EE4typeES8_NS0_13TensorArgTypeES9_S9_EUllE_EEvNS0_6detail10TensorInfoIT_T1_EESF_NSC_IKS6_SE_EElS8_S8_SE_T6_.kd
    .uniform_work_group_size: 1
    .uses_dynamic_stack: false
    .vgpr_count:     22
    .vgpr_spill_count: 0
    .wavefront_size: 32
  - .args:
      - .offset:         0
        .size:           416
        .value_kind:     by_value
      - .offset:         416
        .size:           416
        .value_kind:     by_value
      - .offset:         832
        .size:           416
        .value_kind:     by_value
      - .offset:         1248
        .size:           8
        .value_kind:     by_value
      - .offset:         1256
        .size:           8
        .value_kind:     by_value
      - .offset:         1264
        .size:           8
        .value_kind:     by_value
      - .offset:         1272
        .size:           8
        .value_kind:     by_value
      - .offset:         1280
        .size:           1
        .value_kind:     by_value
      - .offset:         1288
        .size:           4
        .value_kind:     hidden_block_count_x
      - .offset:         1292
        .size:           4
        .value_kind:     hidden_block_count_y
      - .offset:         1296
        .size:           4
        .value_kind:     hidden_block_count_z
      - .offset:         1300
        .size:           2
        .value_kind:     hidden_group_size_x
      - .offset:         1302
        .size:           2
        .value_kind:     hidden_group_size_y
      - .offset:         1304
        .size:           2
        .value_kind:     hidden_group_size_z
      - .offset:         1306
        .size:           2
        .value_kind:     hidden_remainder_x
      - .offset:         1308
        .size:           2
        .value_kind:     hidden_remainder_y
      - .offset:         1310
        .size:           2
        .value_kind:     hidden_remainder_z
      - .offset:         1328
        .size:           8
        .value_kind:     hidden_global_offset_x
      - .offset:         1336
        .size:           8
        .value_kind:     hidden_global_offset_y
      - .offset:         1344
        .size:           8
        .value_kind:     hidden_global_offset_z
      - .offset:         1352
        .size:           2
        .value_kind:     hidden_grid_dims
      - .offset:         1408
        .size:           4
        .value_kind:     hidden_dynamic_lds_size
    .group_segment_fixed_size: 0
    .kernarg_segment_align: 8
    .kernarg_segment_size: 1544
    .language:       OpenCL C
    .language_version:
      - 2
      - 0
    .max_flat_workgroup_size: 512
    .name:           _ZN2at4cuda17kernelHistogram1DIlhlLi1ELi2ELin1ELNS0_23CUDAHistogramMemoryTypeE0EZNS0_21CUDA_tensor_histogramIlhLb0EEEbNS_6TensorES4_S4_lNS_14AccumulateTypeIT0_Lb1EE4typeES8_NS0_13TensorArgTypeES9_S9_EUllE0_EEvNS0_6detail10TensorInfoIT_T1_EESF_NSC_IKS6_SE_EElS8_S8_SE_T6_
    .private_segment_fixed_size: 0
    .sgpr_count:     55
    .sgpr_spill_count: 0
    .symbol:         _ZN2at4cuda17kernelHistogram1DIlhlLi1ELi2ELin1ELNS0_23CUDAHistogramMemoryTypeE0EZNS0_21CUDA_tensor_histogramIlhLb0EEEbNS_6TensorES4_S4_lNS_14AccumulateTypeIT0_Lb1EE4typeES8_NS0_13TensorArgTypeES9_S9_EUllE0_EEvNS0_6detail10TensorInfoIT_T1_EESF_NSC_IKS6_SE_EElS8_S8_SE_T6_.kd
    .uniform_work_group_size: 1
    .uses_dynamic_stack: false
    .vgpr_count:     32
    .vgpr_spill_count: 0
    .wavefront_size: 32
  - .args:
      - .offset:         0
        .size:           416
        .value_kind:     by_value
      - .offset:         416
        .size:           416
        .value_kind:     by_value
      - .offset:         832
        .size:           416
        .value_kind:     by_value
      - .offset:         1248
        .size:           8
        .value_kind:     by_value
      - .offset:         1256
        .size:           8
        .value_kind:     by_value
      - .offset:         1264
        .size:           8
        .value_kind:     by_value
      - .offset:         1272
        .size:           8
        .value_kind:     by_value
      - .offset:         1280
        .size:           1
        .value_kind:     by_value
      - .offset:         1288
        .size:           4
        .value_kind:     hidden_block_count_x
      - .offset:         1292
        .size:           4
        .value_kind:     hidden_block_count_y
      - .offset:         1296
        .size:           4
        .value_kind:     hidden_block_count_z
      - .offset:         1300
        .size:           2
        .value_kind:     hidden_group_size_x
      - .offset:         1302
        .size:           2
        .value_kind:     hidden_group_size_y
      - .offset:         1304
        .size:           2
        .value_kind:     hidden_group_size_z
      - .offset:         1306
        .size:           2
        .value_kind:     hidden_remainder_x
      - .offset:         1308
        .size:           2
        .value_kind:     hidden_remainder_y
      - .offset:         1310
        .size:           2
        .value_kind:     hidden_remainder_z
      - .offset:         1328
        .size:           8
        .value_kind:     hidden_global_offset_x
      - .offset:         1336
        .size:           8
        .value_kind:     hidden_global_offset_y
      - .offset:         1344
        .size:           8
        .value_kind:     hidden_global_offset_z
      - .offset:         1352
        .size:           2
        .value_kind:     hidden_grid_dims
    .group_segment_fixed_size: 0
    .kernarg_segment_align: 8
    .kernarg_segment_size: 1544
    .language:       OpenCL C
    .language_version:
      - 2
      - 0
    .max_flat_workgroup_size: 512
    .name:           _ZN2at4cuda17kernelHistogram1DIlhlLi1ELi2ELin1ELNS0_23CUDAHistogramMemoryTypeE1EZNS0_21CUDA_tensor_histogramIlhLb0EEEbNS_6TensorES4_S4_lNS_14AccumulateTypeIT0_Lb1EE4typeES8_NS0_13TensorArgTypeES9_S9_EUllE0_EEvNS0_6detail10TensorInfoIT_T1_EESF_NSC_IKS6_SE_EElS8_S8_SE_T6_
    .private_segment_fixed_size: 0
    .sgpr_count:     53
    .sgpr_spill_count: 0
    .symbol:         _ZN2at4cuda17kernelHistogram1DIlhlLi1ELi2ELin1ELNS0_23CUDAHistogramMemoryTypeE1EZNS0_21CUDA_tensor_histogramIlhLb0EEEbNS_6TensorES4_S4_lNS_14AccumulateTypeIT0_Lb1EE4typeES8_NS0_13TensorArgTypeES9_S9_EUllE0_EEvNS0_6detail10TensorInfoIT_T1_EESF_NSC_IKS6_SE_EElS8_S8_SE_T6_.kd
    .uniform_work_group_size: 1
    .uses_dynamic_stack: false
    .vgpr_count:     24
    .vgpr_spill_count: 0
    .wavefront_size: 32
  - .args:
      - .offset:         0
        .size:           416
        .value_kind:     by_value
      - .offset:         416
        .size:           416
        .value_kind:     by_value
      - .offset:         832
        .size:           416
        .value_kind:     by_value
      - .offset:         1248
        .size:           8
        .value_kind:     by_value
      - .offset:         1256
        .size:           8
        .value_kind:     by_value
      - .offset:         1264
        .size:           8
        .value_kind:     by_value
      - .offset:         1272
        .size:           8
        .value_kind:     by_value
      - .offset:         1280
        .size:           416
        .value_kind:     by_value
      - .offset:         1696
        .size:           4
        .value_kind:     hidden_block_count_x
      - .offset:         1700
        .size:           4
        .value_kind:     hidden_block_count_y
      - .offset:         1704
        .size:           4
        .value_kind:     hidden_block_count_z
      - .offset:         1708
        .size:           2
        .value_kind:     hidden_group_size_x
      - .offset:         1710
        .size:           2
        .value_kind:     hidden_group_size_y
      - .offset:         1712
        .size:           2
        .value_kind:     hidden_group_size_z
      - .offset:         1714
        .size:           2
        .value_kind:     hidden_remainder_x
      - .offset:         1716
        .size:           2
        .value_kind:     hidden_remainder_y
      - .offset:         1718
        .size:           2
        .value_kind:     hidden_remainder_z
      - .offset:         1736
        .size:           8
        .value_kind:     hidden_global_offset_x
      - .offset:         1744
        .size:           8
        .value_kind:     hidden_global_offset_y
      - .offset:         1752
        .size:           8
        .value_kind:     hidden_global_offset_z
      - .offset:         1760
        .size:           2
        .value_kind:     hidden_grid_dims
      - .offset:         1816
        .size:           4
        .value_kind:     hidden_dynamic_lds_size
    .group_segment_fixed_size: 0
    .kernarg_segment_align: 8
    .kernarg_segment_size: 1952
    .language:       OpenCL C
    .language_version:
      - 2
      - 0
    .max_flat_workgroup_size: 512
    .name:           _ZN2at4cuda17kernelHistogram1DIdhlLi1ELi2ELin1ELNS0_23CUDAHistogramMemoryTypeE0EZNS0_21CUDA_tensor_histogramIdhLb1EEEbNS_6TensorES4_S4_lNS_14AccumulateTypeIT0_Lb1EE4typeES8_NS0_13TensorArgTypeES9_S9_EUllE_EEvNS0_6detail10TensorInfoIT_T1_EESF_NSC_IKS6_SE_EElS8_S8_SE_T6_
    .private_segment_fixed_size: 0
    .sgpr_count:     59
    .sgpr_spill_count: 0
    .symbol:         _ZN2at4cuda17kernelHistogram1DIdhlLi1ELi2ELin1ELNS0_23CUDAHistogramMemoryTypeE0EZNS0_21CUDA_tensor_histogramIdhLb1EEEbNS_6TensorES4_S4_lNS_14AccumulateTypeIT0_Lb1EE4typeES8_NS0_13TensorArgTypeES9_S9_EUllE_EEvNS0_6detail10TensorInfoIT_T1_EESF_NSC_IKS6_SE_EElS8_S8_SE_T6_.kd
    .uniform_work_group_size: 1
    .uses_dynamic_stack: false
    .vgpr_count:     30
    .vgpr_spill_count: 0
    .wavefront_size: 32
  - .args:
      - .offset:         0
        .size:           416
        .value_kind:     by_value
      - .offset:         416
        .size:           416
        .value_kind:     by_value
      - .offset:         832
        .size:           416
        .value_kind:     by_value
      - .offset:         1248
        .size:           8
        .value_kind:     by_value
      - .offset:         1256
        .size:           8
        .value_kind:     by_value
      - .offset:         1264
        .size:           8
        .value_kind:     by_value
      - .offset:         1272
        .size:           8
        .value_kind:     by_value
      - .offset:         1280
        .size:           416
        .value_kind:     by_value
      - .offset:         1696
        .size:           4
        .value_kind:     hidden_block_count_x
      - .offset:         1700
        .size:           4
        .value_kind:     hidden_block_count_y
      - .offset:         1704
        .size:           4
        .value_kind:     hidden_block_count_z
      - .offset:         1708
        .size:           2
        .value_kind:     hidden_group_size_x
      - .offset:         1710
        .size:           2
        .value_kind:     hidden_group_size_y
      - .offset:         1712
        .size:           2
        .value_kind:     hidden_group_size_z
      - .offset:         1714
        .size:           2
        .value_kind:     hidden_remainder_x
      - .offset:         1716
        .size:           2
        .value_kind:     hidden_remainder_y
      - .offset:         1718
        .size:           2
        .value_kind:     hidden_remainder_z
      - .offset:         1736
        .size:           8
        .value_kind:     hidden_global_offset_x
      - .offset:         1744
        .size:           8
        .value_kind:     hidden_global_offset_y
      - .offset:         1752
        .size:           8
        .value_kind:     hidden_global_offset_z
      - .offset:         1760
        .size:           2
        .value_kind:     hidden_grid_dims
    .group_segment_fixed_size: 0
    .kernarg_segment_align: 8
    .kernarg_segment_size: 1952
    .language:       OpenCL C
    .language_version:
      - 2
      - 0
    .max_flat_workgroup_size: 512
    .name:           _ZN2at4cuda17kernelHistogram1DIdhlLi1ELi2ELin1ELNS0_23CUDAHistogramMemoryTypeE1EZNS0_21CUDA_tensor_histogramIdhLb1EEEbNS_6TensorES4_S4_lNS_14AccumulateTypeIT0_Lb1EE4typeES8_NS0_13TensorArgTypeES9_S9_EUllE_EEvNS0_6detail10TensorInfoIT_T1_EESF_NSC_IKS6_SE_EElS8_S8_SE_T6_
    .private_segment_fixed_size: 0
    .sgpr_count:     57
    .sgpr_spill_count: 0
    .symbol:         _ZN2at4cuda17kernelHistogram1DIdhlLi1ELi2ELin1ELNS0_23CUDAHistogramMemoryTypeE1EZNS0_21CUDA_tensor_histogramIdhLb1EEEbNS_6TensorES4_S4_lNS_14AccumulateTypeIT0_Lb1EE4typeES8_NS0_13TensorArgTypeES9_S9_EUllE_EEvNS0_6detail10TensorInfoIT_T1_EESF_NSC_IKS6_SE_EElS8_S8_SE_T6_.kd
    .uniform_work_group_size: 1
    .uses_dynamic_stack: false
    .vgpr_count:     22
    .vgpr_spill_count: 0
    .wavefront_size: 32
  - .args:
      - .offset:         0
        .size:           416
        .value_kind:     by_value
      - .offset:         416
        .size:           416
        .value_kind:     by_value
      - .offset:         832
        .size:           416
        .value_kind:     by_value
      - .offset:         1248
        .size:           8
        .value_kind:     by_value
      - .offset:         1256
        .size:           8
        .value_kind:     by_value
      - .offset:         1264
        .size:           8
        .value_kind:     by_value
      - .offset:         1272
        .size:           8
        .value_kind:     by_value
      - .offset:         1280
        .size:           1
        .value_kind:     by_value
      - .offset:         1288
        .size:           4
        .value_kind:     hidden_block_count_x
      - .offset:         1292
        .size:           4
        .value_kind:     hidden_block_count_y
      - .offset:         1296
        .size:           4
        .value_kind:     hidden_block_count_z
      - .offset:         1300
        .size:           2
        .value_kind:     hidden_group_size_x
      - .offset:         1302
        .size:           2
        .value_kind:     hidden_group_size_y
      - .offset:         1304
        .size:           2
        .value_kind:     hidden_group_size_z
      - .offset:         1306
        .size:           2
        .value_kind:     hidden_remainder_x
      - .offset:         1308
        .size:           2
        .value_kind:     hidden_remainder_y
      - .offset:         1310
        .size:           2
        .value_kind:     hidden_remainder_z
      - .offset:         1328
        .size:           8
        .value_kind:     hidden_global_offset_x
      - .offset:         1336
        .size:           8
        .value_kind:     hidden_global_offset_y
      - .offset:         1344
        .size:           8
        .value_kind:     hidden_global_offset_z
      - .offset:         1352
        .size:           2
        .value_kind:     hidden_grid_dims
      - .offset:         1408
        .size:           4
        .value_kind:     hidden_dynamic_lds_size
    .group_segment_fixed_size: 0
    .kernarg_segment_align: 8
    .kernarg_segment_size: 1544
    .language:       OpenCL C
    .language_version:
      - 2
      - 0
    .max_flat_workgroup_size: 512
    .name:           _ZN2at4cuda17kernelHistogram1DIdhlLi1ELi2ELin1ELNS0_23CUDAHistogramMemoryTypeE0EZNS0_21CUDA_tensor_histogramIdhLb1EEEbNS_6TensorES4_S4_lNS_14AccumulateTypeIT0_Lb1EE4typeES8_NS0_13TensorArgTypeES9_S9_EUllE0_EEvNS0_6detail10TensorInfoIT_T1_EESF_NSC_IKS6_SE_EElS8_S8_SE_T6_
    .private_segment_fixed_size: 0
    .sgpr_count:     55
    .sgpr_spill_count: 0
    .symbol:         _ZN2at4cuda17kernelHistogram1DIdhlLi1ELi2ELin1ELNS0_23CUDAHistogramMemoryTypeE0EZNS0_21CUDA_tensor_histogramIdhLb1EEEbNS_6TensorES4_S4_lNS_14AccumulateTypeIT0_Lb1EE4typeES8_NS0_13TensorArgTypeES9_S9_EUllE0_EEvNS0_6detail10TensorInfoIT_T1_EESF_NSC_IKS6_SE_EElS8_S8_SE_T6_.kd
    .uniform_work_group_size: 1
    .uses_dynamic_stack: false
    .vgpr_count:     32
    .vgpr_spill_count: 0
    .wavefront_size: 32
  - .args:
      - .offset:         0
        .size:           416
        .value_kind:     by_value
      - .offset:         416
        .size:           416
        .value_kind:     by_value
      - .offset:         832
        .size:           416
        .value_kind:     by_value
      - .offset:         1248
        .size:           8
        .value_kind:     by_value
      - .offset:         1256
        .size:           8
        .value_kind:     by_value
      - .offset:         1264
        .size:           8
        .value_kind:     by_value
      - .offset:         1272
        .size:           8
        .value_kind:     by_value
      - .offset:         1280
        .size:           1
        .value_kind:     by_value
      - .offset:         1288
        .size:           4
        .value_kind:     hidden_block_count_x
      - .offset:         1292
        .size:           4
        .value_kind:     hidden_block_count_y
      - .offset:         1296
        .size:           4
        .value_kind:     hidden_block_count_z
      - .offset:         1300
        .size:           2
        .value_kind:     hidden_group_size_x
      - .offset:         1302
        .size:           2
        .value_kind:     hidden_group_size_y
      - .offset:         1304
        .size:           2
        .value_kind:     hidden_group_size_z
      - .offset:         1306
        .size:           2
        .value_kind:     hidden_remainder_x
      - .offset:         1308
        .size:           2
        .value_kind:     hidden_remainder_y
      - .offset:         1310
        .size:           2
        .value_kind:     hidden_remainder_z
      - .offset:         1328
        .size:           8
        .value_kind:     hidden_global_offset_x
      - .offset:         1336
        .size:           8
        .value_kind:     hidden_global_offset_y
      - .offset:         1344
        .size:           8
        .value_kind:     hidden_global_offset_z
      - .offset:         1352
        .size:           2
        .value_kind:     hidden_grid_dims
    .group_segment_fixed_size: 0
    .kernarg_segment_align: 8
    .kernarg_segment_size: 1544
    .language:       OpenCL C
    .language_version:
      - 2
      - 0
    .max_flat_workgroup_size: 512
    .name:           _ZN2at4cuda17kernelHistogram1DIdhlLi1ELi2ELin1ELNS0_23CUDAHistogramMemoryTypeE1EZNS0_21CUDA_tensor_histogramIdhLb1EEEbNS_6TensorES4_S4_lNS_14AccumulateTypeIT0_Lb1EE4typeES8_NS0_13TensorArgTypeES9_S9_EUllE0_EEvNS0_6detail10TensorInfoIT_T1_EESF_NSC_IKS6_SE_EElS8_S8_SE_T6_
    .private_segment_fixed_size: 0
    .sgpr_count:     53
    .sgpr_spill_count: 0
    .symbol:         _ZN2at4cuda17kernelHistogram1DIdhlLi1ELi2ELin1ELNS0_23CUDAHistogramMemoryTypeE1EZNS0_21CUDA_tensor_histogramIdhLb1EEEbNS_6TensorES4_S4_lNS_14AccumulateTypeIT0_Lb1EE4typeES8_NS0_13TensorArgTypeES9_S9_EUllE0_EEvNS0_6detail10TensorInfoIT_T1_EESF_NSC_IKS6_SE_EElS8_S8_SE_T6_.kd
    .uniform_work_group_size: 1
    .uses_dynamic_stack: false
    .vgpr_count:     24
    .vgpr_spill_count: 0
    .wavefront_size: 32
  - .args:
      - .offset:         0
        .size:           416
        .value_kind:     by_value
      - .offset:         416
        .size:           416
        .value_kind:     by_value
      - .offset:         832
        .size:           416
        .value_kind:     by_value
      - .offset:         1248
        .size:           8
        .value_kind:     by_value
      - .offset:         1256
        .size:           8
        .value_kind:     by_value
      - .offset:         1264
        .size:           8
        .value_kind:     by_value
      - .offset:         1272
        .size:           8
        .value_kind:     by_value
      - .offset:         1280
        .size:           416
        .value_kind:     by_value
      - .offset:         1696
        .size:           4
        .value_kind:     hidden_block_count_x
      - .offset:         1700
        .size:           4
        .value_kind:     hidden_block_count_y
      - .offset:         1704
        .size:           4
        .value_kind:     hidden_block_count_z
      - .offset:         1708
        .size:           2
        .value_kind:     hidden_group_size_x
      - .offset:         1710
        .size:           2
        .value_kind:     hidden_group_size_y
      - .offset:         1712
        .size:           2
        .value_kind:     hidden_group_size_z
      - .offset:         1714
        .size:           2
        .value_kind:     hidden_remainder_x
      - .offset:         1716
        .size:           2
        .value_kind:     hidden_remainder_y
      - .offset:         1718
        .size:           2
        .value_kind:     hidden_remainder_z
      - .offset:         1736
        .size:           8
        .value_kind:     hidden_global_offset_x
      - .offset:         1744
        .size:           8
        .value_kind:     hidden_global_offset_y
      - .offset:         1752
        .size:           8
        .value_kind:     hidden_global_offset_z
      - .offset:         1760
        .size:           2
        .value_kind:     hidden_grid_dims
      - .offset:         1816
        .size:           4
        .value_kind:     hidden_dynamic_lds_size
    .group_segment_fixed_size: 0
    .kernarg_segment_align: 8
    .kernarg_segment_size: 1952
    .language:       OpenCL C
    .language_version:
      - 2
      - 0
    .max_flat_workgroup_size: 512
    .name:           _ZN2at4cuda17kernelHistogram1DIfalLi1ELi2ELin1ELNS0_23CUDAHistogramMemoryTypeE0EZNS0_21CUDA_tensor_histogramIfaLb1EEEbNS_6TensorES4_S4_lNS_14AccumulateTypeIT0_Lb1EE4typeES8_NS0_13TensorArgTypeES9_S9_EUllE_EEvNS0_6detail10TensorInfoIT_T1_EESF_NSC_IKS6_SE_EElS8_S8_SE_T6_
    .private_segment_fixed_size: 0
    .sgpr_count:     59
    .sgpr_spill_count: 0
    .symbol:         _ZN2at4cuda17kernelHistogram1DIfalLi1ELi2ELin1ELNS0_23CUDAHistogramMemoryTypeE0EZNS0_21CUDA_tensor_histogramIfaLb1EEEbNS_6TensorES4_S4_lNS_14AccumulateTypeIT0_Lb1EE4typeES8_NS0_13TensorArgTypeES9_S9_EUllE_EEvNS0_6detail10TensorInfoIT_T1_EESF_NSC_IKS6_SE_EElS8_S8_SE_T6_.kd
    .uniform_work_group_size: 1
    .uses_dynamic_stack: false
    .vgpr_count:     28
    .vgpr_spill_count: 0
    .wavefront_size: 32
  - .args:
      - .offset:         0
        .size:           416
        .value_kind:     by_value
      - .offset:         416
        .size:           416
        .value_kind:     by_value
      - .offset:         832
        .size:           416
        .value_kind:     by_value
      - .offset:         1248
        .size:           8
        .value_kind:     by_value
      - .offset:         1256
        .size:           8
        .value_kind:     by_value
      - .offset:         1264
        .size:           8
        .value_kind:     by_value
      - .offset:         1272
        .size:           8
        .value_kind:     by_value
      - .offset:         1280
        .size:           416
        .value_kind:     by_value
      - .offset:         1696
        .size:           4
        .value_kind:     hidden_block_count_x
      - .offset:         1700
        .size:           4
        .value_kind:     hidden_block_count_y
      - .offset:         1704
        .size:           4
        .value_kind:     hidden_block_count_z
      - .offset:         1708
        .size:           2
        .value_kind:     hidden_group_size_x
      - .offset:         1710
        .size:           2
        .value_kind:     hidden_group_size_y
      - .offset:         1712
        .size:           2
        .value_kind:     hidden_group_size_z
      - .offset:         1714
        .size:           2
        .value_kind:     hidden_remainder_x
      - .offset:         1716
        .size:           2
        .value_kind:     hidden_remainder_y
      - .offset:         1718
        .size:           2
        .value_kind:     hidden_remainder_z
      - .offset:         1736
        .size:           8
        .value_kind:     hidden_global_offset_x
      - .offset:         1744
        .size:           8
        .value_kind:     hidden_global_offset_y
      - .offset:         1752
        .size:           8
        .value_kind:     hidden_global_offset_z
      - .offset:         1760
        .size:           2
        .value_kind:     hidden_grid_dims
    .group_segment_fixed_size: 0
    .kernarg_segment_align: 8
    .kernarg_segment_size: 1952
    .language:       OpenCL C
    .language_version:
      - 2
      - 0
    .max_flat_workgroup_size: 512
    .name:           _ZN2at4cuda17kernelHistogram1DIfalLi1ELi2ELin1ELNS0_23CUDAHistogramMemoryTypeE1EZNS0_21CUDA_tensor_histogramIfaLb1EEEbNS_6TensorES4_S4_lNS_14AccumulateTypeIT0_Lb1EE4typeES8_NS0_13TensorArgTypeES9_S9_EUllE_EEvNS0_6detail10TensorInfoIT_T1_EESF_NSC_IKS6_SE_EElS8_S8_SE_T6_
    .private_segment_fixed_size: 0
    .sgpr_count:     57
    .sgpr_spill_count: 0
    .symbol:         _ZN2at4cuda17kernelHistogram1DIfalLi1ELi2ELin1ELNS0_23CUDAHistogramMemoryTypeE1EZNS0_21CUDA_tensor_histogramIfaLb1EEEbNS_6TensorES4_S4_lNS_14AccumulateTypeIT0_Lb1EE4typeES8_NS0_13TensorArgTypeES9_S9_EUllE_EEvNS0_6detail10TensorInfoIT_T1_EESF_NSC_IKS6_SE_EElS8_S8_SE_T6_.kd
    .uniform_work_group_size: 1
    .uses_dynamic_stack: false
    .vgpr_count:     22
    .vgpr_spill_count: 0
    .wavefront_size: 32
  - .args:
      - .offset:         0
        .size:           416
        .value_kind:     by_value
      - .offset:         416
        .size:           416
        .value_kind:     by_value
      - .offset:         832
        .size:           416
        .value_kind:     by_value
      - .offset:         1248
        .size:           8
        .value_kind:     by_value
      - .offset:         1256
        .size:           8
        .value_kind:     by_value
      - .offset:         1264
        .size:           8
        .value_kind:     by_value
      - .offset:         1272
        .size:           8
        .value_kind:     by_value
      - .offset:         1280
        .size:           1
        .value_kind:     by_value
      - .offset:         1288
        .size:           4
        .value_kind:     hidden_block_count_x
      - .offset:         1292
        .size:           4
        .value_kind:     hidden_block_count_y
      - .offset:         1296
        .size:           4
        .value_kind:     hidden_block_count_z
      - .offset:         1300
        .size:           2
        .value_kind:     hidden_group_size_x
      - .offset:         1302
        .size:           2
        .value_kind:     hidden_group_size_y
      - .offset:         1304
        .size:           2
        .value_kind:     hidden_group_size_z
      - .offset:         1306
        .size:           2
        .value_kind:     hidden_remainder_x
      - .offset:         1308
        .size:           2
        .value_kind:     hidden_remainder_y
      - .offset:         1310
        .size:           2
        .value_kind:     hidden_remainder_z
      - .offset:         1328
        .size:           8
        .value_kind:     hidden_global_offset_x
      - .offset:         1336
        .size:           8
        .value_kind:     hidden_global_offset_y
      - .offset:         1344
        .size:           8
        .value_kind:     hidden_global_offset_z
      - .offset:         1352
        .size:           2
        .value_kind:     hidden_grid_dims
      - .offset:         1408
        .size:           4
        .value_kind:     hidden_dynamic_lds_size
    .group_segment_fixed_size: 0
    .kernarg_segment_align: 8
    .kernarg_segment_size: 1544
    .language:       OpenCL C
    .language_version:
      - 2
      - 0
    .max_flat_workgroup_size: 512
    .name:           _ZN2at4cuda17kernelHistogram1DIfalLi1ELi2ELin1ELNS0_23CUDAHistogramMemoryTypeE0EZNS0_21CUDA_tensor_histogramIfaLb1EEEbNS_6TensorES4_S4_lNS_14AccumulateTypeIT0_Lb1EE4typeES8_NS0_13TensorArgTypeES9_S9_EUllE0_EEvNS0_6detail10TensorInfoIT_T1_EESF_NSC_IKS6_SE_EElS8_S8_SE_T6_
    .private_segment_fixed_size: 0
    .sgpr_count:     55
    .sgpr_spill_count: 0
    .symbol:         _ZN2at4cuda17kernelHistogram1DIfalLi1ELi2ELin1ELNS0_23CUDAHistogramMemoryTypeE0EZNS0_21CUDA_tensor_histogramIfaLb1EEEbNS_6TensorES4_S4_lNS_14AccumulateTypeIT0_Lb1EE4typeES8_NS0_13TensorArgTypeES9_S9_EUllE0_EEvNS0_6detail10TensorInfoIT_T1_EESF_NSC_IKS6_SE_EElS8_S8_SE_T6_.kd
    .uniform_work_group_size: 1
    .uses_dynamic_stack: false
    .vgpr_count:     28
    .vgpr_spill_count: 0
    .wavefront_size: 32
  - .args:
      - .offset:         0
        .size:           416
        .value_kind:     by_value
      - .offset:         416
        .size:           416
        .value_kind:     by_value
      - .offset:         832
        .size:           416
        .value_kind:     by_value
      - .offset:         1248
        .size:           8
        .value_kind:     by_value
      - .offset:         1256
        .size:           8
        .value_kind:     by_value
      - .offset:         1264
        .size:           8
        .value_kind:     by_value
      - .offset:         1272
        .size:           8
        .value_kind:     by_value
      - .offset:         1280
        .size:           1
        .value_kind:     by_value
      - .offset:         1288
        .size:           4
        .value_kind:     hidden_block_count_x
      - .offset:         1292
        .size:           4
        .value_kind:     hidden_block_count_y
      - .offset:         1296
        .size:           4
        .value_kind:     hidden_block_count_z
      - .offset:         1300
        .size:           2
        .value_kind:     hidden_group_size_x
      - .offset:         1302
        .size:           2
        .value_kind:     hidden_group_size_y
      - .offset:         1304
        .size:           2
        .value_kind:     hidden_group_size_z
      - .offset:         1306
        .size:           2
        .value_kind:     hidden_remainder_x
      - .offset:         1308
        .size:           2
        .value_kind:     hidden_remainder_y
      - .offset:         1310
        .size:           2
        .value_kind:     hidden_remainder_z
      - .offset:         1328
        .size:           8
        .value_kind:     hidden_global_offset_x
      - .offset:         1336
        .size:           8
        .value_kind:     hidden_global_offset_y
      - .offset:         1344
        .size:           8
        .value_kind:     hidden_global_offset_z
      - .offset:         1352
        .size:           2
        .value_kind:     hidden_grid_dims
    .group_segment_fixed_size: 0
    .kernarg_segment_align: 8
    .kernarg_segment_size: 1544
    .language:       OpenCL C
    .language_version:
      - 2
      - 0
    .max_flat_workgroup_size: 512
    .name:           _ZN2at4cuda17kernelHistogram1DIfalLi1ELi2ELin1ELNS0_23CUDAHistogramMemoryTypeE1EZNS0_21CUDA_tensor_histogramIfaLb1EEEbNS_6TensorES4_S4_lNS_14AccumulateTypeIT0_Lb1EE4typeES8_NS0_13TensorArgTypeES9_S9_EUllE0_EEvNS0_6detail10TensorInfoIT_T1_EESF_NSC_IKS6_SE_EElS8_S8_SE_T6_
    .private_segment_fixed_size: 0
    .sgpr_count:     53
    .sgpr_spill_count: 0
    .symbol:         _ZN2at4cuda17kernelHistogram1DIfalLi1ELi2ELin1ELNS0_23CUDAHistogramMemoryTypeE1EZNS0_21CUDA_tensor_histogramIfaLb1EEEbNS_6TensorES4_S4_lNS_14AccumulateTypeIT0_Lb1EE4typeES8_NS0_13TensorArgTypeES9_S9_EUllE0_EEvNS0_6detail10TensorInfoIT_T1_EESF_NSC_IKS6_SE_EElS8_S8_SE_T6_.kd
    .uniform_work_group_size: 1
    .uses_dynamic_stack: false
    .vgpr_count:     24
    .vgpr_spill_count: 0
    .wavefront_size: 32
  - .args:
      - .offset:         0
        .size:           416
        .value_kind:     by_value
      - .offset:         416
        .size:           416
        .value_kind:     by_value
      - .offset:         832
        .size:           416
        .value_kind:     by_value
      - .offset:         1248
        .size:           8
        .value_kind:     by_value
      - .offset:         1256
        .size:           8
        .value_kind:     by_value
      - .offset:         1264
        .size:           8
        .value_kind:     by_value
      - .offset:         1272
        .size:           8
        .value_kind:     by_value
      - .offset:         1280
        .size:           416
        .value_kind:     by_value
      - .offset:         1696
        .size:           4
        .value_kind:     hidden_block_count_x
      - .offset:         1700
        .size:           4
        .value_kind:     hidden_block_count_y
      - .offset:         1704
        .size:           4
        .value_kind:     hidden_block_count_z
      - .offset:         1708
        .size:           2
        .value_kind:     hidden_group_size_x
      - .offset:         1710
        .size:           2
        .value_kind:     hidden_group_size_y
      - .offset:         1712
        .size:           2
        .value_kind:     hidden_group_size_z
      - .offset:         1714
        .size:           2
        .value_kind:     hidden_remainder_x
      - .offset:         1716
        .size:           2
        .value_kind:     hidden_remainder_y
      - .offset:         1718
        .size:           2
        .value_kind:     hidden_remainder_z
      - .offset:         1736
        .size:           8
        .value_kind:     hidden_global_offset_x
      - .offset:         1744
        .size:           8
        .value_kind:     hidden_global_offset_y
      - .offset:         1752
        .size:           8
        .value_kind:     hidden_global_offset_z
      - .offset:         1760
        .size:           2
        .value_kind:     hidden_grid_dims
      - .offset:         1816
        .size:           4
        .value_kind:     hidden_dynamic_lds_size
    .group_segment_fixed_size: 0
    .kernarg_segment_align: 8
    .kernarg_segment_size: 1952
    .language:       OpenCL C
    .language_version:
      - 2
      - 0
    .max_flat_workgroup_size: 512
    .name:           _ZN2at4cuda17kernelHistogram1DIlalLi1ELi2ELin1ELNS0_23CUDAHistogramMemoryTypeE0EZNS0_21CUDA_tensor_histogramIlaLb0EEEbNS_6TensorES4_S4_lNS_14AccumulateTypeIT0_Lb1EE4typeES8_NS0_13TensorArgTypeES9_S9_EUllE_EEvNS0_6detail10TensorInfoIT_T1_EESF_NSC_IKS6_SE_EElS8_S8_SE_T6_
    .private_segment_fixed_size: 0
    .sgpr_count:     59
    .sgpr_spill_count: 0
    .symbol:         _ZN2at4cuda17kernelHistogram1DIlalLi1ELi2ELin1ELNS0_23CUDAHistogramMemoryTypeE0EZNS0_21CUDA_tensor_histogramIlaLb0EEEbNS_6TensorES4_S4_lNS_14AccumulateTypeIT0_Lb1EE4typeES8_NS0_13TensorArgTypeES9_S9_EUllE_EEvNS0_6detail10TensorInfoIT_T1_EESF_NSC_IKS6_SE_EElS8_S8_SE_T6_.kd
    .uniform_work_group_size: 1
    .uses_dynamic_stack: false
    .vgpr_count:     30
    .vgpr_spill_count: 0
    .wavefront_size: 32
  - .args:
      - .offset:         0
        .size:           416
        .value_kind:     by_value
      - .offset:         416
        .size:           416
        .value_kind:     by_value
      - .offset:         832
        .size:           416
        .value_kind:     by_value
      - .offset:         1248
        .size:           8
        .value_kind:     by_value
      - .offset:         1256
        .size:           8
        .value_kind:     by_value
      - .offset:         1264
        .size:           8
        .value_kind:     by_value
      - .offset:         1272
        .size:           8
        .value_kind:     by_value
      - .offset:         1280
        .size:           416
        .value_kind:     by_value
      - .offset:         1696
        .size:           4
        .value_kind:     hidden_block_count_x
      - .offset:         1700
        .size:           4
        .value_kind:     hidden_block_count_y
      - .offset:         1704
        .size:           4
        .value_kind:     hidden_block_count_z
      - .offset:         1708
        .size:           2
        .value_kind:     hidden_group_size_x
      - .offset:         1710
        .size:           2
        .value_kind:     hidden_group_size_y
      - .offset:         1712
        .size:           2
        .value_kind:     hidden_group_size_z
      - .offset:         1714
        .size:           2
        .value_kind:     hidden_remainder_x
      - .offset:         1716
        .size:           2
        .value_kind:     hidden_remainder_y
      - .offset:         1718
        .size:           2
        .value_kind:     hidden_remainder_z
      - .offset:         1736
        .size:           8
        .value_kind:     hidden_global_offset_x
      - .offset:         1744
        .size:           8
        .value_kind:     hidden_global_offset_y
      - .offset:         1752
        .size:           8
        .value_kind:     hidden_global_offset_z
      - .offset:         1760
        .size:           2
        .value_kind:     hidden_grid_dims
    .group_segment_fixed_size: 0
    .kernarg_segment_align: 8
    .kernarg_segment_size: 1952
    .language:       OpenCL C
    .language_version:
      - 2
      - 0
    .max_flat_workgroup_size: 512
    .name:           _ZN2at4cuda17kernelHistogram1DIlalLi1ELi2ELin1ELNS0_23CUDAHistogramMemoryTypeE1EZNS0_21CUDA_tensor_histogramIlaLb0EEEbNS_6TensorES4_S4_lNS_14AccumulateTypeIT0_Lb1EE4typeES8_NS0_13TensorArgTypeES9_S9_EUllE_EEvNS0_6detail10TensorInfoIT_T1_EESF_NSC_IKS6_SE_EElS8_S8_SE_T6_
    .private_segment_fixed_size: 0
    .sgpr_count:     57
    .sgpr_spill_count: 0
    .symbol:         _ZN2at4cuda17kernelHistogram1DIlalLi1ELi2ELin1ELNS0_23CUDAHistogramMemoryTypeE1EZNS0_21CUDA_tensor_histogramIlaLb0EEEbNS_6TensorES4_S4_lNS_14AccumulateTypeIT0_Lb1EE4typeES8_NS0_13TensorArgTypeES9_S9_EUllE_EEvNS0_6detail10TensorInfoIT_T1_EESF_NSC_IKS6_SE_EElS8_S8_SE_T6_.kd
    .uniform_work_group_size: 1
    .uses_dynamic_stack: false
    .vgpr_count:     22
    .vgpr_spill_count: 0
    .wavefront_size: 32
  - .args:
      - .offset:         0
        .size:           416
        .value_kind:     by_value
      - .offset:         416
        .size:           416
        .value_kind:     by_value
      - .offset:         832
        .size:           416
        .value_kind:     by_value
      - .offset:         1248
        .size:           8
        .value_kind:     by_value
      - .offset:         1256
        .size:           8
        .value_kind:     by_value
      - .offset:         1264
        .size:           8
        .value_kind:     by_value
      - .offset:         1272
        .size:           8
        .value_kind:     by_value
      - .offset:         1280
        .size:           1
        .value_kind:     by_value
      - .offset:         1288
        .size:           4
        .value_kind:     hidden_block_count_x
      - .offset:         1292
        .size:           4
        .value_kind:     hidden_block_count_y
      - .offset:         1296
        .size:           4
        .value_kind:     hidden_block_count_z
      - .offset:         1300
        .size:           2
        .value_kind:     hidden_group_size_x
      - .offset:         1302
        .size:           2
        .value_kind:     hidden_group_size_y
      - .offset:         1304
        .size:           2
        .value_kind:     hidden_group_size_z
      - .offset:         1306
        .size:           2
        .value_kind:     hidden_remainder_x
      - .offset:         1308
        .size:           2
        .value_kind:     hidden_remainder_y
      - .offset:         1310
        .size:           2
        .value_kind:     hidden_remainder_z
      - .offset:         1328
        .size:           8
        .value_kind:     hidden_global_offset_x
      - .offset:         1336
        .size:           8
        .value_kind:     hidden_global_offset_y
      - .offset:         1344
        .size:           8
        .value_kind:     hidden_global_offset_z
      - .offset:         1352
        .size:           2
        .value_kind:     hidden_grid_dims
      - .offset:         1408
        .size:           4
        .value_kind:     hidden_dynamic_lds_size
    .group_segment_fixed_size: 0
    .kernarg_segment_align: 8
    .kernarg_segment_size: 1544
    .language:       OpenCL C
    .language_version:
      - 2
      - 0
    .max_flat_workgroup_size: 512
    .name:           _ZN2at4cuda17kernelHistogram1DIlalLi1ELi2ELin1ELNS0_23CUDAHistogramMemoryTypeE0EZNS0_21CUDA_tensor_histogramIlaLb0EEEbNS_6TensorES4_S4_lNS_14AccumulateTypeIT0_Lb1EE4typeES8_NS0_13TensorArgTypeES9_S9_EUllE0_EEvNS0_6detail10TensorInfoIT_T1_EESF_NSC_IKS6_SE_EElS8_S8_SE_T6_
    .private_segment_fixed_size: 0
    .sgpr_count:     55
    .sgpr_spill_count: 0
    .symbol:         _ZN2at4cuda17kernelHistogram1DIlalLi1ELi2ELin1ELNS0_23CUDAHistogramMemoryTypeE0EZNS0_21CUDA_tensor_histogramIlaLb0EEEbNS_6TensorES4_S4_lNS_14AccumulateTypeIT0_Lb1EE4typeES8_NS0_13TensorArgTypeES9_S9_EUllE0_EEvNS0_6detail10TensorInfoIT_T1_EESF_NSC_IKS6_SE_EElS8_S8_SE_T6_.kd
    .uniform_work_group_size: 1
    .uses_dynamic_stack: false
    .vgpr_count:     32
    .vgpr_spill_count: 0
    .wavefront_size: 32
  - .args:
      - .offset:         0
        .size:           416
        .value_kind:     by_value
      - .offset:         416
        .size:           416
        .value_kind:     by_value
      - .offset:         832
        .size:           416
        .value_kind:     by_value
      - .offset:         1248
        .size:           8
        .value_kind:     by_value
      - .offset:         1256
        .size:           8
        .value_kind:     by_value
      - .offset:         1264
        .size:           8
        .value_kind:     by_value
      - .offset:         1272
        .size:           8
        .value_kind:     by_value
      - .offset:         1280
        .size:           1
        .value_kind:     by_value
      - .offset:         1288
        .size:           4
        .value_kind:     hidden_block_count_x
      - .offset:         1292
        .size:           4
        .value_kind:     hidden_block_count_y
      - .offset:         1296
        .size:           4
        .value_kind:     hidden_block_count_z
      - .offset:         1300
        .size:           2
        .value_kind:     hidden_group_size_x
      - .offset:         1302
        .size:           2
        .value_kind:     hidden_group_size_y
      - .offset:         1304
        .size:           2
        .value_kind:     hidden_group_size_z
      - .offset:         1306
        .size:           2
        .value_kind:     hidden_remainder_x
      - .offset:         1308
        .size:           2
        .value_kind:     hidden_remainder_y
      - .offset:         1310
        .size:           2
        .value_kind:     hidden_remainder_z
      - .offset:         1328
        .size:           8
        .value_kind:     hidden_global_offset_x
      - .offset:         1336
        .size:           8
        .value_kind:     hidden_global_offset_y
      - .offset:         1344
        .size:           8
        .value_kind:     hidden_global_offset_z
      - .offset:         1352
        .size:           2
        .value_kind:     hidden_grid_dims
    .group_segment_fixed_size: 0
    .kernarg_segment_align: 8
    .kernarg_segment_size: 1544
    .language:       OpenCL C
    .language_version:
      - 2
      - 0
    .max_flat_workgroup_size: 512
    .name:           _ZN2at4cuda17kernelHistogram1DIlalLi1ELi2ELin1ELNS0_23CUDAHistogramMemoryTypeE1EZNS0_21CUDA_tensor_histogramIlaLb0EEEbNS_6TensorES4_S4_lNS_14AccumulateTypeIT0_Lb1EE4typeES8_NS0_13TensorArgTypeES9_S9_EUllE0_EEvNS0_6detail10TensorInfoIT_T1_EESF_NSC_IKS6_SE_EElS8_S8_SE_T6_
    .private_segment_fixed_size: 0
    .sgpr_count:     53
    .sgpr_spill_count: 0
    .symbol:         _ZN2at4cuda17kernelHistogram1DIlalLi1ELi2ELin1ELNS0_23CUDAHistogramMemoryTypeE1EZNS0_21CUDA_tensor_histogramIlaLb0EEEbNS_6TensorES4_S4_lNS_14AccumulateTypeIT0_Lb1EE4typeES8_NS0_13TensorArgTypeES9_S9_EUllE0_EEvNS0_6detail10TensorInfoIT_T1_EESF_NSC_IKS6_SE_EElS8_S8_SE_T6_.kd
    .uniform_work_group_size: 1
    .uses_dynamic_stack: false
    .vgpr_count:     24
    .vgpr_spill_count: 0
    .wavefront_size: 32
  - .args:
      - .offset:         0
        .size:           416
        .value_kind:     by_value
      - .offset:         416
        .size:           416
        .value_kind:     by_value
      - .offset:         832
        .size:           416
        .value_kind:     by_value
      - .offset:         1248
        .size:           8
        .value_kind:     by_value
      - .offset:         1256
        .size:           8
        .value_kind:     by_value
      - .offset:         1264
        .size:           8
        .value_kind:     by_value
      - .offset:         1272
        .size:           8
        .value_kind:     by_value
      - .offset:         1280
        .size:           416
        .value_kind:     by_value
      - .offset:         1696
        .size:           4
        .value_kind:     hidden_block_count_x
      - .offset:         1700
        .size:           4
        .value_kind:     hidden_block_count_y
      - .offset:         1704
        .size:           4
        .value_kind:     hidden_block_count_z
      - .offset:         1708
        .size:           2
        .value_kind:     hidden_group_size_x
      - .offset:         1710
        .size:           2
        .value_kind:     hidden_group_size_y
      - .offset:         1712
        .size:           2
        .value_kind:     hidden_group_size_z
      - .offset:         1714
        .size:           2
        .value_kind:     hidden_remainder_x
      - .offset:         1716
        .size:           2
        .value_kind:     hidden_remainder_y
      - .offset:         1718
        .size:           2
        .value_kind:     hidden_remainder_z
      - .offset:         1736
        .size:           8
        .value_kind:     hidden_global_offset_x
      - .offset:         1744
        .size:           8
        .value_kind:     hidden_global_offset_y
      - .offset:         1752
        .size:           8
        .value_kind:     hidden_global_offset_z
      - .offset:         1760
        .size:           2
        .value_kind:     hidden_grid_dims
      - .offset:         1816
        .size:           4
        .value_kind:     hidden_dynamic_lds_size
    .group_segment_fixed_size: 0
    .kernarg_segment_align: 8
    .kernarg_segment_size: 1952
    .language:       OpenCL C
    .language_version:
      - 2
      - 0
    .max_flat_workgroup_size: 512
    .name:           _ZN2at4cuda17kernelHistogram1DIdalLi1ELi2ELin1ELNS0_23CUDAHistogramMemoryTypeE0EZNS0_21CUDA_tensor_histogramIdaLb1EEEbNS_6TensorES4_S4_lNS_14AccumulateTypeIT0_Lb1EE4typeES8_NS0_13TensorArgTypeES9_S9_EUllE_EEvNS0_6detail10TensorInfoIT_T1_EESF_NSC_IKS6_SE_EElS8_S8_SE_T6_
    .private_segment_fixed_size: 0
    .sgpr_count:     59
    .sgpr_spill_count: 0
    .symbol:         _ZN2at4cuda17kernelHistogram1DIdalLi1ELi2ELin1ELNS0_23CUDAHistogramMemoryTypeE0EZNS0_21CUDA_tensor_histogramIdaLb1EEEbNS_6TensorES4_S4_lNS_14AccumulateTypeIT0_Lb1EE4typeES8_NS0_13TensorArgTypeES9_S9_EUllE_EEvNS0_6detail10TensorInfoIT_T1_EESF_NSC_IKS6_SE_EElS8_S8_SE_T6_.kd
    .uniform_work_group_size: 1
    .uses_dynamic_stack: false
    .vgpr_count:     30
    .vgpr_spill_count: 0
    .wavefront_size: 32
  - .args:
      - .offset:         0
        .size:           416
        .value_kind:     by_value
      - .offset:         416
        .size:           416
        .value_kind:     by_value
      - .offset:         832
        .size:           416
        .value_kind:     by_value
      - .offset:         1248
        .size:           8
        .value_kind:     by_value
      - .offset:         1256
        .size:           8
        .value_kind:     by_value
      - .offset:         1264
        .size:           8
        .value_kind:     by_value
      - .offset:         1272
        .size:           8
        .value_kind:     by_value
      - .offset:         1280
        .size:           416
        .value_kind:     by_value
      - .offset:         1696
        .size:           4
        .value_kind:     hidden_block_count_x
      - .offset:         1700
        .size:           4
        .value_kind:     hidden_block_count_y
      - .offset:         1704
        .size:           4
        .value_kind:     hidden_block_count_z
      - .offset:         1708
        .size:           2
        .value_kind:     hidden_group_size_x
      - .offset:         1710
        .size:           2
        .value_kind:     hidden_group_size_y
      - .offset:         1712
        .size:           2
        .value_kind:     hidden_group_size_z
      - .offset:         1714
        .size:           2
        .value_kind:     hidden_remainder_x
      - .offset:         1716
        .size:           2
        .value_kind:     hidden_remainder_y
      - .offset:         1718
        .size:           2
        .value_kind:     hidden_remainder_z
      - .offset:         1736
        .size:           8
        .value_kind:     hidden_global_offset_x
      - .offset:         1744
        .size:           8
        .value_kind:     hidden_global_offset_y
      - .offset:         1752
        .size:           8
        .value_kind:     hidden_global_offset_z
      - .offset:         1760
        .size:           2
        .value_kind:     hidden_grid_dims
    .group_segment_fixed_size: 0
    .kernarg_segment_align: 8
    .kernarg_segment_size: 1952
    .language:       OpenCL C
    .language_version:
      - 2
      - 0
    .max_flat_workgroup_size: 512
    .name:           _ZN2at4cuda17kernelHistogram1DIdalLi1ELi2ELin1ELNS0_23CUDAHistogramMemoryTypeE1EZNS0_21CUDA_tensor_histogramIdaLb1EEEbNS_6TensorES4_S4_lNS_14AccumulateTypeIT0_Lb1EE4typeES8_NS0_13TensorArgTypeES9_S9_EUllE_EEvNS0_6detail10TensorInfoIT_T1_EESF_NSC_IKS6_SE_EElS8_S8_SE_T6_
    .private_segment_fixed_size: 0
    .sgpr_count:     57
    .sgpr_spill_count: 0
    .symbol:         _ZN2at4cuda17kernelHistogram1DIdalLi1ELi2ELin1ELNS0_23CUDAHistogramMemoryTypeE1EZNS0_21CUDA_tensor_histogramIdaLb1EEEbNS_6TensorES4_S4_lNS_14AccumulateTypeIT0_Lb1EE4typeES8_NS0_13TensorArgTypeES9_S9_EUllE_EEvNS0_6detail10TensorInfoIT_T1_EESF_NSC_IKS6_SE_EElS8_S8_SE_T6_.kd
    .uniform_work_group_size: 1
    .uses_dynamic_stack: false
    .vgpr_count:     22
    .vgpr_spill_count: 0
    .wavefront_size: 32
  - .args:
      - .offset:         0
        .size:           416
        .value_kind:     by_value
      - .offset:         416
        .size:           416
        .value_kind:     by_value
      - .offset:         832
        .size:           416
        .value_kind:     by_value
      - .offset:         1248
        .size:           8
        .value_kind:     by_value
      - .offset:         1256
        .size:           8
        .value_kind:     by_value
      - .offset:         1264
        .size:           8
        .value_kind:     by_value
      - .offset:         1272
        .size:           8
        .value_kind:     by_value
      - .offset:         1280
        .size:           1
        .value_kind:     by_value
      - .offset:         1288
        .size:           4
        .value_kind:     hidden_block_count_x
      - .offset:         1292
        .size:           4
        .value_kind:     hidden_block_count_y
      - .offset:         1296
        .size:           4
        .value_kind:     hidden_block_count_z
      - .offset:         1300
        .size:           2
        .value_kind:     hidden_group_size_x
      - .offset:         1302
        .size:           2
        .value_kind:     hidden_group_size_y
      - .offset:         1304
        .size:           2
        .value_kind:     hidden_group_size_z
      - .offset:         1306
        .size:           2
        .value_kind:     hidden_remainder_x
      - .offset:         1308
        .size:           2
        .value_kind:     hidden_remainder_y
      - .offset:         1310
        .size:           2
        .value_kind:     hidden_remainder_z
      - .offset:         1328
        .size:           8
        .value_kind:     hidden_global_offset_x
      - .offset:         1336
        .size:           8
        .value_kind:     hidden_global_offset_y
      - .offset:         1344
        .size:           8
        .value_kind:     hidden_global_offset_z
      - .offset:         1352
        .size:           2
        .value_kind:     hidden_grid_dims
      - .offset:         1408
        .size:           4
        .value_kind:     hidden_dynamic_lds_size
    .group_segment_fixed_size: 0
    .kernarg_segment_align: 8
    .kernarg_segment_size: 1544
    .language:       OpenCL C
    .language_version:
      - 2
      - 0
    .max_flat_workgroup_size: 512
    .name:           _ZN2at4cuda17kernelHistogram1DIdalLi1ELi2ELin1ELNS0_23CUDAHistogramMemoryTypeE0EZNS0_21CUDA_tensor_histogramIdaLb1EEEbNS_6TensorES4_S4_lNS_14AccumulateTypeIT0_Lb1EE4typeES8_NS0_13TensorArgTypeES9_S9_EUllE0_EEvNS0_6detail10TensorInfoIT_T1_EESF_NSC_IKS6_SE_EElS8_S8_SE_T6_
    .private_segment_fixed_size: 0
    .sgpr_count:     55
    .sgpr_spill_count: 0
    .symbol:         _ZN2at4cuda17kernelHistogram1DIdalLi1ELi2ELin1ELNS0_23CUDAHistogramMemoryTypeE0EZNS0_21CUDA_tensor_histogramIdaLb1EEEbNS_6TensorES4_S4_lNS_14AccumulateTypeIT0_Lb1EE4typeES8_NS0_13TensorArgTypeES9_S9_EUllE0_EEvNS0_6detail10TensorInfoIT_T1_EESF_NSC_IKS6_SE_EElS8_S8_SE_T6_.kd
    .uniform_work_group_size: 1
    .uses_dynamic_stack: false
    .vgpr_count:     32
    .vgpr_spill_count: 0
    .wavefront_size: 32
  - .args:
      - .offset:         0
        .size:           416
        .value_kind:     by_value
      - .offset:         416
        .size:           416
        .value_kind:     by_value
      - .offset:         832
        .size:           416
        .value_kind:     by_value
      - .offset:         1248
        .size:           8
        .value_kind:     by_value
      - .offset:         1256
        .size:           8
        .value_kind:     by_value
      - .offset:         1264
        .size:           8
        .value_kind:     by_value
      - .offset:         1272
        .size:           8
        .value_kind:     by_value
      - .offset:         1280
        .size:           1
        .value_kind:     by_value
      - .offset:         1288
        .size:           4
        .value_kind:     hidden_block_count_x
      - .offset:         1292
        .size:           4
        .value_kind:     hidden_block_count_y
      - .offset:         1296
        .size:           4
        .value_kind:     hidden_block_count_z
      - .offset:         1300
        .size:           2
        .value_kind:     hidden_group_size_x
      - .offset:         1302
        .size:           2
        .value_kind:     hidden_group_size_y
      - .offset:         1304
        .size:           2
        .value_kind:     hidden_group_size_z
      - .offset:         1306
        .size:           2
        .value_kind:     hidden_remainder_x
      - .offset:         1308
        .size:           2
        .value_kind:     hidden_remainder_y
      - .offset:         1310
        .size:           2
        .value_kind:     hidden_remainder_z
      - .offset:         1328
        .size:           8
        .value_kind:     hidden_global_offset_x
      - .offset:         1336
        .size:           8
        .value_kind:     hidden_global_offset_y
      - .offset:         1344
        .size:           8
        .value_kind:     hidden_global_offset_z
      - .offset:         1352
        .size:           2
        .value_kind:     hidden_grid_dims
    .group_segment_fixed_size: 0
    .kernarg_segment_align: 8
    .kernarg_segment_size: 1544
    .language:       OpenCL C
    .language_version:
      - 2
      - 0
    .max_flat_workgroup_size: 512
    .name:           _ZN2at4cuda17kernelHistogram1DIdalLi1ELi2ELin1ELNS0_23CUDAHistogramMemoryTypeE1EZNS0_21CUDA_tensor_histogramIdaLb1EEEbNS_6TensorES4_S4_lNS_14AccumulateTypeIT0_Lb1EE4typeES8_NS0_13TensorArgTypeES9_S9_EUllE0_EEvNS0_6detail10TensorInfoIT_T1_EESF_NSC_IKS6_SE_EElS8_S8_SE_T6_
    .private_segment_fixed_size: 0
    .sgpr_count:     53
    .sgpr_spill_count: 0
    .symbol:         _ZN2at4cuda17kernelHistogram1DIdalLi1ELi2ELin1ELNS0_23CUDAHistogramMemoryTypeE1EZNS0_21CUDA_tensor_histogramIdaLb1EEEbNS_6TensorES4_S4_lNS_14AccumulateTypeIT0_Lb1EE4typeES8_NS0_13TensorArgTypeES9_S9_EUllE0_EEvNS0_6detail10TensorInfoIT_T1_EESF_NSC_IKS6_SE_EElS8_S8_SE_T6_.kd
    .uniform_work_group_size: 1
    .uses_dynamic_stack: false
    .vgpr_count:     24
    .vgpr_spill_count: 0
    .wavefront_size: 32
  - .args:
      - .offset:         0
        .size:           416
        .value_kind:     by_value
      - .offset:         416
        .size:           416
        .value_kind:     by_value
      - .offset:         832
        .size:           416
        .value_kind:     by_value
      - .offset:         1248
        .size:           8
        .value_kind:     by_value
      - .offset:         1256
        .size:           8
        .value_kind:     by_value
      - .offset:         1264
        .size:           8
        .value_kind:     by_value
      - .offset:         1272
        .size:           8
        .value_kind:     by_value
      - .offset:         1280
        .size:           416
        .value_kind:     by_value
      - .offset:         1696
        .size:           4
        .value_kind:     hidden_block_count_x
      - .offset:         1700
        .size:           4
        .value_kind:     hidden_block_count_y
      - .offset:         1704
        .size:           4
        .value_kind:     hidden_block_count_z
      - .offset:         1708
        .size:           2
        .value_kind:     hidden_group_size_x
      - .offset:         1710
        .size:           2
        .value_kind:     hidden_group_size_y
      - .offset:         1712
        .size:           2
        .value_kind:     hidden_group_size_z
      - .offset:         1714
        .size:           2
        .value_kind:     hidden_remainder_x
      - .offset:         1716
        .size:           2
        .value_kind:     hidden_remainder_y
      - .offset:         1718
        .size:           2
        .value_kind:     hidden_remainder_z
      - .offset:         1736
        .size:           8
        .value_kind:     hidden_global_offset_x
      - .offset:         1744
        .size:           8
        .value_kind:     hidden_global_offset_y
      - .offset:         1752
        .size:           8
        .value_kind:     hidden_global_offset_z
      - .offset:         1760
        .size:           2
        .value_kind:     hidden_grid_dims
      - .offset:         1816
        .size:           4
        .value_kind:     hidden_dynamic_lds_size
    .group_segment_fixed_size: 0
    .kernarg_segment_align: 8
    .kernarg_segment_size: 1952
    .language:       OpenCL C
    .language_version:
      - 2
      - 0
    .max_flat_workgroup_size: 512
    .name:           _ZN2at4cuda17kernelHistogram1DIfilLi1ELi2ELin1ELNS0_23CUDAHistogramMemoryTypeE0EZNS0_21CUDA_tensor_histogramIfiLb1EEEbNS_6TensorES4_S4_lNS_14AccumulateTypeIT0_Lb1EE4typeES8_NS0_13TensorArgTypeES9_S9_EUllE_EEvNS0_6detail10TensorInfoIT_T1_EESF_NSC_IKS6_SE_EElS8_S8_SE_T6_
    .private_segment_fixed_size: 0
    .sgpr_count:     59
    .sgpr_spill_count: 0
    .symbol:         _ZN2at4cuda17kernelHistogram1DIfilLi1ELi2ELin1ELNS0_23CUDAHistogramMemoryTypeE0EZNS0_21CUDA_tensor_histogramIfiLb1EEEbNS_6TensorES4_S4_lNS_14AccumulateTypeIT0_Lb1EE4typeES8_NS0_13TensorArgTypeES9_S9_EUllE_EEvNS0_6detail10TensorInfoIT_T1_EESF_NSC_IKS6_SE_EElS8_S8_SE_T6_.kd
    .uniform_work_group_size: 1
    .uses_dynamic_stack: false
    .vgpr_count:     28
    .vgpr_spill_count: 0
    .wavefront_size: 32
  - .args:
      - .offset:         0
        .size:           416
        .value_kind:     by_value
      - .offset:         416
        .size:           416
        .value_kind:     by_value
      - .offset:         832
        .size:           416
        .value_kind:     by_value
      - .offset:         1248
        .size:           8
        .value_kind:     by_value
      - .offset:         1256
        .size:           8
        .value_kind:     by_value
      - .offset:         1264
        .size:           8
        .value_kind:     by_value
      - .offset:         1272
        .size:           8
        .value_kind:     by_value
      - .offset:         1280
        .size:           416
        .value_kind:     by_value
      - .offset:         1696
        .size:           4
        .value_kind:     hidden_block_count_x
      - .offset:         1700
        .size:           4
        .value_kind:     hidden_block_count_y
      - .offset:         1704
        .size:           4
        .value_kind:     hidden_block_count_z
      - .offset:         1708
        .size:           2
        .value_kind:     hidden_group_size_x
      - .offset:         1710
        .size:           2
        .value_kind:     hidden_group_size_y
      - .offset:         1712
        .size:           2
        .value_kind:     hidden_group_size_z
      - .offset:         1714
        .size:           2
        .value_kind:     hidden_remainder_x
      - .offset:         1716
        .size:           2
        .value_kind:     hidden_remainder_y
      - .offset:         1718
        .size:           2
        .value_kind:     hidden_remainder_z
      - .offset:         1736
        .size:           8
        .value_kind:     hidden_global_offset_x
      - .offset:         1744
        .size:           8
        .value_kind:     hidden_global_offset_y
      - .offset:         1752
        .size:           8
        .value_kind:     hidden_global_offset_z
      - .offset:         1760
        .size:           2
        .value_kind:     hidden_grid_dims
    .group_segment_fixed_size: 0
    .kernarg_segment_align: 8
    .kernarg_segment_size: 1952
    .language:       OpenCL C
    .language_version:
      - 2
      - 0
    .max_flat_workgroup_size: 512
    .name:           _ZN2at4cuda17kernelHistogram1DIfilLi1ELi2ELin1ELNS0_23CUDAHistogramMemoryTypeE1EZNS0_21CUDA_tensor_histogramIfiLb1EEEbNS_6TensorES4_S4_lNS_14AccumulateTypeIT0_Lb1EE4typeES8_NS0_13TensorArgTypeES9_S9_EUllE_EEvNS0_6detail10TensorInfoIT_T1_EESF_NSC_IKS6_SE_EElS8_S8_SE_T6_
    .private_segment_fixed_size: 0
    .sgpr_count:     57
    .sgpr_spill_count: 0
    .symbol:         _ZN2at4cuda17kernelHistogram1DIfilLi1ELi2ELin1ELNS0_23CUDAHistogramMemoryTypeE1EZNS0_21CUDA_tensor_histogramIfiLb1EEEbNS_6TensorES4_S4_lNS_14AccumulateTypeIT0_Lb1EE4typeES8_NS0_13TensorArgTypeES9_S9_EUllE_EEvNS0_6detail10TensorInfoIT_T1_EESF_NSC_IKS6_SE_EElS8_S8_SE_T6_.kd
    .uniform_work_group_size: 1
    .uses_dynamic_stack: false
    .vgpr_count:     22
    .vgpr_spill_count: 0
    .wavefront_size: 32
  - .args:
      - .offset:         0
        .size:           416
        .value_kind:     by_value
      - .offset:         416
        .size:           416
        .value_kind:     by_value
      - .offset:         832
        .size:           416
        .value_kind:     by_value
      - .offset:         1248
        .size:           8
        .value_kind:     by_value
      - .offset:         1256
        .size:           8
        .value_kind:     by_value
      - .offset:         1264
        .size:           8
        .value_kind:     by_value
      - .offset:         1272
        .size:           8
        .value_kind:     by_value
      - .offset:         1280
        .size:           1
        .value_kind:     by_value
      - .offset:         1288
        .size:           4
        .value_kind:     hidden_block_count_x
      - .offset:         1292
        .size:           4
        .value_kind:     hidden_block_count_y
      - .offset:         1296
        .size:           4
        .value_kind:     hidden_block_count_z
      - .offset:         1300
        .size:           2
        .value_kind:     hidden_group_size_x
      - .offset:         1302
        .size:           2
        .value_kind:     hidden_group_size_y
      - .offset:         1304
        .size:           2
        .value_kind:     hidden_group_size_z
      - .offset:         1306
        .size:           2
        .value_kind:     hidden_remainder_x
      - .offset:         1308
        .size:           2
        .value_kind:     hidden_remainder_y
      - .offset:         1310
        .size:           2
        .value_kind:     hidden_remainder_z
      - .offset:         1328
        .size:           8
        .value_kind:     hidden_global_offset_x
      - .offset:         1336
        .size:           8
        .value_kind:     hidden_global_offset_y
      - .offset:         1344
        .size:           8
        .value_kind:     hidden_global_offset_z
      - .offset:         1352
        .size:           2
        .value_kind:     hidden_grid_dims
      - .offset:         1408
        .size:           4
        .value_kind:     hidden_dynamic_lds_size
    .group_segment_fixed_size: 0
    .kernarg_segment_align: 8
    .kernarg_segment_size: 1544
    .language:       OpenCL C
    .language_version:
      - 2
      - 0
    .max_flat_workgroup_size: 512
    .name:           _ZN2at4cuda17kernelHistogram1DIfilLi1ELi2ELin1ELNS0_23CUDAHistogramMemoryTypeE0EZNS0_21CUDA_tensor_histogramIfiLb1EEEbNS_6TensorES4_S4_lNS_14AccumulateTypeIT0_Lb1EE4typeES8_NS0_13TensorArgTypeES9_S9_EUllE0_EEvNS0_6detail10TensorInfoIT_T1_EESF_NSC_IKS6_SE_EElS8_S8_SE_T6_
    .private_segment_fixed_size: 0
    .sgpr_count:     55
    .sgpr_spill_count: 0
    .symbol:         _ZN2at4cuda17kernelHistogram1DIfilLi1ELi2ELin1ELNS0_23CUDAHistogramMemoryTypeE0EZNS0_21CUDA_tensor_histogramIfiLb1EEEbNS_6TensorES4_S4_lNS_14AccumulateTypeIT0_Lb1EE4typeES8_NS0_13TensorArgTypeES9_S9_EUllE0_EEvNS0_6detail10TensorInfoIT_T1_EESF_NSC_IKS6_SE_EElS8_S8_SE_T6_.kd
    .uniform_work_group_size: 1
    .uses_dynamic_stack: false
    .vgpr_count:     28
    .vgpr_spill_count: 0
    .wavefront_size: 32
  - .args:
      - .offset:         0
        .size:           416
        .value_kind:     by_value
      - .offset:         416
        .size:           416
        .value_kind:     by_value
      - .offset:         832
        .size:           416
        .value_kind:     by_value
      - .offset:         1248
        .size:           8
        .value_kind:     by_value
      - .offset:         1256
        .size:           8
        .value_kind:     by_value
      - .offset:         1264
        .size:           8
        .value_kind:     by_value
      - .offset:         1272
        .size:           8
        .value_kind:     by_value
      - .offset:         1280
        .size:           1
        .value_kind:     by_value
      - .offset:         1288
        .size:           4
        .value_kind:     hidden_block_count_x
      - .offset:         1292
        .size:           4
        .value_kind:     hidden_block_count_y
      - .offset:         1296
        .size:           4
        .value_kind:     hidden_block_count_z
      - .offset:         1300
        .size:           2
        .value_kind:     hidden_group_size_x
      - .offset:         1302
        .size:           2
        .value_kind:     hidden_group_size_y
      - .offset:         1304
        .size:           2
        .value_kind:     hidden_group_size_z
      - .offset:         1306
        .size:           2
        .value_kind:     hidden_remainder_x
      - .offset:         1308
        .size:           2
        .value_kind:     hidden_remainder_y
      - .offset:         1310
        .size:           2
        .value_kind:     hidden_remainder_z
      - .offset:         1328
        .size:           8
        .value_kind:     hidden_global_offset_x
      - .offset:         1336
        .size:           8
        .value_kind:     hidden_global_offset_y
      - .offset:         1344
        .size:           8
        .value_kind:     hidden_global_offset_z
      - .offset:         1352
        .size:           2
        .value_kind:     hidden_grid_dims
    .group_segment_fixed_size: 0
    .kernarg_segment_align: 8
    .kernarg_segment_size: 1544
    .language:       OpenCL C
    .language_version:
      - 2
      - 0
    .max_flat_workgroup_size: 512
    .name:           _ZN2at4cuda17kernelHistogram1DIfilLi1ELi2ELin1ELNS0_23CUDAHistogramMemoryTypeE1EZNS0_21CUDA_tensor_histogramIfiLb1EEEbNS_6TensorES4_S4_lNS_14AccumulateTypeIT0_Lb1EE4typeES8_NS0_13TensorArgTypeES9_S9_EUllE0_EEvNS0_6detail10TensorInfoIT_T1_EESF_NSC_IKS6_SE_EElS8_S8_SE_T6_
    .private_segment_fixed_size: 0
    .sgpr_count:     53
    .sgpr_spill_count: 0
    .symbol:         _ZN2at4cuda17kernelHistogram1DIfilLi1ELi2ELin1ELNS0_23CUDAHistogramMemoryTypeE1EZNS0_21CUDA_tensor_histogramIfiLb1EEEbNS_6TensorES4_S4_lNS_14AccumulateTypeIT0_Lb1EE4typeES8_NS0_13TensorArgTypeES9_S9_EUllE0_EEvNS0_6detail10TensorInfoIT_T1_EESF_NSC_IKS6_SE_EElS8_S8_SE_T6_.kd
    .uniform_work_group_size: 1
    .uses_dynamic_stack: false
    .vgpr_count:     24
    .vgpr_spill_count: 0
    .wavefront_size: 32
  - .args:
      - .offset:         0
        .size:           416
        .value_kind:     by_value
      - .offset:         416
        .size:           416
        .value_kind:     by_value
      - .offset:         832
        .size:           416
        .value_kind:     by_value
      - .offset:         1248
        .size:           8
        .value_kind:     by_value
      - .offset:         1256
        .size:           8
        .value_kind:     by_value
      - .offset:         1264
        .size:           8
        .value_kind:     by_value
      - .offset:         1272
        .size:           8
        .value_kind:     by_value
      - .offset:         1280
        .size:           416
        .value_kind:     by_value
      - .offset:         1696
        .size:           4
        .value_kind:     hidden_block_count_x
      - .offset:         1700
        .size:           4
        .value_kind:     hidden_block_count_y
      - .offset:         1704
        .size:           4
        .value_kind:     hidden_block_count_z
      - .offset:         1708
        .size:           2
        .value_kind:     hidden_group_size_x
      - .offset:         1710
        .size:           2
        .value_kind:     hidden_group_size_y
      - .offset:         1712
        .size:           2
        .value_kind:     hidden_group_size_z
      - .offset:         1714
        .size:           2
        .value_kind:     hidden_remainder_x
      - .offset:         1716
        .size:           2
        .value_kind:     hidden_remainder_y
      - .offset:         1718
        .size:           2
        .value_kind:     hidden_remainder_z
      - .offset:         1736
        .size:           8
        .value_kind:     hidden_global_offset_x
      - .offset:         1744
        .size:           8
        .value_kind:     hidden_global_offset_y
      - .offset:         1752
        .size:           8
        .value_kind:     hidden_global_offset_z
      - .offset:         1760
        .size:           2
        .value_kind:     hidden_grid_dims
      - .offset:         1816
        .size:           4
        .value_kind:     hidden_dynamic_lds_size
    .group_segment_fixed_size: 0
    .kernarg_segment_align: 8
    .kernarg_segment_size: 1952
    .language:       OpenCL C
    .language_version:
      - 2
      - 0
    .max_flat_workgroup_size: 512
    .name:           _ZN2at4cuda17kernelHistogram1DIlilLi1ELi2ELin1ELNS0_23CUDAHistogramMemoryTypeE0EZNS0_21CUDA_tensor_histogramIliLb0EEEbNS_6TensorES4_S4_lNS_14AccumulateTypeIT0_Lb1EE4typeES8_NS0_13TensorArgTypeES9_S9_EUllE_EEvNS0_6detail10TensorInfoIT_T1_EESF_NSC_IKS6_SE_EElS8_S8_SE_T6_
    .private_segment_fixed_size: 0
    .sgpr_count:     59
    .sgpr_spill_count: 0
    .symbol:         _ZN2at4cuda17kernelHistogram1DIlilLi1ELi2ELin1ELNS0_23CUDAHistogramMemoryTypeE0EZNS0_21CUDA_tensor_histogramIliLb0EEEbNS_6TensorES4_S4_lNS_14AccumulateTypeIT0_Lb1EE4typeES8_NS0_13TensorArgTypeES9_S9_EUllE_EEvNS0_6detail10TensorInfoIT_T1_EESF_NSC_IKS6_SE_EElS8_S8_SE_T6_.kd
    .uniform_work_group_size: 1
    .uses_dynamic_stack: false
    .vgpr_count:     30
    .vgpr_spill_count: 0
    .wavefront_size: 32
  - .args:
      - .offset:         0
        .size:           416
        .value_kind:     by_value
      - .offset:         416
        .size:           416
        .value_kind:     by_value
      - .offset:         832
        .size:           416
        .value_kind:     by_value
      - .offset:         1248
        .size:           8
        .value_kind:     by_value
      - .offset:         1256
        .size:           8
        .value_kind:     by_value
      - .offset:         1264
        .size:           8
        .value_kind:     by_value
      - .offset:         1272
        .size:           8
        .value_kind:     by_value
      - .offset:         1280
        .size:           416
        .value_kind:     by_value
      - .offset:         1696
        .size:           4
        .value_kind:     hidden_block_count_x
      - .offset:         1700
        .size:           4
        .value_kind:     hidden_block_count_y
      - .offset:         1704
        .size:           4
        .value_kind:     hidden_block_count_z
      - .offset:         1708
        .size:           2
        .value_kind:     hidden_group_size_x
      - .offset:         1710
        .size:           2
        .value_kind:     hidden_group_size_y
      - .offset:         1712
        .size:           2
        .value_kind:     hidden_group_size_z
      - .offset:         1714
        .size:           2
        .value_kind:     hidden_remainder_x
      - .offset:         1716
        .size:           2
        .value_kind:     hidden_remainder_y
      - .offset:         1718
        .size:           2
        .value_kind:     hidden_remainder_z
      - .offset:         1736
        .size:           8
        .value_kind:     hidden_global_offset_x
      - .offset:         1744
        .size:           8
        .value_kind:     hidden_global_offset_y
      - .offset:         1752
        .size:           8
        .value_kind:     hidden_global_offset_z
      - .offset:         1760
        .size:           2
        .value_kind:     hidden_grid_dims
    .group_segment_fixed_size: 0
    .kernarg_segment_align: 8
    .kernarg_segment_size: 1952
    .language:       OpenCL C
    .language_version:
      - 2
      - 0
    .max_flat_workgroup_size: 512
    .name:           _ZN2at4cuda17kernelHistogram1DIlilLi1ELi2ELin1ELNS0_23CUDAHistogramMemoryTypeE1EZNS0_21CUDA_tensor_histogramIliLb0EEEbNS_6TensorES4_S4_lNS_14AccumulateTypeIT0_Lb1EE4typeES8_NS0_13TensorArgTypeES9_S9_EUllE_EEvNS0_6detail10TensorInfoIT_T1_EESF_NSC_IKS6_SE_EElS8_S8_SE_T6_
    .private_segment_fixed_size: 0
    .sgpr_count:     57
    .sgpr_spill_count: 0
    .symbol:         _ZN2at4cuda17kernelHistogram1DIlilLi1ELi2ELin1ELNS0_23CUDAHistogramMemoryTypeE1EZNS0_21CUDA_tensor_histogramIliLb0EEEbNS_6TensorES4_S4_lNS_14AccumulateTypeIT0_Lb1EE4typeES8_NS0_13TensorArgTypeES9_S9_EUllE_EEvNS0_6detail10TensorInfoIT_T1_EESF_NSC_IKS6_SE_EElS8_S8_SE_T6_.kd
    .uniform_work_group_size: 1
    .uses_dynamic_stack: false
    .vgpr_count:     22
    .vgpr_spill_count: 0
    .wavefront_size: 32
  - .args:
      - .offset:         0
        .size:           416
        .value_kind:     by_value
      - .offset:         416
        .size:           416
        .value_kind:     by_value
      - .offset:         832
        .size:           416
        .value_kind:     by_value
      - .offset:         1248
        .size:           8
        .value_kind:     by_value
      - .offset:         1256
        .size:           8
        .value_kind:     by_value
      - .offset:         1264
        .size:           8
        .value_kind:     by_value
      - .offset:         1272
        .size:           8
        .value_kind:     by_value
      - .offset:         1280
        .size:           1
        .value_kind:     by_value
      - .offset:         1288
        .size:           4
        .value_kind:     hidden_block_count_x
      - .offset:         1292
        .size:           4
        .value_kind:     hidden_block_count_y
      - .offset:         1296
        .size:           4
        .value_kind:     hidden_block_count_z
      - .offset:         1300
        .size:           2
        .value_kind:     hidden_group_size_x
      - .offset:         1302
        .size:           2
        .value_kind:     hidden_group_size_y
      - .offset:         1304
        .size:           2
        .value_kind:     hidden_group_size_z
      - .offset:         1306
        .size:           2
        .value_kind:     hidden_remainder_x
      - .offset:         1308
        .size:           2
        .value_kind:     hidden_remainder_y
      - .offset:         1310
        .size:           2
        .value_kind:     hidden_remainder_z
      - .offset:         1328
        .size:           8
        .value_kind:     hidden_global_offset_x
      - .offset:         1336
        .size:           8
        .value_kind:     hidden_global_offset_y
      - .offset:         1344
        .size:           8
        .value_kind:     hidden_global_offset_z
      - .offset:         1352
        .size:           2
        .value_kind:     hidden_grid_dims
      - .offset:         1408
        .size:           4
        .value_kind:     hidden_dynamic_lds_size
    .group_segment_fixed_size: 0
    .kernarg_segment_align: 8
    .kernarg_segment_size: 1544
    .language:       OpenCL C
    .language_version:
      - 2
      - 0
    .max_flat_workgroup_size: 512
    .name:           _ZN2at4cuda17kernelHistogram1DIlilLi1ELi2ELin1ELNS0_23CUDAHistogramMemoryTypeE0EZNS0_21CUDA_tensor_histogramIliLb0EEEbNS_6TensorES4_S4_lNS_14AccumulateTypeIT0_Lb1EE4typeES8_NS0_13TensorArgTypeES9_S9_EUllE0_EEvNS0_6detail10TensorInfoIT_T1_EESF_NSC_IKS6_SE_EElS8_S8_SE_T6_
    .private_segment_fixed_size: 0
    .sgpr_count:     55
    .sgpr_spill_count: 0
    .symbol:         _ZN2at4cuda17kernelHistogram1DIlilLi1ELi2ELin1ELNS0_23CUDAHistogramMemoryTypeE0EZNS0_21CUDA_tensor_histogramIliLb0EEEbNS_6TensorES4_S4_lNS_14AccumulateTypeIT0_Lb1EE4typeES8_NS0_13TensorArgTypeES9_S9_EUllE0_EEvNS0_6detail10TensorInfoIT_T1_EESF_NSC_IKS6_SE_EElS8_S8_SE_T6_.kd
    .uniform_work_group_size: 1
    .uses_dynamic_stack: false
    .vgpr_count:     32
    .vgpr_spill_count: 0
    .wavefront_size: 32
  - .args:
      - .offset:         0
        .size:           416
        .value_kind:     by_value
      - .offset:         416
        .size:           416
        .value_kind:     by_value
      - .offset:         832
        .size:           416
        .value_kind:     by_value
      - .offset:         1248
        .size:           8
        .value_kind:     by_value
      - .offset:         1256
        .size:           8
        .value_kind:     by_value
      - .offset:         1264
        .size:           8
        .value_kind:     by_value
      - .offset:         1272
        .size:           8
        .value_kind:     by_value
      - .offset:         1280
        .size:           1
        .value_kind:     by_value
      - .offset:         1288
        .size:           4
        .value_kind:     hidden_block_count_x
      - .offset:         1292
        .size:           4
        .value_kind:     hidden_block_count_y
      - .offset:         1296
        .size:           4
        .value_kind:     hidden_block_count_z
      - .offset:         1300
        .size:           2
        .value_kind:     hidden_group_size_x
      - .offset:         1302
        .size:           2
        .value_kind:     hidden_group_size_y
      - .offset:         1304
        .size:           2
        .value_kind:     hidden_group_size_z
      - .offset:         1306
        .size:           2
        .value_kind:     hidden_remainder_x
      - .offset:         1308
        .size:           2
        .value_kind:     hidden_remainder_y
      - .offset:         1310
        .size:           2
        .value_kind:     hidden_remainder_z
      - .offset:         1328
        .size:           8
        .value_kind:     hidden_global_offset_x
      - .offset:         1336
        .size:           8
        .value_kind:     hidden_global_offset_y
      - .offset:         1344
        .size:           8
        .value_kind:     hidden_global_offset_z
      - .offset:         1352
        .size:           2
        .value_kind:     hidden_grid_dims
    .group_segment_fixed_size: 0
    .kernarg_segment_align: 8
    .kernarg_segment_size: 1544
    .language:       OpenCL C
    .language_version:
      - 2
      - 0
    .max_flat_workgroup_size: 512
    .name:           _ZN2at4cuda17kernelHistogram1DIlilLi1ELi2ELin1ELNS0_23CUDAHistogramMemoryTypeE1EZNS0_21CUDA_tensor_histogramIliLb0EEEbNS_6TensorES4_S4_lNS_14AccumulateTypeIT0_Lb1EE4typeES8_NS0_13TensorArgTypeES9_S9_EUllE0_EEvNS0_6detail10TensorInfoIT_T1_EESF_NSC_IKS6_SE_EElS8_S8_SE_T6_
    .private_segment_fixed_size: 0
    .sgpr_count:     53
    .sgpr_spill_count: 0
    .symbol:         _ZN2at4cuda17kernelHistogram1DIlilLi1ELi2ELin1ELNS0_23CUDAHistogramMemoryTypeE1EZNS0_21CUDA_tensor_histogramIliLb0EEEbNS_6TensorES4_S4_lNS_14AccumulateTypeIT0_Lb1EE4typeES8_NS0_13TensorArgTypeES9_S9_EUllE0_EEvNS0_6detail10TensorInfoIT_T1_EESF_NSC_IKS6_SE_EElS8_S8_SE_T6_.kd
    .uniform_work_group_size: 1
    .uses_dynamic_stack: false
    .vgpr_count:     24
    .vgpr_spill_count: 0
    .wavefront_size: 32
  - .args:
      - .offset:         0
        .size:           416
        .value_kind:     by_value
      - .offset:         416
        .size:           416
        .value_kind:     by_value
      - .offset:         832
        .size:           416
        .value_kind:     by_value
      - .offset:         1248
        .size:           8
        .value_kind:     by_value
      - .offset:         1256
        .size:           8
        .value_kind:     by_value
      - .offset:         1264
        .size:           8
        .value_kind:     by_value
      - .offset:         1272
        .size:           8
        .value_kind:     by_value
      - .offset:         1280
        .size:           416
        .value_kind:     by_value
      - .offset:         1696
        .size:           4
        .value_kind:     hidden_block_count_x
      - .offset:         1700
        .size:           4
        .value_kind:     hidden_block_count_y
      - .offset:         1704
        .size:           4
        .value_kind:     hidden_block_count_z
      - .offset:         1708
        .size:           2
        .value_kind:     hidden_group_size_x
      - .offset:         1710
        .size:           2
        .value_kind:     hidden_group_size_y
      - .offset:         1712
        .size:           2
        .value_kind:     hidden_group_size_z
      - .offset:         1714
        .size:           2
        .value_kind:     hidden_remainder_x
      - .offset:         1716
        .size:           2
        .value_kind:     hidden_remainder_y
      - .offset:         1718
        .size:           2
        .value_kind:     hidden_remainder_z
      - .offset:         1736
        .size:           8
        .value_kind:     hidden_global_offset_x
      - .offset:         1744
        .size:           8
        .value_kind:     hidden_global_offset_y
      - .offset:         1752
        .size:           8
        .value_kind:     hidden_global_offset_z
      - .offset:         1760
        .size:           2
        .value_kind:     hidden_grid_dims
      - .offset:         1816
        .size:           4
        .value_kind:     hidden_dynamic_lds_size
    .group_segment_fixed_size: 0
    .kernarg_segment_align: 8
    .kernarg_segment_size: 1952
    .language:       OpenCL C
    .language_version:
      - 2
      - 0
    .max_flat_workgroup_size: 512
    .name:           _ZN2at4cuda17kernelHistogram1DIdilLi1ELi2ELin1ELNS0_23CUDAHistogramMemoryTypeE0EZNS0_21CUDA_tensor_histogramIdiLb1EEEbNS_6TensorES4_S4_lNS_14AccumulateTypeIT0_Lb1EE4typeES8_NS0_13TensorArgTypeES9_S9_EUllE_EEvNS0_6detail10TensorInfoIT_T1_EESF_NSC_IKS6_SE_EElS8_S8_SE_T6_
    .private_segment_fixed_size: 0
    .sgpr_count:     59
    .sgpr_spill_count: 0
    .symbol:         _ZN2at4cuda17kernelHistogram1DIdilLi1ELi2ELin1ELNS0_23CUDAHistogramMemoryTypeE0EZNS0_21CUDA_tensor_histogramIdiLb1EEEbNS_6TensorES4_S4_lNS_14AccumulateTypeIT0_Lb1EE4typeES8_NS0_13TensorArgTypeES9_S9_EUllE_EEvNS0_6detail10TensorInfoIT_T1_EESF_NSC_IKS6_SE_EElS8_S8_SE_T6_.kd
    .uniform_work_group_size: 1
    .uses_dynamic_stack: false
    .vgpr_count:     30
    .vgpr_spill_count: 0
    .wavefront_size: 32
  - .args:
      - .offset:         0
        .size:           416
        .value_kind:     by_value
      - .offset:         416
        .size:           416
        .value_kind:     by_value
      - .offset:         832
        .size:           416
        .value_kind:     by_value
      - .offset:         1248
        .size:           8
        .value_kind:     by_value
      - .offset:         1256
        .size:           8
        .value_kind:     by_value
      - .offset:         1264
        .size:           8
        .value_kind:     by_value
      - .offset:         1272
        .size:           8
        .value_kind:     by_value
      - .offset:         1280
        .size:           416
        .value_kind:     by_value
      - .offset:         1696
        .size:           4
        .value_kind:     hidden_block_count_x
      - .offset:         1700
        .size:           4
        .value_kind:     hidden_block_count_y
      - .offset:         1704
        .size:           4
        .value_kind:     hidden_block_count_z
      - .offset:         1708
        .size:           2
        .value_kind:     hidden_group_size_x
      - .offset:         1710
        .size:           2
        .value_kind:     hidden_group_size_y
      - .offset:         1712
        .size:           2
        .value_kind:     hidden_group_size_z
      - .offset:         1714
        .size:           2
        .value_kind:     hidden_remainder_x
      - .offset:         1716
        .size:           2
        .value_kind:     hidden_remainder_y
      - .offset:         1718
        .size:           2
        .value_kind:     hidden_remainder_z
      - .offset:         1736
        .size:           8
        .value_kind:     hidden_global_offset_x
      - .offset:         1744
        .size:           8
        .value_kind:     hidden_global_offset_y
      - .offset:         1752
        .size:           8
        .value_kind:     hidden_global_offset_z
      - .offset:         1760
        .size:           2
        .value_kind:     hidden_grid_dims
    .group_segment_fixed_size: 0
    .kernarg_segment_align: 8
    .kernarg_segment_size: 1952
    .language:       OpenCL C
    .language_version:
      - 2
      - 0
    .max_flat_workgroup_size: 512
    .name:           _ZN2at4cuda17kernelHistogram1DIdilLi1ELi2ELin1ELNS0_23CUDAHistogramMemoryTypeE1EZNS0_21CUDA_tensor_histogramIdiLb1EEEbNS_6TensorES4_S4_lNS_14AccumulateTypeIT0_Lb1EE4typeES8_NS0_13TensorArgTypeES9_S9_EUllE_EEvNS0_6detail10TensorInfoIT_T1_EESF_NSC_IKS6_SE_EElS8_S8_SE_T6_
    .private_segment_fixed_size: 0
    .sgpr_count:     57
    .sgpr_spill_count: 0
    .symbol:         _ZN2at4cuda17kernelHistogram1DIdilLi1ELi2ELin1ELNS0_23CUDAHistogramMemoryTypeE1EZNS0_21CUDA_tensor_histogramIdiLb1EEEbNS_6TensorES4_S4_lNS_14AccumulateTypeIT0_Lb1EE4typeES8_NS0_13TensorArgTypeES9_S9_EUllE_EEvNS0_6detail10TensorInfoIT_T1_EESF_NSC_IKS6_SE_EElS8_S8_SE_T6_.kd
    .uniform_work_group_size: 1
    .uses_dynamic_stack: false
    .vgpr_count:     22
    .vgpr_spill_count: 0
    .wavefront_size: 32
  - .args:
      - .offset:         0
        .size:           416
        .value_kind:     by_value
      - .offset:         416
        .size:           416
        .value_kind:     by_value
      - .offset:         832
        .size:           416
        .value_kind:     by_value
      - .offset:         1248
        .size:           8
        .value_kind:     by_value
      - .offset:         1256
        .size:           8
        .value_kind:     by_value
      - .offset:         1264
        .size:           8
        .value_kind:     by_value
      - .offset:         1272
        .size:           8
        .value_kind:     by_value
      - .offset:         1280
        .size:           1
        .value_kind:     by_value
      - .offset:         1288
        .size:           4
        .value_kind:     hidden_block_count_x
      - .offset:         1292
        .size:           4
        .value_kind:     hidden_block_count_y
      - .offset:         1296
        .size:           4
        .value_kind:     hidden_block_count_z
      - .offset:         1300
        .size:           2
        .value_kind:     hidden_group_size_x
      - .offset:         1302
        .size:           2
        .value_kind:     hidden_group_size_y
      - .offset:         1304
        .size:           2
        .value_kind:     hidden_group_size_z
      - .offset:         1306
        .size:           2
        .value_kind:     hidden_remainder_x
      - .offset:         1308
        .size:           2
        .value_kind:     hidden_remainder_y
      - .offset:         1310
        .size:           2
        .value_kind:     hidden_remainder_z
      - .offset:         1328
        .size:           8
        .value_kind:     hidden_global_offset_x
      - .offset:         1336
        .size:           8
        .value_kind:     hidden_global_offset_y
      - .offset:         1344
        .size:           8
        .value_kind:     hidden_global_offset_z
      - .offset:         1352
        .size:           2
        .value_kind:     hidden_grid_dims
      - .offset:         1408
        .size:           4
        .value_kind:     hidden_dynamic_lds_size
    .group_segment_fixed_size: 0
    .kernarg_segment_align: 8
    .kernarg_segment_size: 1544
    .language:       OpenCL C
    .language_version:
      - 2
      - 0
    .max_flat_workgroup_size: 512
    .name:           _ZN2at4cuda17kernelHistogram1DIdilLi1ELi2ELin1ELNS0_23CUDAHistogramMemoryTypeE0EZNS0_21CUDA_tensor_histogramIdiLb1EEEbNS_6TensorES4_S4_lNS_14AccumulateTypeIT0_Lb1EE4typeES8_NS0_13TensorArgTypeES9_S9_EUllE0_EEvNS0_6detail10TensorInfoIT_T1_EESF_NSC_IKS6_SE_EElS8_S8_SE_T6_
    .private_segment_fixed_size: 0
    .sgpr_count:     55
    .sgpr_spill_count: 0
    .symbol:         _ZN2at4cuda17kernelHistogram1DIdilLi1ELi2ELin1ELNS0_23CUDAHistogramMemoryTypeE0EZNS0_21CUDA_tensor_histogramIdiLb1EEEbNS_6TensorES4_S4_lNS_14AccumulateTypeIT0_Lb1EE4typeES8_NS0_13TensorArgTypeES9_S9_EUllE0_EEvNS0_6detail10TensorInfoIT_T1_EESF_NSC_IKS6_SE_EElS8_S8_SE_T6_.kd
    .uniform_work_group_size: 1
    .uses_dynamic_stack: false
    .vgpr_count:     32
    .vgpr_spill_count: 0
    .wavefront_size: 32
  - .args:
      - .offset:         0
        .size:           416
        .value_kind:     by_value
      - .offset:         416
        .size:           416
        .value_kind:     by_value
      - .offset:         832
        .size:           416
        .value_kind:     by_value
      - .offset:         1248
        .size:           8
        .value_kind:     by_value
      - .offset:         1256
        .size:           8
        .value_kind:     by_value
      - .offset:         1264
        .size:           8
        .value_kind:     by_value
      - .offset:         1272
        .size:           8
        .value_kind:     by_value
      - .offset:         1280
        .size:           1
        .value_kind:     by_value
      - .offset:         1288
        .size:           4
        .value_kind:     hidden_block_count_x
      - .offset:         1292
        .size:           4
        .value_kind:     hidden_block_count_y
      - .offset:         1296
        .size:           4
        .value_kind:     hidden_block_count_z
      - .offset:         1300
        .size:           2
        .value_kind:     hidden_group_size_x
      - .offset:         1302
        .size:           2
        .value_kind:     hidden_group_size_y
      - .offset:         1304
        .size:           2
        .value_kind:     hidden_group_size_z
      - .offset:         1306
        .size:           2
        .value_kind:     hidden_remainder_x
      - .offset:         1308
        .size:           2
        .value_kind:     hidden_remainder_y
      - .offset:         1310
        .size:           2
        .value_kind:     hidden_remainder_z
      - .offset:         1328
        .size:           8
        .value_kind:     hidden_global_offset_x
      - .offset:         1336
        .size:           8
        .value_kind:     hidden_global_offset_y
      - .offset:         1344
        .size:           8
        .value_kind:     hidden_global_offset_z
      - .offset:         1352
        .size:           2
        .value_kind:     hidden_grid_dims
    .group_segment_fixed_size: 0
    .kernarg_segment_align: 8
    .kernarg_segment_size: 1544
    .language:       OpenCL C
    .language_version:
      - 2
      - 0
    .max_flat_workgroup_size: 512
    .name:           _ZN2at4cuda17kernelHistogram1DIdilLi1ELi2ELin1ELNS0_23CUDAHistogramMemoryTypeE1EZNS0_21CUDA_tensor_histogramIdiLb1EEEbNS_6TensorES4_S4_lNS_14AccumulateTypeIT0_Lb1EE4typeES8_NS0_13TensorArgTypeES9_S9_EUllE0_EEvNS0_6detail10TensorInfoIT_T1_EESF_NSC_IKS6_SE_EElS8_S8_SE_T6_
    .private_segment_fixed_size: 0
    .sgpr_count:     53
    .sgpr_spill_count: 0
    .symbol:         _ZN2at4cuda17kernelHistogram1DIdilLi1ELi2ELin1ELNS0_23CUDAHistogramMemoryTypeE1EZNS0_21CUDA_tensor_histogramIdiLb1EEEbNS_6TensorES4_S4_lNS_14AccumulateTypeIT0_Lb1EE4typeES8_NS0_13TensorArgTypeES9_S9_EUllE0_EEvNS0_6detail10TensorInfoIT_T1_EESF_NSC_IKS6_SE_EElS8_S8_SE_T6_.kd
    .uniform_work_group_size: 1
    .uses_dynamic_stack: false
    .vgpr_count:     24
    .vgpr_spill_count: 0
    .wavefront_size: 32
  - .args:
      - .offset:         0
        .size:           416
        .value_kind:     by_value
      - .offset:         416
        .size:           416
        .value_kind:     by_value
      - .offset:         832
        .size:           416
        .value_kind:     by_value
      - .offset:         1248
        .size:           8
        .value_kind:     by_value
      - .offset:         1256
        .size:           8
        .value_kind:     by_value
      - .offset:         1264
        .size:           8
        .value_kind:     by_value
      - .offset:         1272
        .size:           8
        .value_kind:     by_value
      - .offset:         1280
        .size:           416
        .value_kind:     by_value
      - .offset:         1696
        .size:           4
        .value_kind:     hidden_block_count_x
      - .offset:         1700
        .size:           4
        .value_kind:     hidden_block_count_y
      - .offset:         1704
        .size:           4
        .value_kind:     hidden_block_count_z
      - .offset:         1708
        .size:           2
        .value_kind:     hidden_group_size_x
      - .offset:         1710
        .size:           2
        .value_kind:     hidden_group_size_y
      - .offset:         1712
        .size:           2
        .value_kind:     hidden_group_size_z
      - .offset:         1714
        .size:           2
        .value_kind:     hidden_remainder_x
      - .offset:         1716
        .size:           2
        .value_kind:     hidden_remainder_y
      - .offset:         1718
        .size:           2
        .value_kind:     hidden_remainder_z
      - .offset:         1736
        .size:           8
        .value_kind:     hidden_global_offset_x
      - .offset:         1744
        .size:           8
        .value_kind:     hidden_global_offset_y
      - .offset:         1752
        .size:           8
        .value_kind:     hidden_global_offset_z
      - .offset:         1760
        .size:           2
        .value_kind:     hidden_grid_dims
      - .offset:         1816
        .size:           4
        .value_kind:     hidden_dynamic_lds_size
    .group_segment_fixed_size: 0
    .kernarg_segment_align: 8
    .kernarg_segment_size: 1952
    .language:       OpenCL C
    .language_version:
      - 2
      - 0
    .max_flat_workgroup_size: 512
    .name:           _ZN2at4cuda17kernelHistogram1DIfllLi1ELi2ELin1ELNS0_23CUDAHistogramMemoryTypeE0EZNS0_21CUDA_tensor_histogramIflLb1EEEbNS_6TensorES4_S4_lNS_14AccumulateTypeIT0_Lb1EE4typeES8_NS0_13TensorArgTypeES9_S9_EUllE_EEvNS0_6detail10TensorInfoIT_T1_EESF_NSC_IKS6_SE_EElS8_S8_SE_T6_
    .private_segment_fixed_size: 0
    .sgpr_count:     59
    .sgpr_spill_count: 0
    .symbol:         _ZN2at4cuda17kernelHistogram1DIfllLi1ELi2ELin1ELNS0_23CUDAHistogramMemoryTypeE0EZNS0_21CUDA_tensor_histogramIflLb1EEEbNS_6TensorES4_S4_lNS_14AccumulateTypeIT0_Lb1EE4typeES8_NS0_13TensorArgTypeES9_S9_EUllE_EEvNS0_6detail10TensorInfoIT_T1_EESF_NSC_IKS6_SE_EElS8_S8_SE_T6_.kd
    .uniform_work_group_size: 1
    .uses_dynamic_stack: false
    .vgpr_count:     28
    .vgpr_spill_count: 0
    .wavefront_size: 32
  - .args:
      - .offset:         0
        .size:           416
        .value_kind:     by_value
      - .offset:         416
        .size:           416
        .value_kind:     by_value
      - .offset:         832
        .size:           416
        .value_kind:     by_value
      - .offset:         1248
        .size:           8
        .value_kind:     by_value
      - .offset:         1256
        .size:           8
        .value_kind:     by_value
      - .offset:         1264
        .size:           8
        .value_kind:     by_value
      - .offset:         1272
        .size:           8
        .value_kind:     by_value
      - .offset:         1280
        .size:           416
        .value_kind:     by_value
      - .offset:         1696
        .size:           4
        .value_kind:     hidden_block_count_x
      - .offset:         1700
        .size:           4
        .value_kind:     hidden_block_count_y
      - .offset:         1704
        .size:           4
        .value_kind:     hidden_block_count_z
      - .offset:         1708
        .size:           2
        .value_kind:     hidden_group_size_x
      - .offset:         1710
        .size:           2
        .value_kind:     hidden_group_size_y
      - .offset:         1712
        .size:           2
        .value_kind:     hidden_group_size_z
      - .offset:         1714
        .size:           2
        .value_kind:     hidden_remainder_x
      - .offset:         1716
        .size:           2
        .value_kind:     hidden_remainder_y
      - .offset:         1718
        .size:           2
        .value_kind:     hidden_remainder_z
      - .offset:         1736
        .size:           8
        .value_kind:     hidden_global_offset_x
      - .offset:         1744
        .size:           8
        .value_kind:     hidden_global_offset_y
      - .offset:         1752
        .size:           8
        .value_kind:     hidden_global_offset_z
      - .offset:         1760
        .size:           2
        .value_kind:     hidden_grid_dims
    .group_segment_fixed_size: 0
    .kernarg_segment_align: 8
    .kernarg_segment_size: 1952
    .language:       OpenCL C
    .language_version:
      - 2
      - 0
    .max_flat_workgroup_size: 512
    .name:           _ZN2at4cuda17kernelHistogram1DIfllLi1ELi2ELin1ELNS0_23CUDAHistogramMemoryTypeE1EZNS0_21CUDA_tensor_histogramIflLb1EEEbNS_6TensorES4_S4_lNS_14AccumulateTypeIT0_Lb1EE4typeES8_NS0_13TensorArgTypeES9_S9_EUllE_EEvNS0_6detail10TensorInfoIT_T1_EESF_NSC_IKS6_SE_EElS8_S8_SE_T6_
    .private_segment_fixed_size: 0
    .sgpr_count:     57
    .sgpr_spill_count: 0
    .symbol:         _ZN2at4cuda17kernelHistogram1DIfllLi1ELi2ELin1ELNS0_23CUDAHistogramMemoryTypeE1EZNS0_21CUDA_tensor_histogramIflLb1EEEbNS_6TensorES4_S4_lNS_14AccumulateTypeIT0_Lb1EE4typeES8_NS0_13TensorArgTypeES9_S9_EUllE_EEvNS0_6detail10TensorInfoIT_T1_EESF_NSC_IKS6_SE_EElS8_S8_SE_T6_.kd
    .uniform_work_group_size: 1
    .uses_dynamic_stack: false
    .vgpr_count:     22
    .vgpr_spill_count: 0
    .wavefront_size: 32
  - .args:
      - .offset:         0
        .size:           416
        .value_kind:     by_value
      - .offset:         416
        .size:           416
        .value_kind:     by_value
      - .offset:         832
        .size:           416
        .value_kind:     by_value
      - .offset:         1248
        .size:           8
        .value_kind:     by_value
      - .offset:         1256
        .size:           8
        .value_kind:     by_value
      - .offset:         1264
        .size:           8
        .value_kind:     by_value
      - .offset:         1272
        .size:           8
        .value_kind:     by_value
      - .offset:         1280
        .size:           1
        .value_kind:     by_value
      - .offset:         1288
        .size:           4
        .value_kind:     hidden_block_count_x
      - .offset:         1292
        .size:           4
        .value_kind:     hidden_block_count_y
      - .offset:         1296
        .size:           4
        .value_kind:     hidden_block_count_z
      - .offset:         1300
        .size:           2
        .value_kind:     hidden_group_size_x
      - .offset:         1302
        .size:           2
        .value_kind:     hidden_group_size_y
      - .offset:         1304
        .size:           2
        .value_kind:     hidden_group_size_z
      - .offset:         1306
        .size:           2
        .value_kind:     hidden_remainder_x
      - .offset:         1308
        .size:           2
        .value_kind:     hidden_remainder_y
      - .offset:         1310
        .size:           2
        .value_kind:     hidden_remainder_z
      - .offset:         1328
        .size:           8
        .value_kind:     hidden_global_offset_x
      - .offset:         1336
        .size:           8
        .value_kind:     hidden_global_offset_y
      - .offset:         1344
        .size:           8
        .value_kind:     hidden_global_offset_z
      - .offset:         1352
        .size:           2
        .value_kind:     hidden_grid_dims
      - .offset:         1408
        .size:           4
        .value_kind:     hidden_dynamic_lds_size
    .group_segment_fixed_size: 0
    .kernarg_segment_align: 8
    .kernarg_segment_size: 1544
    .language:       OpenCL C
    .language_version:
      - 2
      - 0
    .max_flat_workgroup_size: 512
    .name:           _ZN2at4cuda17kernelHistogram1DIfllLi1ELi2ELin1ELNS0_23CUDAHistogramMemoryTypeE0EZNS0_21CUDA_tensor_histogramIflLb1EEEbNS_6TensorES4_S4_lNS_14AccumulateTypeIT0_Lb1EE4typeES8_NS0_13TensorArgTypeES9_S9_EUllE0_EEvNS0_6detail10TensorInfoIT_T1_EESF_NSC_IKS6_SE_EElS8_S8_SE_T6_
    .private_segment_fixed_size: 0
    .sgpr_count:     55
    .sgpr_spill_count: 0
    .symbol:         _ZN2at4cuda17kernelHistogram1DIfllLi1ELi2ELin1ELNS0_23CUDAHistogramMemoryTypeE0EZNS0_21CUDA_tensor_histogramIflLb1EEEbNS_6TensorES4_S4_lNS_14AccumulateTypeIT0_Lb1EE4typeES8_NS0_13TensorArgTypeES9_S9_EUllE0_EEvNS0_6detail10TensorInfoIT_T1_EESF_NSC_IKS6_SE_EElS8_S8_SE_T6_.kd
    .uniform_work_group_size: 1
    .uses_dynamic_stack: false
    .vgpr_count:     28
    .vgpr_spill_count: 0
    .wavefront_size: 32
  - .args:
      - .offset:         0
        .size:           416
        .value_kind:     by_value
      - .offset:         416
        .size:           416
        .value_kind:     by_value
      - .offset:         832
        .size:           416
        .value_kind:     by_value
      - .offset:         1248
        .size:           8
        .value_kind:     by_value
      - .offset:         1256
        .size:           8
        .value_kind:     by_value
      - .offset:         1264
        .size:           8
        .value_kind:     by_value
      - .offset:         1272
        .size:           8
        .value_kind:     by_value
      - .offset:         1280
        .size:           1
        .value_kind:     by_value
      - .offset:         1288
        .size:           4
        .value_kind:     hidden_block_count_x
      - .offset:         1292
        .size:           4
        .value_kind:     hidden_block_count_y
      - .offset:         1296
        .size:           4
        .value_kind:     hidden_block_count_z
      - .offset:         1300
        .size:           2
        .value_kind:     hidden_group_size_x
      - .offset:         1302
        .size:           2
        .value_kind:     hidden_group_size_y
      - .offset:         1304
        .size:           2
        .value_kind:     hidden_group_size_z
      - .offset:         1306
        .size:           2
        .value_kind:     hidden_remainder_x
      - .offset:         1308
        .size:           2
        .value_kind:     hidden_remainder_y
      - .offset:         1310
        .size:           2
        .value_kind:     hidden_remainder_z
      - .offset:         1328
        .size:           8
        .value_kind:     hidden_global_offset_x
      - .offset:         1336
        .size:           8
        .value_kind:     hidden_global_offset_y
      - .offset:         1344
        .size:           8
        .value_kind:     hidden_global_offset_z
      - .offset:         1352
        .size:           2
        .value_kind:     hidden_grid_dims
    .group_segment_fixed_size: 0
    .kernarg_segment_align: 8
    .kernarg_segment_size: 1544
    .language:       OpenCL C
    .language_version:
      - 2
      - 0
    .max_flat_workgroup_size: 512
    .name:           _ZN2at4cuda17kernelHistogram1DIfllLi1ELi2ELin1ELNS0_23CUDAHistogramMemoryTypeE1EZNS0_21CUDA_tensor_histogramIflLb1EEEbNS_6TensorES4_S4_lNS_14AccumulateTypeIT0_Lb1EE4typeES8_NS0_13TensorArgTypeES9_S9_EUllE0_EEvNS0_6detail10TensorInfoIT_T1_EESF_NSC_IKS6_SE_EElS8_S8_SE_T6_
    .private_segment_fixed_size: 0
    .sgpr_count:     53
    .sgpr_spill_count: 0
    .symbol:         _ZN2at4cuda17kernelHistogram1DIfllLi1ELi2ELin1ELNS0_23CUDAHistogramMemoryTypeE1EZNS0_21CUDA_tensor_histogramIflLb1EEEbNS_6TensorES4_S4_lNS_14AccumulateTypeIT0_Lb1EE4typeES8_NS0_13TensorArgTypeES9_S9_EUllE0_EEvNS0_6detail10TensorInfoIT_T1_EESF_NSC_IKS6_SE_EElS8_S8_SE_T6_.kd
    .uniform_work_group_size: 1
    .uses_dynamic_stack: false
    .vgpr_count:     24
    .vgpr_spill_count: 0
    .wavefront_size: 32
  - .args:
      - .offset:         0
        .size:           416
        .value_kind:     by_value
      - .offset:         416
        .size:           416
        .value_kind:     by_value
      - .offset:         832
        .size:           416
        .value_kind:     by_value
      - .offset:         1248
        .size:           8
        .value_kind:     by_value
      - .offset:         1256
        .size:           8
        .value_kind:     by_value
      - .offset:         1264
        .size:           8
        .value_kind:     by_value
      - .offset:         1272
        .size:           8
        .value_kind:     by_value
      - .offset:         1280
        .size:           416
        .value_kind:     by_value
      - .offset:         1696
        .size:           4
        .value_kind:     hidden_block_count_x
      - .offset:         1700
        .size:           4
        .value_kind:     hidden_block_count_y
      - .offset:         1704
        .size:           4
        .value_kind:     hidden_block_count_z
      - .offset:         1708
        .size:           2
        .value_kind:     hidden_group_size_x
      - .offset:         1710
        .size:           2
        .value_kind:     hidden_group_size_y
      - .offset:         1712
        .size:           2
        .value_kind:     hidden_group_size_z
      - .offset:         1714
        .size:           2
        .value_kind:     hidden_remainder_x
      - .offset:         1716
        .size:           2
        .value_kind:     hidden_remainder_y
      - .offset:         1718
        .size:           2
        .value_kind:     hidden_remainder_z
      - .offset:         1736
        .size:           8
        .value_kind:     hidden_global_offset_x
      - .offset:         1744
        .size:           8
        .value_kind:     hidden_global_offset_y
      - .offset:         1752
        .size:           8
        .value_kind:     hidden_global_offset_z
      - .offset:         1760
        .size:           2
        .value_kind:     hidden_grid_dims
      - .offset:         1816
        .size:           4
        .value_kind:     hidden_dynamic_lds_size
    .group_segment_fixed_size: 0
    .kernarg_segment_align: 8
    .kernarg_segment_size: 1952
    .language:       OpenCL C
    .language_version:
      - 2
      - 0
    .max_flat_workgroup_size: 512
    .name:           _ZN2at4cuda17kernelHistogram1DIlllLi1ELi2ELin1ELNS0_23CUDAHistogramMemoryTypeE0EZNS0_21CUDA_tensor_histogramIllLb0EEEbNS_6TensorES4_S4_lNS_14AccumulateTypeIT0_Lb1EE4typeES8_NS0_13TensorArgTypeES9_S9_EUllE_EEvNS0_6detail10TensorInfoIT_T1_EESF_NSC_IKS6_SE_EElS8_S8_SE_T6_
    .private_segment_fixed_size: 0
    .sgpr_count:     59
    .sgpr_spill_count: 0
    .symbol:         _ZN2at4cuda17kernelHistogram1DIlllLi1ELi2ELin1ELNS0_23CUDAHistogramMemoryTypeE0EZNS0_21CUDA_tensor_histogramIllLb0EEEbNS_6TensorES4_S4_lNS_14AccumulateTypeIT0_Lb1EE4typeES8_NS0_13TensorArgTypeES9_S9_EUllE_EEvNS0_6detail10TensorInfoIT_T1_EESF_NSC_IKS6_SE_EElS8_S8_SE_T6_.kd
    .uniform_work_group_size: 1
    .uses_dynamic_stack: false
    .vgpr_count:     30
    .vgpr_spill_count: 0
    .wavefront_size: 32
  - .args:
      - .offset:         0
        .size:           416
        .value_kind:     by_value
      - .offset:         416
        .size:           416
        .value_kind:     by_value
      - .offset:         832
        .size:           416
        .value_kind:     by_value
      - .offset:         1248
        .size:           8
        .value_kind:     by_value
      - .offset:         1256
        .size:           8
        .value_kind:     by_value
      - .offset:         1264
        .size:           8
        .value_kind:     by_value
      - .offset:         1272
        .size:           8
        .value_kind:     by_value
      - .offset:         1280
        .size:           416
        .value_kind:     by_value
      - .offset:         1696
        .size:           4
        .value_kind:     hidden_block_count_x
      - .offset:         1700
        .size:           4
        .value_kind:     hidden_block_count_y
      - .offset:         1704
        .size:           4
        .value_kind:     hidden_block_count_z
      - .offset:         1708
        .size:           2
        .value_kind:     hidden_group_size_x
      - .offset:         1710
        .size:           2
        .value_kind:     hidden_group_size_y
      - .offset:         1712
        .size:           2
        .value_kind:     hidden_group_size_z
      - .offset:         1714
        .size:           2
        .value_kind:     hidden_remainder_x
      - .offset:         1716
        .size:           2
        .value_kind:     hidden_remainder_y
      - .offset:         1718
        .size:           2
        .value_kind:     hidden_remainder_z
      - .offset:         1736
        .size:           8
        .value_kind:     hidden_global_offset_x
      - .offset:         1744
        .size:           8
        .value_kind:     hidden_global_offset_y
      - .offset:         1752
        .size:           8
        .value_kind:     hidden_global_offset_z
      - .offset:         1760
        .size:           2
        .value_kind:     hidden_grid_dims
    .group_segment_fixed_size: 0
    .kernarg_segment_align: 8
    .kernarg_segment_size: 1952
    .language:       OpenCL C
    .language_version:
      - 2
      - 0
    .max_flat_workgroup_size: 512
    .name:           _ZN2at4cuda17kernelHistogram1DIlllLi1ELi2ELin1ELNS0_23CUDAHistogramMemoryTypeE1EZNS0_21CUDA_tensor_histogramIllLb0EEEbNS_6TensorES4_S4_lNS_14AccumulateTypeIT0_Lb1EE4typeES8_NS0_13TensorArgTypeES9_S9_EUllE_EEvNS0_6detail10TensorInfoIT_T1_EESF_NSC_IKS6_SE_EElS8_S8_SE_T6_
    .private_segment_fixed_size: 0
    .sgpr_count:     57
    .sgpr_spill_count: 0
    .symbol:         _ZN2at4cuda17kernelHistogram1DIlllLi1ELi2ELin1ELNS0_23CUDAHistogramMemoryTypeE1EZNS0_21CUDA_tensor_histogramIllLb0EEEbNS_6TensorES4_S4_lNS_14AccumulateTypeIT0_Lb1EE4typeES8_NS0_13TensorArgTypeES9_S9_EUllE_EEvNS0_6detail10TensorInfoIT_T1_EESF_NSC_IKS6_SE_EElS8_S8_SE_T6_.kd
    .uniform_work_group_size: 1
    .uses_dynamic_stack: false
    .vgpr_count:     22
    .vgpr_spill_count: 0
    .wavefront_size: 32
  - .args:
      - .offset:         0
        .size:           416
        .value_kind:     by_value
      - .offset:         416
        .size:           416
        .value_kind:     by_value
      - .offset:         832
        .size:           416
        .value_kind:     by_value
      - .offset:         1248
        .size:           8
        .value_kind:     by_value
      - .offset:         1256
        .size:           8
        .value_kind:     by_value
      - .offset:         1264
        .size:           8
        .value_kind:     by_value
      - .offset:         1272
        .size:           8
        .value_kind:     by_value
      - .offset:         1280
        .size:           1
        .value_kind:     by_value
      - .offset:         1288
        .size:           4
        .value_kind:     hidden_block_count_x
      - .offset:         1292
        .size:           4
        .value_kind:     hidden_block_count_y
      - .offset:         1296
        .size:           4
        .value_kind:     hidden_block_count_z
      - .offset:         1300
        .size:           2
        .value_kind:     hidden_group_size_x
      - .offset:         1302
        .size:           2
        .value_kind:     hidden_group_size_y
      - .offset:         1304
        .size:           2
        .value_kind:     hidden_group_size_z
      - .offset:         1306
        .size:           2
        .value_kind:     hidden_remainder_x
      - .offset:         1308
        .size:           2
        .value_kind:     hidden_remainder_y
      - .offset:         1310
        .size:           2
        .value_kind:     hidden_remainder_z
      - .offset:         1328
        .size:           8
        .value_kind:     hidden_global_offset_x
      - .offset:         1336
        .size:           8
        .value_kind:     hidden_global_offset_y
      - .offset:         1344
        .size:           8
        .value_kind:     hidden_global_offset_z
      - .offset:         1352
        .size:           2
        .value_kind:     hidden_grid_dims
      - .offset:         1408
        .size:           4
        .value_kind:     hidden_dynamic_lds_size
    .group_segment_fixed_size: 0
    .kernarg_segment_align: 8
    .kernarg_segment_size: 1544
    .language:       OpenCL C
    .language_version:
      - 2
      - 0
    .max_flat_workgroup_size: 512
    .name:           _ZN2at4cuda17kernelHistogram1DIlllLi1ELi2ELin1ELNS0_23CUDAHistogramMemoryTypeE0EZNS0_21CUDA_tensor_histogramIllLb0EEEbNS_6TensorES4_S4_lNS_14AccumulateTypeIT0_Lb1EE4typeES8_NS0_13TensorArgTypeES9_S9_EUllE0_EEvNS0_6detail10TensorInfoIT_T1_EESF_NSC_IKS6_SE_EElS8_S8_SE_T6_
    .private_segment_fixed_size: 0
    .sgpr_count:     55
    .sgpr_spill_count: 0
    .symbol:         _ZN2at4cuda17kernelHistogram1DIlllLi1ELi2ELin1ELNS0_23CUDAHistogramMemoryTypeE0EZNS0_21CUDA_tensor_histogramIllLb0EEEbNS_6TensorES4_S4_lNS_14AccumulateTypeIT0_Lb1EE4typeES8_NS0_13TensorArgTypeES9_S9_EUllE0_EEvNS0_6detail10TensorInfoIT_T1_EESF_NSC_IKS6_SE_EElS8_S8_SE_T6_.kd
    .uniform_work_group_size: 1
    .uses_dynamic_stack: false
    .vgpr_count:     32
    .vgpr_spill_count: 0
    .wavefront_size: 32
  - .args:
      - .offset:         0
        .size:           416
        .value_kind:     by_value
      - .offset:         416
        .size:           416
        .value_kind:     by_value
      - .offset:         832
        .size:           416
        .value_kind:     by_value
      - .offset:         1248
        .size:           8
        .value_kind:     by_value
      - .offset:         1256
        .size:           8
        .value_kind:     by_value
      - .offset:         1264
        .size:           8
        .value_kind:     by_value
      - .offset:         1272
        .size:           8
        .value_kind:     by_value
      - .offset:         1280
        .size:           1
        .value_kind:     by_value
      - .offset:         1288
        .size:           4
        .value_kind:     hidden_block_count_x
      - .offset:         1292
        .size:           4
        .value_kind:     hidden_block_count_y
      - .offset:         1296
        .size:           4
        .value_kind:     hidden_block_count_z
      - .offset:         1300
        .size:           2
        .value_kind:     hidden_group_size_x
      - .offset:         1302
        .size:           2
        .value_kind:     hidden_group_size_y
      - .offset:         1304
        .size:           2
        .value_kind:     hidden_group_size_z
      - .offset:         1306
        .size:           2
        .value_kind:     hidden_remainder_x
      - .offset:         1308
        .size:           2
        .value_kind:     hidden_remainder_y
      - .offset:         1310
        .size:           2
        .value_kind:     hidden_remainder_z
      - .offset:         1328
        .size:           8
        .value_kind:     hidden_global_offset_x
      - .offset:         1336
        .size:           8
        .value_kind:     hidden_global_offset_y
      - .offset:         1344
        .size:           8
        .value_kind:     hidden_global_offset_z
      - .offset:         1352
        .size:           2
        .value_kind:     hidden_grid_dims
    .group_segment_fixed_size: 0
    .kernarg_segment_align: 8
    .kernarg_segment_size: 1544
    .language:       OpenCL C
    .language_version:
      - 2
      - 0
    .max_flat_workgroup_size: 512
    .name:           _ZN2at4cuda17kernelHistogram1DIlllLi1ELi2ELin1ELNS0_23CUDAHistogramMemoryTypeE1EZNS0_21CUDA_tensor_histogramIllLb0EEEbNS_6TensorES4_S4_lNS_14AccumulateTypeIT0_Lb1EE4typeES8_NS0_13TensorArgTypeES9_S9_EUllE0_EEvNS0_6detail10TensorInfoIT_T1_EESF_NSC_IKS6_SE_EElS8_S8_SE_T6_
    .private_segment_fixed_size: 0
    .sgpr_count:     53
    .sgpr_spill_count: 0
    .symbol:         _ZN2at4cuda17kernelHistogram1DIlllLi1ELi2ELin1ELNS0_23CUDAHistogramMemoryTypeE1EZNS0_21CUDA_tensor_histogramIllLb0EEEbNS_6TensorES4_S4_lNS_14AccumulateTypeIT0_Lb1EE4typeES8_NS0_13TensorArgTypeES9_S9_EUllE0_EEvNS0_6detail10TensorInfoIT_T1_EESF_NSC_IKS6_SE_EElS8_S8_SE_T6_.kd
    .uniform_work_group_size: 1
    .uses_dynamic_stack: false
    .vgpr_count:     24
    .vgpr_spill_count: 0
    .wavefront_size: 32
  - .args:
      - .offset:         0
        .size:           416
        .value_kind:     by_value
      - .offset:         416
        .size:           416
        .value_kind:     by_value
      - .offset:         832
        .size:           416
        .value_kind:     by_value
      - .offset:         1248
        .size:           8
        .value_kind:     by_value
      - .offset:         1256
        .size:           8
        .value_kind:     by_value
      - .offset:         1264
        .size:           8
        .value_kind:     by_value
      - .offset:         1272
        .size:           8
        .value_kind:     by_value
      - .offset:         1280
        .size:           416
        .value_kind:     by_value
      - .offset:         1696
        .size:           4
        .value_kind:     hidden_block_count_x
      - .offset:         1700
        .size:           4
        .value_kind:     hidden_block_count_y
      - .offset:         1704
        .size:           4
        .value_kind:     hidden_block_count_z
      - .offset:         1708
        .size:           2
        .value_kind:     hidden_group_size_x
      - .offset:         1710
        .size:           2
        .value_kind:     hidden_group_size_y
      - .offset:         1712
        .size:           2
        .value_kind:     hidden_group_size_z
      - .offset:         1714
        .size:           2
        .value_kind:     hidden_remainder_x
      - .offset:         1716
        .size:           2
        .value_kind:     hidden_remainder_y
      - .offset:         1718
        .size:           2
        .value_kind:     hidden_remainder_z
      - .offset:         1736
        .size:           8
        .value_kind:     hidden_global_offset_x
      - .offset:         1744
        .size:           8
        .value_kind:     hidden_global_offset_y
      - .offset:         1752
        .size:           8
        .value_kind:     hidden_global_offset_z
      - .offset:         1760
        .size:           2
        .value_kind:     hidden_grid_dims
      - .offset:         1816
        .size:           4
        .value_kind:     hidden_dynamic_lds_size
    .group_segment_fixed_size: 0
    .kernarg_segment_align: 8
    .kernarg_segment_size: 1952
    .language:       OpenCL C
    .language_version:
      - 2
      - 0
    .max_flat_workgroup_size: 512
    .name:           _ZN2at4cuda17kernelHistogram1DIdllLi1ELi2ELin1ELNS0_23CUDAHistogramMemoryTypeE0EZNS0_21CUDA_tensor_histogramIdlLb1EEEbNS_6TensorES4_S4_lNS_14AccumulateTypeIT0_Lb1EE4typeES8_NS0_13TensorArgTypeES9_S9_EUllE_EEvNS0_6detail10TensorInfoIT_T1_EESF_NSC_IKS6_SE_EElS8_S8_SE_T6_
    .private_segment_fixed_size: 0
    .sgpr_count:     59
    .sgpr_spill_count: 0
    .symbol:         _ZN2at4cuda17kernelHistogram1DIdllLi1ELi2ELin1ELNS0_23CUDAHistogramMemoryTypeE0EZNS0_21CUDA_tensor_histogramIdlLb1EEEbNS_6TensorES4_S4_lNS_14AccumulateTypeIT0_Lb1EE4typeES8_NS0_13TensorArgTypeES9_S9_EUllE_EEvNS0_6detail10TensorInfoIT_T1_EESF_NSC_IKS6_SE_EElS8_S8_SE_T6_.kd
    .uniform_work_group_size: 1
    .uses_dynamic_stack: false
    .vgpr_count:     30
    .vgpr_spill_count: 0
    .wavefront_size: 32
  - .args:
      - .offset:         0
        .size:           416
        .value_kind:     by_value
      - .offset:         416
        .size:           416
        .value_kind:     by_value
      - .offset:         832
        .size:           416
        .value_kind:     by_value
      - .offset:         1248
        .size:           8
        .value_kind:     by_value
      - .offset:         1256
        .size:           8
        .value_kind:     by_value
      - .offset:         1264
        .size:           8
        .value_kind:     by_value
      - .offset:         1272
        .size:           8
        .value_kind:     by_value
      - .offset:         1280
        .size:           416
        .value_kind:     by_value
      - .offset:         1696
        .size:           4
        .value_kind:     hidden_block_count_x
      - .offset:         1700
        .size:           4
        .value_kind:     hidden_block_count_y
      - .offset:         1704
        .size:           4
        .value_kind:     hidden_block_count_z
      - .offset:         1708
        .size:           2
        .value_kind:     hidden_group_size_x
      - .offset:         1710
        .size:           2
        .value_kind:     hidden_group_size_y
      - .offset:         1712
        .size:           2
        .value_kind:     hidden_group_size_z
      - .offset:         1714
        .size:           2
        .value_kind:     hidden_remainder_x
      - .offset:         1716
        .size:           2
        .value_kind:     hidden_remainder_y
      - .offset:         1718
        .size:           2
        .value_kind:     hidden_remainder_z
      - .offset:         1736
        .size:           8
        .value_kind:     hidden_global_offset_x
      - .offset:         1744
        .size:           8
        .value_kind:     hidden_global_offset_y
      - .offset:         1752
        .size:           8
        .value_kind:     hidden_global_offset_z
      - .offset:         1760
        .size:           2
        .value_kind:     hidden_grid_dims
    .group_segment_fixed_size: 0
    .kernarg_segment_align: 8
    .kernarg_segment_size: 1952
    .language:       OpenCL C
    .language_version:
      - 2
      - 0
    .max_flat_workgroup_size: 512
    .name:           _ZN2at4cuda17kernelHistogram1DIdllLi1ELi2ELin1ELNS0_23CUDAHistogramMemoryTypeE1EZNS0_21CUDA_tensor_histogramIdlLb1EEEbNS_6TensorES4_S4_lNS_14AccumulateTypeIT0_Lb1EE4typeES8_NS0_13TensorArgTypeES9_S9_EUllE_EEvNS0_6detail10TensorInfoIT_T1_EESF_NSC_IKS6_SE_EElS8_S8_SE_T6_
    .private_segment_fixed_size: 0
    .sgpr_count:     57
    .sgpr_spill_count: 0
    .symbol:         _ZN2at4cuda17kernelHistogram1DIdllLi1ELi2ELin1ELNS0_23CUDAHistogramMemoryTypeE1EZNS0_21CUDA_tensor_histogramIdlLb1EEEbNS_6TensorES4_S4_lNS_14AccumulateTypeIT0_Lb1EE4typeES8_NS0_13TensorArgTypeES9_S9_EUllE_EEvNS0_6detail10TensorInfoIT_T1_EESF_NSC_IKS6_SE_EElS8_S8_SE_T6_.kd
    .uniform_work_group_size: 1
    .uses_dynamic_stack: false
    .vgpr_count:     22
    .vgpr_spill_count: 0
    .wavefront_size: 32
  - .args:
      - .offset:         0
        .size:           416
        .value_kind:     by_value
      - .offset:         416
        .size:           416
        .value_kind:     by_value
      - .offset:         832
        .size:           416
        .value_kind:     by_value
      - .offset:         1248
        .size:           8
        .value_kind:     by_value
      - .offset:         1256
        .size:           8
        .value_kind:     by_value
      - .offset:         1264
        .size:           8
        .value_kind:     by_value
      - .offset:         1272
        .size:           8
        .value_kind:     by_value
      - .offset:         1280
        .size:           1
        .value_kind:     by_value
      - .offset:         1288
        .size:           4
        .value_kind:     hidden_block_count_x
      - .offset:         1292
        .size:           4
        .value_kind:     hidden_block_count_y
      - .offset:         1296
        .size:           4
        .value_kind:     hidden_block_count_z
      - .offset:         1300
        .size:           2
        .value_kind:     hidden_group_size_x
      - .offset:         1302
        .size:           2
        .value_kind:     hidden_group_size_y
      - .offset:         1304
        .size:           2
        .value_kind:     hidden_group_size_z
      - .offset:         1306
        .size:           2
        .value_kind:     hidden_remainder_x
      - .offset:         1308
        .size:           2
        .value_kind:     hidden_remainder_y
      - .offset:         1310
        .size:           2
        .value_kind:     hidden_remainder_z
      - .offset:         1328
        .size:           8
        .value_kind:     hidden_global_offset_x
      - .offset:         1336
        .size:           8
        .value_kind:     hidden_global_offset_y
      - .offset:         1344
        .size:           8
        .value_kind:     hidden_global_offset_z
      - .offset:         1352
        .size:           2
        .value_kind:     hidden_grid_dims
      - .offset:         1408
        .size:           4
        .value_kind:     hidden_dynamic_lds_size
    .group_segment_fixed_size: 0
    .kernarg_segment_align: 8
    .kernarg_segment_size: 1544
    .language:       OpenCL C
    .language_version:
      - 2
      - 0
    .max_flat_workgroup_size: 512
    .name:           _ZN2at4cuda17kernelHistogram1DIdllLi1ELi2ELin1ELNS0_23CUDAHistogramMemoryTypeE0EZNS0_21CUDA_tensor_histogramIdlLb1EEEbNS_6TensorES4_S4_lNS_14AccumulateTypeIT0_Lb1EE4typeES8_NS0_13TensorArgTypeES9_S9_EUllE0_EEvNS0_6detail10TensorInfoIT_T1_EESF_NSC_IKS6_SE_EElS8_S8_SE_T6_
    .private_segment_fixed_size: 0
    .sgpr_count:     55
    .sgpr_spill_count: 0
    .symbol:         _ZN2at4cuda17kernelHistogram1DIdllLi1ELi2ELin1ELNS0_23CUDAHistogramMemoryTypeE0EZNS0_21CUDA_tensor_histogramIdlLb1EEEbNS_6TensorES4_S4_lNS_14AccumulateTypeIT0_Lb1EE4typeES8_NS0_13TensorArgTypeES9_S9_EUllE0_EEvNS0_6detail10TensorInfoIT_T1_EESF_NSC_IKS6_SE_EElS8_S8_SE_T6_.kd
    .uniform_work_group_size: 1
    .uses_dynamic_stack: false
    .vgpr_count:     32
    .vgpr_spill_count: 0
    .wavefront_size: 32
  - .args:
      - .offset:         0
        .size:           416
        .value_kind:     by_value
      - .offset:         416
        .size:           416
        .value_kind:     by_value
      - .offset:         832
        .size:           416
        .value_kind:     by_value
      - .offset:         1248
        .size:           8
        .value_kind:     by_value
      - .offset:         1256
        .size:           8
        .value_kind:     by_value
      - .offset:         1264
        .size:           8
        .value_kind:     by_value
      - .offset:         1272
        .size:           8
        .value_kind:     by_value
      - .offset:         1280
        .size:           1
        .value_kind:     by_value
      - .offset:         1288
        .size:           4
        .value_kind:     hidden_block_count_x
      - .offset:         1292
        .size:           4
        .value_kind:     hidden_block_count_y
      - .offset:         1296
        .size:           4
        .value_kind:     hidden_block_count_z
      - .offset:         1300
        .size:           2
        .value_kind:     hidden_group_size_x
      - .offset:         1302
        .size:           2
        .value_kind:     hidden_group_size_y
      - .offset:         1304
        .size:           2
        .value_kind:     hidden_group_size_z
      - .offset:         1306
        .size:           2
        .value_kind:     hidden_remainder_x
      - .offset:         1308
        .size:           2
        .value_kind:     hidden_remainder_y
      - .offset:         1310
        .size:           2
        .value_kind:     hidden_remainder_z
      - .offset:         1328
        .size:           8
        .value_kind:     hidden_global_offset_x
      - .offset:         1336
        .size:           8
        .value_kind:     hidden_global_offset_y
      - .offset:         1344
        .size:           8
        .value_kind:     hidden_global_offset_z
      - .offset:         1352
        .size:           2
        .value_kind:     hidden_grid_dims
    .group_segment_fixed_size: 0
    .kernarg_segment_align: 8
    .kernarg_segment_size: 1544
    .language:       OpenCL C
    .language_version:
      - 2
      - 0
    .max_flat_workgroup_size: 512
    .name:           _ZN2at4cuda17kernelHistogram1DIdllLi1ELi2ELin1ELNS0_23CUDAHistogramMemoryTypeE1EZNS0_21CUDA_tensor_histogramIdlLb1EEEbNS_6TensorES4_S4_lNS_14AccumulateTypeIT0_Lb1EE4typeES8_NS0_13TensorArgTypeES9_S9_EUllE0_EEvNS0_6detail10TensorInfoIT_T1_EESF_NSC_IKS6_SE_EElS8_S8_SE_T6_
    .private_segment_fixed_size: 0
    .sgpr_count:     53
    .sgpr_spill_count: 0
    .symbol:         _ZN2at4cuda17kernelHistogram1DIdllLi1ELi2ELin1ELNS0_23CUDAHistogramMemoryTypeE1EZNS0_21CUDA_tensor_histogramIdlLb1EEEbNS_6TensorES4_S4_lNS_14AccumulateTypeIT0_Lb1EE4typeES8_NS0_13TensorArgTypeES9_S9_EUllE0_EEvNS0_6detail10TensorInfoIT_T1_EESF_NSC_IKS6_SE_EElS8_S8_SE_T6_.kd
    .uniform_work_group_size: 1
    .uses_dynamic_stack: false
    .vgpr_count:     24
    .vgpr_spill_count: 0
    .wavefront_size: 32
  - .args:
      - .offset:         0
        .size:           416
        .value_kind:     by_value
      - .offset:         416
        .size:           416
        .value_kind:     by_value
      - .offset:         832
        .size:           416
        .value_kind:     by_value
      - .offset:         1248
        .size:           8
        .value_kind:     by_value
      - .offset:         1256
        .size:           8
        .value_kind:     by_value
      - .offset:         1264
        .size:           8
        .value_kind:     by_value
      - .offset:         1272
        .size:           8
        .value_kind:     by_value
      - .offset:         1280
        .size:           416
        .value_kind:     by_value
      - .offset:         1696
        .size:           4
        .value_kind:     hidden_block_count_x
      - .offset:         1700
        .size:           4
        .value_kind:     hidden_block_count_y
      - .offset:         1704
        .size:           4
        .value_kind:     hidden_block_count_z
      - .offset:         1708
        .size:           2
        .value_kind:     hidden_group_size_x
      - .offset:         1710
        .size:           2
        .value_kind:     hidden_group_size_y
      - .offset:         1712
        .size:           2
        .value_kind:     hidden_group_size_z
      - .offset:         1714
        .size:           2
        .value_kind:     hidden_remainder_x
      - .offset:         1716
        .size:           2
        .value_kind:     hidden_remainder_y
      - .offset:         1718
        .size:           2
        .value_kind:     hidden_remainder_z
      - .offset:         1736
        .size:           8
        .value_kind:     hidden_global_offset_x
      - .offset:         1744
        .size:           8
        .value_kind:     hidden_global_offset_y
      - .offset:         1752
        .size:           8
        .value_kind:     hidden_global_offset_z
      - .offset:         1760
        .size:           2
        .value_kind:     hidden_grid_dims
      - .offset:         1816
        .size:           4
        .value_kind:     hidden_dynamic_lds_size
    .group_segment_fixed_size: 0
    .kernarg_segment_align: 8
    .kernarg_segment_size: 1952
    .language:       OpenCL C
    .language_version:
      - 2
      - 0
    .max_flat_workgroup_size: 512
    .name:           _ZN2at4cuda17kernelHistogram1DIfslLi1ELi2ELin1ELNS0_23CUDAHistogramMemoryTypeE0EZNS0_21CUDA_tensor_histogramIfsLb1EEEbNS_6TensorES4_S4_lNS_14AccumulateTypeIT0_Lb1EE4typeES8_NS0_13TensorArgTypeES9_S9_EUllE_EEvNS0_6detail10TensorInfoIT_T1_EESF_NSC_IKS6_SE_EElS8_S8_SE_T6_
    .private_segment_fixed_size: 0
    .sgpr_count:     59
    .sgpr_spill_count: 0
    .symbol:         _ZN2at4cuda17kernelHistogram1DIfslLi1ELi2ELin1ELNS0_23CUDAHistogramMemoryTypeE0EZNS0_21CUDA_tensor_histogramIfsLb1EEEbNS_6TensorES4_S4_lNS_14AccumulateTypeIT0_Lb1EE4typeES8_NS0_13TensorArgTypeES9_S9_EUllE_EEvNS0_6detail10TensorInfoIT_T1_EESF_NSC_IKS6_SE_EElS8_S8_SE_T6_.kd
    .uniform_work_group_size: 1
    .uses_dynamic_stack: false
    .vgpr_count:     28
    .vgpr_spill_count: 0
    .wavefront_size: 32
  - .args:
      - .offset:         0
        .size:           416
        .value_kind:     by_value
      - .offset:         416
        .size:           416
        .value_kind:     by_value
      - .offset:         832
        .size:           416
        .value_kind:     by_value
      - .offset:         1248
        .size:           8
        .value_kind:     by_value
      - .offset:         1256
        .size:           8
        .value_kind:     by_value
      - .offset:         1264
        .size:           8
        .value_kind:     by_value
      - .offset:         1272
        .size:           8
        .value_kind:     by_value
      - .offset:         1280
        .size:           416
        .value_kind:     by_value
      - .offset:         1696
        .size:           4
        .value_kind:     hidden_block_count_x
      - .offset:         1700
        .size:           4
        .value_kind:     hidden_block_count_y
      - .offset:         1704
        .size:           4
        .value_kind:     hidden_block_count_z
      - .offset:         1708
        .size:           2
        .value_kind:     hidden_group_size_x
      - .offset:         1710
        .size:           2
        .value_kind:     hidden_group_size_y
      - .offset:         1712
        .size:           2
        .value_kind:     hidden_group_size_z
      - .offset:         1714
        .size:           2
        .value_kind:     hidden_remainder_x
      - .offset:         1716
        .size:           2
        .value_kind:     hidden_remainder_y
      - .offset:         1718
        .size:           2
        .value_kind:     hidden_remainder_z
      - .offset:         1736
        .size:           8
        .value_kind:     hidden_global_offset_x
      - .offset:         1744
        .size:           8
        .value_kind:     hidden_global_offset_y
      - .offset:         1752
        .size:           8
        .value_kind:     hidden_global_offset_z
      - .offset:         1760
        .size:           2
        .value_kind:     hidden_grid_dims
    .group_segment_fixed_size: 0
    .kernarg_segment_align: 8
    .kernarg_segment_size: 1952
    .language:       OpenCL C
    .language_version:
      - 2
      - 0
    .max_flat_workgroup_size: 512
    .name:           _ZN2at4cuda17kernelHistogram1DIfslLi1ELi2ELin1ELNS0_23CUDAHistogramMemoryTypeE1EZNS0_21CUDA_tensor_histogramIfsLb1EEEbNS_6TensorES4_S4_lNS_14AccumulateTypeIT0_Lb1EE4typeES8_NS0_13TensorArgTypeES9_S9_EUllE_EEvNS0_6detail10TensorInfoIT_T1_EESF_NSC_IKS6_SE_EElS8_S8_SE_T6_
    .private_segment_fixed_size: 0
    .sgpr_count:     57
    .sgpr_spill_count: 0
    .symbol:         _ZN2at4cuda17kernelHistogram1DIfslLi1ELi2ELin1ELNS0_23CUDAHistogramMemoryTypeE1EZNS0_21CUDA_tensor_histogramIfsLb1EEEbNS_6TensorES4_S4_lNS_14AccumulateTypeIT0_Lb1EE4typeES8_NS0_13TensorArgTypeES9_S9_EUllE_EEvNS0_6detail10TensorInfoIT_T1_EESF_NSC_IKS6_SE_EElS8_S8_SE_T6_.kd
    .uniform_work_group_size: 1
    .uses_dynamic_stack: false
    .vgpr_count:     22
    .vgpr_spill_count: 0
    .wavefront_size: 32
  - .args:
      - .offset:         0
        .size:           416
        .value_kind:     by_value
      - .offset:         416
        .size:           416
        .value_kind:     by_value
      - .offset:         832
        .size:           416
        .value_kind:     by_value
      - .offset:         1248
        .size:           8
        .value_kind:     by_value
      - .offset:         1256
        .size:           8
        .value_kind:     by_value
      - .offset:         1264
        .size:           8
        .value_kind:     by_value
      - .offset:         1272
        .size:           8
        .value_kind:     by_value
      - .offset:         1280
        .size:           1
        .value_kind:     by_value
      - .offset:         1288
        .size:           4
        .value_kind:     hidden_block_count_x
      - .offset:         1292
        .size:           4
        .value_kind:     hidden_block_count_y
      - .offset:         1296
        .size:           4
        .value_kind:     hidden_block_count_z
      - .offset:         1300
        .size:           2
        .value_kind:     hidden_group_size_x
      - .offset:         1302
        .size:           2
        .value_kind:     hidden_group_size_y
      - .offset:         1304
        .size:           2
        .value_kind:     hidden_group_size_z
      - .offset:         1306
        .size:           2
        .value_kind:     hidden_remainder_x
      - .offset:         1308
        .size:           2
        .value_kind:     hidden_remainder_y
      - .offset:         1310
        .size:           2
        .value_kind:     hidden_remainder_z
      - .offset:         1328
        .size:           8
        .value_kind:     hidden_global_offset_x
      - .offset:         1336
        .size:           8
        .value_kind:     hidden_global_offset_y
      - .offset:         1344
        .size:           8
        .value_kind:     hidden_global_offset_z
      - .offset:         1352
        .size:           2
        .value_kind:     hidden_grid_dims
      - .offset:         1408
        .size:           4
        .value_kind:     hidden_dynamic_lds_size
    .group_segment_fixed_size: 0
    .kernarg_segment_align: 8
    .kernarg_segment_size: 1544
    .language:       OpenCL C
    .language_version:
      - 2
      - 0
    .max_flat_workgroup_size: 512
    .name:           _ZN2at4cuda17kernelHistogram1DIfslLi1ELi2ELin1ELNS0_23CUDAHistogramMemoryTypeE0EZNS0_21CUDA_tensor_histogramIfsLb1EEEbNS_6TensorES4_S4_lNS_14AccumulateTypeIT0_Lb1EE4typeES8_NS0_13TensorArgTypeES9_S9_EUllE0_EEvNS0_6detail10TensorInfoIT_T1_EESF_NSC_IKS6_SE_EElS8_S8_SE_T6_
    .private_segment_fixed_size: 0
    .sgpr_count:     55
    .sgpr_spill_count: 0
    .symbol:         _ZN2at4cuda17kernelHistogram1DIfslLi1ELi2ELin1ELNS0_23CUDAHistogramMemoryTypeE0EZNS0_21CUDA_tensor_histogramIfsLb1EEEbNS_6TensorES4_S4_lNS_14AccumulateTypeIT0_Lb1EE4typeES8_NS0_13TensorArgTypeES9_S9_EUllE0_EEvNS0_6detail10TensorInfoIT_T1_EESF_NSC_IKS6_SE_EElS8_S8_SE_T6_.kd
    .uniform_work_group_size: 1
    .uses_dynamic_stack: false
    .vgpr_count:     28
    .vgpr_spill_count: 0
    .wavefront_size: 32
  - .args:
      - .offset:         0
        .size:           416
        .value_kind:     by_value
      - .offset:         416
        .size:           416
        .value_kind:     by_value
      - .offset:         832
        .size:           416
        .value_kind:     by_value
      - .offset:         1248
        .size:           8
        .value_kind:     by_value
      - .offset:         1256
        .size:           8
        .value_kind:     by_value
      - .offset:         1264
        .size:           8
        .value_kind:     by_value
      - .offset:         1272
        .size:           8
        .value_kind:     by_value
      - .offset:         1280
        .size:           1
        .value_kind:     by_value
      - .offset:         1288
        .size:           4
        .value_kind:     hidden_block_count_x
      - .offset:         1292
        .size:           4
        .value_kind:     hidden_block_count_y
      - .offset:         1296
        .size:           4
        .value_kind:     hidden_block_count_z
      - .offset:         1300
        .size:           2
        .value_kind:     hidden_group_size_x
      - .offset:         1302
        .size:           2
        .value_kind:     hidden_group_size_y
      - .offset:         1304
        .size:           2
        .value_kind:     hidden_group_size_z
      - .offset:         1306
        .size:           2
        .value_kind:     hidden_remainder_x
      - .offset:         1308
        .size:           2
        .value_kind:     hidden_remainder_y
      - .offset:         1310
        .size:           2
        .value_kind:     hidden_remainder_z
      - .offset:         1328
        .size:           8
        .value_kind:     hidden_global_offset_x
      - .offset:         1336
        .size:           8
        .value_kind:     hidden_global_offset_y
      - .offset:         1344
        .size:           8
        .value_kind:     hidden_global_offset_z
      - .offset:         1352
        .size:           2
        .value_kind:     hidden_grid_dims
    .group_segment_fixed_size: 0
    .kernarg_segment_align: 8
    .kernarg_segment_size: 1544
    .language:       OpenCL C
    .language_version:
      - 2
      - 0
    .max_flat_workgroup_size: 512
    .name:           _ZN2at4cuda17kernelHistogram1DIfslLi1ELi2ELin1ELNS0_23CUDAHistogramMemoryTypeE1EZNS0_21CUDA_tensor_histogramIfsLb1EEEbNS_6TensorES4_S4_lNS_14AccumulateTypeIT0_Lb1EE4typeES8_NS0_13TensorArgTypeES9_S9_EUllE0_EEvNS0_6detail10TensorInfoIT_T1_EESF_NSC_IKS6_SE_EElS8_S8_SE_T6_
    .private_segment_fixed_size: 0
    .sgpr_count:     53
    .sgpr_spill_count: 0
    .symbol:         _ZN2at4cuda17kernelHistogram1DIfslLi1ELi2ELin1ELNS0_23CUDAHistogramMemoryTypeE1EZNS0_21CUDA_tensor_histogramIfsLb1EEEbNS_6TensorES4_S4_lNS_14AccumulateTypeIT0_Lb1EE4typeES8_NS0_13TensorArgTypeES9_S9_EUllE0_EEvNS0_6detail10TensorInfoIT_T1_EESF_NSC_IKS6_SE_EElS8_S8_SE_T6_.kd
    .uniform_work_group_size: 1
    .uses_dynamic_stack: false
    .vgpr_count:     24
    .vgpr_spill_count: 0
    .wavefront_size: 32
  - .args:
      - .offset:         0
        .size:           416
        .value_kind:     by_value
      - .offset:         416
        .size:           416
        .value_kind:     by_value
      - .offset:         832
        .size:           416
        .value_kind:     by_value
      - .offset:         1248
        .size:           8
        .value_kind:     by_value
      - .offset:         1256
        .size:           8
        .value_kind:     by_value
      - .offset:         1264
        .size:           8
        .value_kind:     by_value
      - .offset:         1272
        .size:           8
        .value_kind:     by_value
      - .offset:         1280
        .size:           416
        .value_kind:     by_value
      - .offset:         1696
        .size:           4
        .value_kind:     hidden_block_count_x
      - .offset:         1700
        .size:           4
        .value_kind:     hidden_block_count_y
      - .offset:         1704
        .size:           4
        .value_kind:     hidden_block_count_z
      - .offset:         1708
        .size:           2
        .value_kind:     hidden_group_size_x
      - .offset:         1710
        .size:           2
        .value_kind:     hidden_group_size_y
      - .offset:         1712
        .size:           2
        .value_kind:     hidden_group_size_z
      - .offset:         1714
        .size:           2
        .value_kind:     hidden_remainder_x
      - .offset:         1716
        .size:           2
        .value_kind:     hidden_remainder_y
      - .offset:         1718
        .size:           2
        .value_kind:     hidden_remainder_z
      - .offset:         1736
        .size:           8
        .value_kind:     hidden_global_offset_x
      - .offset:         1744
        .size:           8
        .value_kind:     hidden_global_offset_y
      - .offset:         1752
        .size:           8
        .value_kind:     hidden_global_offset_z
      - .offset:         1760
        .size:           2
        .value_kind:     hidden_grid_dims
      - .offset:         1816
        .size:           4
        .value_kind:     hidden_dynamic_lds_size
    .group_segment_fixed_size: 0
    .kernarg_segment_align: 8
    .kernarg_segment_size: 1952
    .language:       OpenCL C
    .language_version:
      - 2
      - 0
    .max_flat_workgroup_size: 512
    .name:           _ZN2at4cuda17kernelHistogram1DIlslLi1ELi2ELin1ELNS0_23CUDAHistogramMemoryTypeE0EZNS0_21CUDA_tensor_histogramIlsLb0EEEbNS_6TensorES4_S4_lNS_14AccumulateTypeIT0_Lb1EE4typeES8_NS0_13TensorArgTypeES9_S9_EUllE_EEvNS0_6detail10TensorInfoIT_T1_EESF_NSC_IKS6_SE_EElS8_S8_SE_T6_
    .private_segment_fixed_size: 0
    .sgpr_count:     59
    .sgpr_spill_count: 0
    .symbol:         _ZN2at4cuda17kernelHistogram1DIlslLi1ELi2ELin1ELNS0_23CUDAHistogramMemoryTypeE0EZNS0_21CUDA_tensor_histogramIlsLb0EEEbNS_6TensorES4_S4_lNS_14AccumulateTypeIT0_Lb1EE4typeES8_NS0_13TensorArgTypeES9_S9_EUllE_EEvNS0_6detail10TensorInfoIT_T1_EESF_NSC_IKS6_SE_EElS8_S8_SE_T6_.kd
    .uniform_work_group_size: 1
    .uses_dynamic_stack: false
    .vgpr_count:     30
    .vgpr_spill_count: 0
    .wavefront_size: 32
  - .args:
      - .offset:         0
        .size:           416
        .value_kind:     by_value
      - .offset:         416
        .size:           416
        .value_kind:     by_value
      - .offset:         832
        .size:           416
        .value_kind:     by_value
      - .offset:         1248
        .size:           8
        .value_kind:     by_value
      - .offset:         1256
        .size:           8
        .value_kind:     by_value
      - .offset:         1264
        .size:           8
        .value_kind:     by_value
      - .offset:         1272
        .size:           8
        .value_kind:     by_value
      - .offset:         1280
        .size:           416
        .value_kind:     by_value
      - .offset:         1696
        .size:           4
        .value_kind:     hidden_block_count_x
      - .offset:         1700
        .size:           4
        .value_kind:     hidden_block_count_y
      - .offset:         1704
        .size:           4
        .value_kind:     hidden_block_count_z
      - .offset:         1708
        .size:           2
        .value_kind:     hidden_group_size_x
      - .offset:         1710
        .size:           2
        .value_kind:     hidden_group_size_y
      - .offset:         1712
        .size:           2
        .value_kind:     hidden_group_size_z
      - .offset:         1714
        .size:           2
        .value_kind:     hidden_remainder_x
      - .offset:         1716
        .size:           2
        .value_kind:     hidden_remainder_y
      - .offset:         1718
        .size:           2
        .value_kind:     hidden_remainder_z
      - .offset:         1736
        .size:           8
        .value_kind:     hidden_global_offset_x
      - .offset:         1744
        .size:           8
        .value_kind:     hidden_global_offset_y
      - .offset:         1752
        .size:           8
        .value_kind:     hidden_global_offset_z
      - .offset:         1760
        .size:           2
        .value_kind:     hidden_grid_dims
    .group_segment_fixed_size: 0
    .kernarg_segment_align: 8
    .kernarg_segment_size: 1952
    .language:       OpenCL C
    .language_version:
      - 2
      - 0
    .max_flat_workgroup_size: 512
    .name:           _ZN2at4cuda17kernelHistogram1DIlslLi1ELi2ELin1ELNS0_23CUDAHistogramMemoryTypeE1EZNS0_21CUDA_tensor_histogramIlsLb0EEEbNS_6TensorES4_S4_lNS_14AccumulateTypeIT0_Lb1EE4typeES8_NS0_13TensorArgTypeES9_S9_EUllE_EEvNS0_6detail10TensorInfoIT_T1_EESF_NSC_IKS6_SE_EElS8_S8_SE_T6_
    .private_segment_fixed_size: 0
    .sgpr_count:     57
    .sgpr_spill_count: 0
    .symbol:         _ZN2at4cuda17kernelHistogram1DIlslLi1ELi2ELin1ELNS0_23CUDAHistogramMemoryTypeE1EZNS0_21CUDA_tensor_histogramIlsLb0EEEbNS_6TensorES4_S4_lNS_14AccumulateTypeIT0_Lb1EE4typeES8_NS0_13TensorArgTypeES9_S9_EUllE_EEvNS0_6detail10TensorInfoIT_T1_EESF_NSC_IKS6_SE_EElS8_S8_SE_T6_.kd
    .uniform_work_group_size: 1
    .uses_dynamic_stack: false
    .vgpr_count:     22
    .vgpr_spill_count: 0
    .wavefront_size: 32
  - .args:
      - .offset:         0
        .size:           416
        .value_kind:     by_value
      - .offset:         416
        .size:           416
        .value_kind:     by_value
      - .offset:         832
        .size:           416
        .value_kind:     by_value
      - .offset:         1248
        .size:           8
        .value_kind:     by_value
      - .offset:         1256
        .size:           8
        .value_kind:     by_value
      - .offset:         1264
        .size:           8
        .value_kind:     by_value
      - .offset:         1272
        .size:           8
        .value_kind:     by_value
      - .offset:         1280
        .size:           1
        .value_kind:     by_value
      - .offset:         1288
        .size:           4
        .value_kind:     hidden_block_count_x
      - .offset:         1292
        .size:           4
        .value_kind:     hidden_block_count_y
      - .offset:         1296
        .size:           4
        .value_kind:     hidden_block_count_z
      - .offset:         1300
        .size:           2
        .value_kind:     hidden_group_size_x
      - .offset:         1302
        .size:           2
        .value_kind:     hidden_group_size_y
      - .offset:         1304
        .size:           2
        .value_kind:     hidden_group_size_z
      - .offset:         1306
        .size:           2
        .value_kind:     hidden_remainder_x
      - .offset:         1308
        .size:           2
        .value_kind:     hidden_remainder_y
      - .offset:         1310
        .size:           2
        .value_kind:     hidden_remainder_z
      - .offset:         1328
        .size:           8
        .value_kind:     hidden_global_offset_x
      - .offset:         1336
        .size:           8
        .value_kind:     hidden_global_offset_y
      - .offset:         1344
        .size:           8
        .value_kind:     hidden_global_offset_z
      - .offset:         1352
        .size:           2
        .value_kind:     hidden_grid_dims
      - .offset:         1408
        .size:           4
        .value_kind:     hidden_dynamic_lds_size
    .group_segment_fixed_size: 0
    .kernarg_segment_align: 8
    .kernarg_segment_size: 1544
    .language:       OpenCL C
    .language_version:
      - 2
      - 0
    .max_flat_workgroup_size: 512
    .name:           _ZN2at4cuda17kernelHistogram1DIlslLi1ELi2ELin1ELNS0_23CUDAHistogramMemoryTypeE0EZNS0_21CUDA_tensor_histogramIlsLb0EEEbNS_6TensorES4_S4_lNS_14AccumulateTypeIT0_Lb1EE4typeES8_NS0_13TensorArgTypeES9_S9_EUllE0_EEvNS0_6detail10TensorInfoIT_T1_EESF_NSC_IKS6_SE_EElS8_S8_SE_T6_
    .private_segment_fixed_size: 0
    .sgpr_count:     55
    .sgpr_spill_count: 0
    .symbol:         _ZN2at4cuda17kernelHistogram1DIlslLi1ELi2ELin1ELNS0_23CUDAHistogramMemoryTypeE0EZNS0_21CUDA_tensor_histogramIlsLb0EEEbNS_6TensorES4_S4_lNS_14AccumulateTypeIT0_Lb1EE4typeES8_NS0_13TensorArgTypeES9_S9_EUllE0_EEvNS0_6detail10TensorInfoIT_T1_EESF_NSC_IKS6_SE_EElS8_S8_SE_T6_.kd
    .uniform_work_group_size: 1
    .uses_dynamic_stack: false
    .vgpr_count:     32
    .vgpr_spill_count: 0
    .wavefront_size: 32
  - .args:
      - .offset:         0
        .size:           416
        .value_kind:     by_value
      - .offset:         416
        .size:           416
        .value_kind:     by_value
      - .offset:         832
        .size:           416
        .value_kind:     by_value
      - .offset:         1248
        .size:           8
        .value_kind:     by_value
      - .offset:         1256
        .size:           8
        .value_kind:     by_value
      - .offset:         1264
        .size:           8
        .value_kind:     by_value
      - .offset:         1272
        .size:           8
        .value_kind:     by_value
      - .offset:         1280
        .size:           1
        .value_kind:     by_value
      - .offset:         1288
        .size:           4
        .value_kind:     hidden_block_count_x
      - .offset:         1292
        .size:           4
        .value_kind:     hidden_block_count_y
      - .offset:         1296
        .size:           4
        .value_kind:     hidden_block_count_z
      - .offset:         1300
        .size:           2
        .value_kind:     hidden_group_size_x
      - .offset:         1302
        .size:           2
        .value_kind:     hidden_group_size_y
      - .offset:         1304
        .size:           2
        .value_kind:     hidden_group_size_z
      - .offset:         1306
        .size:           2
        .value_kind:     hidden_remainder_x
      - .offset:         1308
        .size:           2
        .value_kind:     hidden_remainder_y
      - .offset:         1310
        .size:           2
        .value_kind:     hidden_remainder_z
      - .offset:         1328
        .size:           8
        .value_kind:     hidden_global_offset_x
      - .offset:         1336
        .size:           8
        .value_kind:     hidden_global_offset_y
      - .offset:         1344
        .size:           8
        .value_kind:     hidden_global_offset_z
      - .offset:         1352
        .size:           2
        .value_kind:     hidden_grid_dims
    .group_segment_fixed_size: 0
    .kernarg_segment_align: 8
    .kernarg_segment_size: 1544
    .language:       OpenCL C
    .language_version:
      - 2
      - 0
    .max_flat_workgroup_size: 512
    .name:           _ZN2at4cuda17kernelHistogram1DIlslLi1ELi2ELin1ELNS0_23CUDAHistogramMemoryTypeE1EZNS0_21CUDA_tensor_histogramIlsLb0EEEbNS_6TensorES4_S4_lNS_14AccumulateTypeIT0_Lb1EE4typeES8_NS0_13TensorArgTypeES9_S9_EUllE0_EEvNS0_6detail10TensorInfoIT_T1_EESF_NSC_IKS6_SE_EElS8_S8_SE_T6_
    .private_segment_fixed_size: 0
    .sgpr_count:     53
    .sgpr_spill_count: 0
    .symbol:         _ZN2at4cuda17kernelHistogram1DIlslLi1ELi2ELin1ELNS0_23CUDAHistogramMemoryTypeE1EZNS0_21CUDA_tensor_histogramIlsLb0EEEbNS_6TensorES4_S4_lNS_14AccumulateTypeIT0_Lb1EE4typeES8_NS0_13TensorArgTypeES9_S9_EUllE0_EEvNS0_6detail10TensorInfoIT_T1_EESF_NSC_IKS6_SE_EElS8_S8_SE_T6_.kd
    .uniform_work_group_size: 1
    .uses_dynamic_stack: false
    .vgpr_count:     24
    .vgpr_spill_count: 0
    .wavefront_size: 32
  - .args:
      - .offset:         0
        .size:           416
        .value_kind:     by_value
      - .offset:         416
        .size:           416
        .value_kind:     by_value
      - .offset:         832
        .size:           416
        .value_kind:     by_value
      - .offset:         1248
        .size:           8
        .value_kind:     by_value
      - .offset:         1256
        .size:           8
        .value_kind:     by_value
      - .offset:         1264
        .size:           8
        .value_kind:     by_value
      - .offset:         1272
        .size:           8
        .value_kind:     by_value
      - .offset:         1280
        .size:           416
        .value_kind:     by_value
      - .offset:         1696
        .size:           4
        .value_kind:     hidden_block_count_x
      - .offset:         1700
        .size:           4
        .value_kind:     hidden_block_count_y
      - .offset:         1704
        .size:           4
        .value_kind:     hidden_block_count_z
      - .offset:         1708
        .size:           2
        .value_kind:     hidden_group_size_x
      - .offset:         1710
        .size:           2
        .value_kind:     hidden_group_size_y
      - .offset:         1712
        .size:           2
        .value_kind:     hidden_group_size_z
      - .offset:         1714
        .size:           2
        .value_kind:     hidden_remainder_x
      - .offset:         1716
        .size:           2
        .value_kind:     hidden_remainder_y
      - .offset:         1718
        .size:           2
        .value_kind:     hidden_remainder_z
      - .offset:         1736
        .size:           8
        .value_kind:     hidden_global_offset_x
      - .offset:         1744
        .size:           8
        .value_kind:     hidden_global_offset_y
      - .offset:         1752
        .size:           8
        .value_kind:     hidden_global_offset_z
      - .offset:         1760
        .size:           2
        .value_kind:     hidden_grid_dims
      - .offset:         1816
        .size:           4
        .value_kind:     hidden_dynamic_lds_size
    .group_segment_fixed_size: 0
    .kernarg_segment_align: 8
    .kernarg_segment_size: 1952
    .language:       OpenCL C
    .language_version:
      - 2
      - 0
    .max_flat_workgroup_size: 512
    .name:           _ZN2at4cuda17kernelHistogram1DIdslLi1ELi2ELin1ELNS0_23CUDAHistogramMemoryTypeE0EZNS0_21CUDA_tensor_histogramIdsLb1EEEbNS_6TensorES4_S4_lNS_14AccumulateTypeIT0_Lb1EE4typeES8_NS0_13TensorArgTypeES9_S9_EUllE_EEvNS0_6detail10TensorInfoIT_T1_EESF_NSC_IKS6_SE_EElS8_S8_SE_T6_
    .private_segment_fixed_size: 0
    .sgpr_count:     59
    .sgpr_spill_count: 0
    .symbol:         _ZN2at4cuda17kernelHistogram1DIdslLi1ELi2ELin1ELNS0_23CUDAHistogramMemoryTypeE0EZNS0_21CUDA_tensor_histogramIdsLb1EEEbNS_6TensorES4_S4_lNS_14AccumulateTypeIT0_Lb1EE4typeES8_NS0_13TensorArgTypeES9_S9_EUllE_EEvNS0_6detail10TensorInfoIT_T1_EESF_NSC_IKS6_SE_EElS8_S8_SE_T6_.kd
    .uniform_work_group_size: 1
    .uses_dynamic_stack: false
    .vgpr_count:     30
    .vgpr_spill_count: 0
    .wavefront_size: 32
  - .args:
      - .offset:         0
        .size:           416
        .value_kind:     by_value
      - .offset:         416
        .size:           416
        .value_kind:     by_value
      - .offset:         832
        .size:           416
        .value_kind:     by_value
      - .offset:         1248
        .size:           8
        .value_kind:     by_value
      - .offset:         1256
        .size:           8
        .value_kind:     by_value
      - .offset:         1264
        .size:           8
        .value_kind:     by_value
      - .offset:         1272
        .size:           8
        .value_kind:     by_value
      - .offset:         1280
        .size:           416
        .value_kind:     by_value
      - .offset:         1696
        .size:           4
        .value_kind:     hidden_block_count_x
      - .offset:         1700
        .size:           4
        .value_kind:     hidden_block_count_y
      - .offset:         1704
        .size:           4
        .value_kind:     hidden_block_count_z
      - .offset:         1708
        .size:           2
        .value_kind:     hidden_group_size_x
      - .offset:         1710
        .size:           2
        .value_kind:     hidden_group_size_y
      - .offset:         1712
        .size:           2
        .value_kind:     hidden_group_size_z
      - .offset:         1714
        .size:           2
        .value_kind:     hidden_remainder_x
      - .offset:         1716
        .size:           2
        .value_kind:     hidden_remainder_y
      - .offset:         1718
        .size:           2
        .value_kind:     hidden_remainder_z
      - .offset:         1736
        .size:           8
        .value_kind:     hidden_global_offset_x
      - .offset:         1744
        .size:           8
        .value_kind:     hidden_global_offset_y
      - .offset:         1752
        .size:           8
        .value_kind:     hidden_global_offset_z
      - .offset:         1760
        .size:           2
        .value_kind:     hidden_grid_dims
    .group_segment_fixed_size: 0
    .kernarg_segment_align: 8
    .kernarg_segment_size: 1952
    .language:       OpenCL C
    .language_version:
      - 2
      - 0
    .max_flat_workgroup_size: 512
    .name:           _ZN2at4cuda17kernelHistogram1DIdslLi1ELi2ELin1ELNS0_23CUDAHistogramMemoryTypeE1EZNS0_21CUDA_tensor_histogramIdsLb1EEEbNS_6TensorES4_S4_lNS_14AccumulateTypeIT0_Lb1EE4typeES8_NS0_13TensorArgTypeES9_S9_EUllE_EEvNS0_6detail10TensorInfoIT_T1_EESF_NSC_IKS6_SE_EElS8_S8_SE_T6_
    .private_segment_fixed_size: 0
    .sgpr_count:     57
    .sgpr_spill_count: 0
    .symbol:         _ZN2at4cuda17kernelHistogram1DIdslLi1ELi2ELin1ELNS0_23CUDAHistogramMemoryTypeE1EZNS0_21CUDA_tensor_histogramIdsLb1EEEbNS_6TensorES4_S4_lNS_14AccumulateTypeIT0_Lb1EE4typeES8_NS0_13TensorArgTypeES9_S9_EUllE_EEvNS0_6detail10TensorInfoIT_T1_EESF_NSC_IKS6_SE_EElS8_S8_SE_T6_.kd
    .uniform_work_group_size: 1
    .uses_dynamic_stack: false
    .vgpr_count:     22
    .vgpr_spill_count: 0
    .wavefront_size: 32
  - .args:
      - .offset:         0
        .size:           416
        .value_kind:     by_value
      - .offset:         416
        .size:           416
        .value_kind:     by_value
      - .offset:         832
        .size:           416
        .value_kind:     by_value
      - .offset:         1248
        .size:           8
        .value_kind:     by_value
      - .offset:         1256
        .size:           8
        .value_kind:     by_value
      - .offset:         1264
        .size:           8
        .value_kind:     by_value
      - .offset:         1272
        .size:           8
        .value_kind:     by_value
      - .offset:         1280
        .size:           1
        .value_kind:     by_value
      - .offset:         1288
        .size:           4
        .value_kind:     hidden_block_count_x
      - .offset:         1292
        .size:           4
        .value_kind:     hidden_block_count_y
      - .offset:         1296
        .size:           4
        .value_kind:     hidden_block_count_z
      - .offset:         1300
        .size:           2
        .value_kind:     hidden_group_size_x
      - .offset:         1302
        .size:           2
        .value_kind:     hidden_group_size_y
      - .offset:         1304
        .size:           2
        .value_kind:     hidden_group_size_z
      - .offset:         1306
        .size:           2
        .value_kind:     hidden_remainder_x
      - .offset:         1308
        .size:           2
        .value_kind:     hidden_remainder_y
      - .offset:         1310
        .size:           2
        .value_kind:     hidden_remainder_z
      - .offset:         1328
        .size:           8
        .value_kind:     hidden_global_offset_x
      - .offset:         1336
        .size:           8
        .value_kind:     hidden_global_offset_y
      - .offset:         1344
        .size:           8
        .value_kind:     hidden_global_offset_z
      - .offset:         1352
        .size:           2
        .value_kind:     hidden_grid_dims
      - .offset:         1408
        .size:           4
        .value_kind:     hidden_dynamic_lds_size
    .group_segment_fixed_size: 0
    .kernarg_segment_align: 8
    .kernarg_segment_size: 1544
    .language:       OpenCL C
    .language_version:
      - 2
      - 0
    .max_flat_workgroup_size: 512
    .name:           _ZN2at4cuda17kernelHistogram1DIdslLi1ELi2ELin1ELNS0_23CUDAHistogramMemoryTypeE0EZNS0_21CUDA_tensor_histogramIdsLb1EEEbNS_6TensorES4_S4_lNS_14AccumulateTypeIT0_Lb1EE4typeES8_NS0_13TensorArgTypeES9_S9_EUllE0_EEvNS0_6detail10TensorInfoIT_T1_EESF_NSC_IKS6_SE_EElS8_S8_SE_T6_
    .private_segment_fixed_size: 0
    .sgpr_count:     55
    .sgpr_spill_count: 0
    .symbol:         _ZN2at4cuda17kernelHistogram1DIdslLi1ELi2ELin1ELNS0_23CUDAHistogramMemoryTypeE0EZNS0_21CUDA_tensor_histogramIdsLb1EEEbNS_6TensorES4_S4_lNS_14AccumulateTypeIT0_Lb1EE4typeES8_NS0_13TensorArgTypeES9_S9_EUllE0_EEvNS0_6detail10TensorInfoIT_T1_EESF_NSC_IKS6_SE_EElS8_S8_SE_T6_.kd
    .uniform_work_group_size: 1
    .uses_dynamic_stack: false
    .vgpr_count:     32
    .vgpr_spill_count: 0
    .wavefront_size: 32
  - .args:
      - .offset:         0
        .size:           416
        .value_kind:     by_value
      - .offset:         416
        .size:           416
        .value_kind:     by_value
      - .offset:         832
        .size:           416
        .value_kind:     by_value
      - .offset:         1248
        .size:           8
        .value_kind:     by_value
      - .offset:         1256
        .size:           8
        .value_kind:     by_value
      - .offset:         1264
        .size:           8
        .value_kind:     by_value
      - .offset:         1272
        .size:           8
        .value_kind:     by_value
      - .offset:         1280
        .size:           1
        .value_kind:     by_value
      - .offset:         1288
        .size:           4
        .value_kind:     hidden_block_count_x
      - .offset:         1292
        .size:           4
        .value_kind:     hidden_block_count_y
      - .offset:         1296
        .size:           4
        .value_kind:     hidden_block_count_z
      - .offset:         1300
        .size:           2
        .value_kind:     hidden_group_size_x
      - .offset:         1302
        .size:           2
        .value_kind:     hidden_group_size_y
      - .offset:         1304
        .size:           2
        .value_kind:     hidden_group_size_z
      - .offset:         1306
        .size:           2
        .value_kind:     hidden_remainder_x
      - .offset:         1308
        .size:           2
        .value_kind:     hidden_remainder_y
      - .offset:         1310
        .size:           2
        .value_kind:     hidden_remainder_z
      - .offset:         1328
        .size:           8
        .value_kind:     hidden_global_offset_x
      - .offset:         1336
        .size:           8
        .value_kind:     hidden_global_offset_y
      - .offset:         1344
        .size:           8
        .value_kind:     hidden_global_offset_z
      - .offset:         1352
        .size:           2
        .value_kind:     hidden_grid_dims
    .group_segment_fixed_size: 0
    .kernarg_segment_align: 8
    .kernarg_segment_size: 1544
    .language:       OpenCL C
    .language_version:
      - 2
      - 0
    .max_flat_workgroup_size: 512
    .name:           _ZN2at4cuda17kernelHistogram1DIdslLi1ELi2ELin1ELNS0_23CUDAHistogramMemoryTypeE1EZNS0_21CUDA_tensor_histogramIdsLb1EEEbNS_6TensorES4_S4_lNS_14AccumulateTypeIT0_Lb1EE4typeES8_NS0_13TensorArgTypeES9_S9_EUllE0_EEvNS0_6detail10TensorInfoIT_T1_EESF_NSC_IKS6_SE_EElS8_S8_SE_T6_
    .private_segment_fixed_size: 0
    .sgpr_count:     53
    .sgpr_spill_count: 0
    .symbol:         _ZN2at4cuda17kernelHistogram1DIdslLi1ELi2ELin1ELNS0_23CUDAHistogramMemoryTypeE1EZNS0_21CUDA_tensor_histogramIdsLb1EEEbNS_6TensorES4_S4_lNS_14AccumulateTypeIT0_Lb1EE4typeES8_NS0_13TensorArgTypeES9_S9_EUllE0_EEvNS0_6detail10TensorInfoIT_T1_EESF_NSC_IKS6_SE_EElS8_S8_SE_T6_.kd
    .uniform_work_group_size: 1
    .uses_dynamic_stack: false
    .vgpr_count:     24
    .vgpr_spill_count: 0
    .wavefront_size: 32
  - .args:
      - .offset:         0
        .size:           416
        .value_kind:     by_value
      - .offset:         416
        .size:           416
        .value_kind:     by_value
      - .offset:         832
        .size:           416
        .value_kind:     by_value
      - .offset:         1248
        .size:           8
        .value_kind:     by_value
      - .offset:         1256
        .size:           8
        .value_kind:     by_value
      - .offset:         1264
        .size:           8
        .value_kind:     by_value
      - .offset:         1272
        .size:           8
        .value_kind:     by_value
      - .offset:         1280
        .size:           416
        .value_kind:     by_value
      - .offset:         1696
        .size:           4
        .value_kind:     hidden_block_count_x
      - .offset:         1700
        .size:           4
        .value_kind:     hidden_block_count_y
      - .offset:         1704
        .size:           4
        .value_kind:     hidden_block_count_z
      - .offset:         1708
        .size:           2
        .value_kind:     hidden_group_size_x
      - .offset:         1710
        .size:           2
        .value_kind:     hidden_group_size_y
      - .offset:         1712
        .size:           2
        .value_kind:     hidden_group_size_z
      - .offset:         1714
        .size:           2
        .value_kind:     hidden_remainder_x
      - .offset:         1716
        .size:           2
        .value_kind:     hidden_remainder_y
      - .offset:         1718
        .size:           2
        .value_kind:     hidden_remainder_z
      - .offset:         1736
        .size:           8
        .value_kind:     hidden_global_offset_x
      - .offset:         1744
        .size:           8
        .value_kind:     hidden_global_offset_y
      - .offset:         1752
        .size:           8
        .value_kind:     hidden_global_offset_z
      - .offset:         1760
        .size:           2
        .value_kind:     hidden_grid_dims
      - .offset:         1816
        .size:           4
        .value_kind:     hidden_dynamic_lds_size
    .group_segment_fixed_size: 0
    .kernarg_segment_align: 8
    .kernarg_segment_size: 1952
    .language:       OpenCL C
    .language_version:
      - 2
      - 0
    .max_flat_workgroup_size: 512
    .name:           _ZN2at4cuda17kernelHistogram1DIhhlLi1ELi2ELin1ELNS0_23CUDAHistogramMemoryTypeE0EZNS0_21CUDA_tensor_histogramIhhLb0EEEbNS_6TensorES4_S4_lNS_14AccumulateTypeIT0_Lb1EE4typeES8_NS0_13TensorArgTypeES9_S9_EUllE_EEvNS0_6detail10TensorInfoIT_T1_EESF_NSC_IKS6_SE_EElS8_S8_SE_T6_
    .private_segment_fixed_size: 0
    .sgpr_count:     59
    .sgpr_spill_count: 0
    .symbol:         _ZN2at4cuda17kernelHistogram1DIhhlLi1ELi2ELin1ELNS0_23CUDAHistogramMemoryTypeE0EZNS0_21CUDA_tensor_histogramIhhLb0EEEbNS_6TensorES4_S4_lNS_14AccumulateTypeIT0_Lb1EE4typeES8_NS0_13TensorArgTypeES9_S9_EUllE_EEvNS0_6detail10TensorInfoIT_T1_EESF_NSC_IKS6_SE_EElS8_S8_SE_T6_.kd
    .uniform_work_group_size: 1
    .uses_dynamic_stack: false
    .vgpr_count:     28
    .vgpr_spill_count: 0
    .wavefront_size: 32
  - .args:
      - .offset:         0
        .size:           416
        .value_kind:     by_value
      - .offset:         416
        .size:           416
        .value_kind:     by_value
      - .offset:         832
        .size:           416
        .value_kind:     by_value
      - .offset:         1248
        .size:           8
        .value_kind:     by_value
      - .offset:         1256
        .size:           8
        .value_kind:     by_value
      - .offset:         1264
        .size:           8
        .value_kind:     by_value
      - .offset:         1272
        .size:           8
        .value_kind:     by_value
      - .offset:         1280
        .size:           416
        .value_kind:     by_value
      - .offset:         1696
        .size:           4
        .value_kind:     hidden_block_count_x
      - .offset:         1700
        .size:           4
        .value_kind:     hidden_block_count_y
      - .offset:         1704
        .size:           4
        .value_kind:     hidden_block_count_z
      - .offset:         1708
        .size:           2
        .value_kind:     hidden_group_size_x
      - .offset:         1710
        .size:           2
        .value_kind:     hidden_group_size_y
      - .offset:         1712
        .size:           2
        .value_kind:     hidden_group_size_z
      - .offset:         1714
        .size:           2
        .value_kind:     hidden_remainder_x
      - .offset:         1716
        .size:           2
        .value_kind:     hidden_remainder_y
      - .offset:         1718
        .size:           2
        .value_kind:     hidden_remainder_z
      - .offset:         1736
        .size:           8
        .value_kind:     hidden_global_offset_x
      - .offset:         1744
        .size:           8
        .value_kind:     hidden_global_offset_y
      - .offset:         1752
        .size:           8
        .value_kind:     hidden_global_offset_z
      - .offset:         1760
        .size:           2
        .value_kind:     hidden_grid_dims
    .group_segment_fixed_size: 0
    .kernarg_segment_align: 8
    .kernarg_segment_size: 1952
    .language:       OpenCL C
    .language_version:
      - 2
      - 0
    .max_flat_workgroup_size: 512
    .name:           _ZN2at4cuda17kernelHistogram1DIhhlLi1ELi2ELin1ELNS0_23CUDAHistogramMemoryTypeE1EZNS0_21CUDA_tensor_histogramIhhLb0EEEbNS_6TensorES4_S4_lNS_14AccumulateTypeIT0_Lb1EE4typeES8_NS0_13TensorArgTypeES9_S9_EUllE_EEvNS0_6detail10TensorInfoIT_T1_EESF_NSC_IKS6_SE_EElS8_S8_SE_T6_
    .private_segment_fixed_size: 0
    .sgpr_count:     57
    .sgpr_spill_count: 0
    .symbol:         _ZN2at4cuda17kernelHistogram1DIhhlLi1ELi2ELin1ELNS0_23CUDAHistogramMemoryTypeE1EZNS0_21CUDA_tensor_histogramIhhLb0EEEbNS_6TensorES4_S4_lNS_14AccumulateTypeIT0_Lb1EE4typeES8_NS0_13TensorArgTypeES9_S9_EUllE_EEvNS0_6detail10TensorInfoIT_T1_EESF_NSC_IKS6_SE_EElS8_S8_SE_T6_.kd
    .uniform_work_group_size: 1
    .uses_dynamic_stack: false
    .vgpr_count:     22
    .vgpr_spill_count: 0
    .wavefront_size: 32
  - .args:
      - .offset:         0
        .size:           416
        .value_kind:     by_value
      - .offset:         416
        .size:           416
        .value_kind:     by_value
      - .offset:         832
        .size:           416
        .value_kind:     by_value
      - .offset:         1248
        .size:           8
        .value_kind:     by_value
      - .offset:         1256
        .size:           8
        .value_kind:     by_value
      - .offset:         1264
        .size:           8
        .value_kind:     by_value
      - .offset:         1272
        .size:           8
        .value_kind:     by_value
      - .offset:         1280
        .size:           1
        .value_kind:     by_value
      - .offset:         1288
        .size:           4
        .value_kind:     hidden_block_count_x
      - .offset:         1292
        .size:           4
        .value_kind:     hidden_block_count_y
      - .offset:         1296
        .size:           4
        .value_kind:     hidden_block_count_z
      - .offset:         1300
        .size:           2
        .value_kind:     hidden_group_size_x
      - .offset:         1302
        .size:           2
        .value_kind:     hidden_group_size_y
      - .offset:         1304
        .size:           2
        .value_kind:     hidden_group_size_z
      - .offset:         1306
        .size:           2
        .value_kind:     hidden_remainder_x
      - .offset:         1308
        .size:           2
        .value_kind:     hidden_remainder_y
      - .offset:         1310
        .size:           2
        .value_kind:     hidden_remainder_z
      - .offset:         1328
        .size:           8
        .value_kind:     hidden_global_offset_x
      - .offset:         1336
        .size:           8
        .value_kind:     hidden_global_offset_y
      - .offset:         1344
        .size:           8
        .value_kind:     hidden_global_offset_z
      - .offset:         1352
        .size:           2
        .value_kind:     hidden_grid_dims
      - .offset:         1408
        .size:           4
        .value_kind:     hidden_dynamic_lds_size
    .group_segment_fixed_size: 0
    .kernarg_segment_align: 8
    .kernarg_segment_size: 1544
    .language:       OpenCL C
    .language_version:
      - 2
      - 0
    .max_flat_workgroup_size: 512
    .name:           _ZN2at4cuda17kernelHistogram1DIhhlLi1ELi2ELin1ELNS0_23CUDAHistogramMemoryTypeE0EZNS0_21CUDA_tensor_histogramIhhLb0EEEbNS_6TensorES4_S4_lNS_14AccumulateTypeIT0_Lb1EE4typeES8_NS0_13TensorArgTypeES9_S9_EUllE0_EEvNS0_6detail10TensorInfoIT_T1_EESF_NSC_IKS6_SE_EElS8_S8_SE_T6_
    .private_segment_fixed_size: 0
    .sgpr_count:     55
    .sgpr_spill_count: 0
    .symbol:         _ZN2at4cuda17kernelHistogram1DIhhlLi1ELi2ELin1ELNS0_23CUDAHistogramMemoryTypeE0EZNS0_21CUDA_tensor_histogramIhhLb0EEEbNS_6TensorES4_S4_lNS_14AccumulateTypeIT0_Lb1EE4typeES8_NS0_13TensorArgTypeES9_S9_EUllE0_EEvNS0_6detail10TensorInfoIT_T1_EESF_NSC_IKS6_SE_EElS8_S8_SE_T6_.kd
    .uniform_work_group_size: 1
    .uses_dynamic_stack: false
    .vgpr_count:     28
    .vgpr_spill_count: 0
    .wavefront_size: 32
  - .args:
      - .offset:         0
        .size:           416
        .value_kind:     by_value
      - .offset:         416
        .size:           416
        .value_kind:     by_value
      - .offset:         832
        .size:           416
        .value_kind:     by_value
      - .offset:         1248
        .size:           8
        .value_kind:     by_value
      - .offset:         1256
        .size:           8
        .value_kind:     by_value
      - .offset:         1264
        .size:           8
        .value_kind:     by_value
      - .offset:         1272
        .size:           8
        .value_kind:     by_value
      - .offset:         1280
        .size:           1
        .value_kind:     by_value
      - .offset:         1288
        .size:           4
        .value_kind:     hidden_block_count_x
      - .offset:         1292
        .size:           4
        .value_kind:     hidden_block_count_y
      - .offset:         1296
        .size:           4
        .value_kind:     hidden_block_count_z
      - .offset:         1300
        .size:           2
        .value_kind:     hidden_group_size_x
      - .offset:         1302
        .size:           2
        .value_kind:     hidden_group_size_y
      - .offset:         1304
        .size:           2
        .value_kind:     hidden_group_size_z
      - .offset:         1306
        .size:           2
        .value_kind:     hidden_remainder_x
      - .offset:         1308
        .size:           2
        .value_kind:     hidden_remainder_y
      - .offset:         1310
        .size:           2
        .value_kind:     hidden_remainder_z
      - .offset:         1328
        .size:           8
        .value_kind:     hidden_global_offset_x
      - .offset:         1336
        .size:           8
        .value_kind:     hidden_global_offset_y
      - .offset:         1344
        .size:           8
        .value_kind:     hidden_global_offset_z
      - .offset:         1352
        .size:           2
        .value_kind:     hidden_grid_dims
    .group_segment_fixed_size: 0
    .kernarg_segment_align: 8
    .kernarg_segment_size: 1544
    .language:       OpenCL C
    .language_version:
      - 2
      - 0
    .max_flat_workgroup_size: 512
    .name:           _ZN2at4cuda17kernelHistogram1DIhhlLi1ELi2ELin1ELNS0_23CUDAHistogramMemoryTypeE1EZNS0_21CUDA_tensor_histogramIhhLb0EEEbNS_6TensorES4_S4_lNS_14AccumulateTypeIT0_Lb1EE4typeES8_NS0_13TensorArgTypeES9_S9_EUllE0_EEvNS0_6detail10TensorInfoIT_T1_EESF_NSC_IKS6_SE_EElS8_S8_SE_T6_
    .private_segment_fixed_size: 0
    .sgpr_count:     53
    .sgpr_spill_count: 0
    .symbol:         _ZN2at4cuda17kernelHistogram1DIhhlLi1ELi2ELin1ELNS0_23CUDAHistogramMemoryTypeE1EZNS0_21CUDA_tensor_histogramIhhLb0EEEbNS_6TensorES4_S4_lNS_14AccumulateTypeIT0_Lb1EE4typeES8_NS0_13TensorArgTypeES9_S9_EUllE0_EEvNS0_6detail10TensorInfoIT_T1_EESF_NSC_IKS6_SE_EElS8_S8_SE_T6_.kd
    .uniform_work_group_size: 1
    .uses_dynamic_stack: false
    .vgpr_count:     22
    .vgpr_spill_count: 0
    .wavefront_size: 32
  - .args:
      - .offset:         0
        .size:           416
        .value_kind:     by_value
      - .offset:         416
        .size:           416
        .value_kind:     by_value
      - .offset:         832
        .size:           416
        .value_kind:     by_value
      - .offset:         1248
        .size:           8
        .value_kind:     by_value
      - .offset:         1256
        .size:           8
        .value_kind:     by_value
      - .offset:         1264
        .size:           8
        .value_kind:     by_value
      - .offset:         1272
        .size:           8
        .value_kind:     by_value
      - .offset:         1280
        .size:           416
        .value_kind:     by_value
      - .offset:         1696
        .size:           4
        .value_kind:     hidden_block_count_x
      - .offset:         1700
        .size:           4
        .value_kind:     hidden_block_count_y
      - .offset:         1704
        .size:           4
        .value_kind:     hidden_block_count_z
      - .offset:         1708
        .size:           2
        .value_kind:     hidden_group_size_x
      - .offset:         1710
        .size:           2
        .value_kind:     hidden_group_size_y
      - .offset:         1712
        .size:           2
        .value_kind:     hidden_group_size_z
      - .offset:         1714
        .size:           2
        .value_kind:     hidden_remainder_x
      - .offset:         1716
        .size:           2
        .value_kind:     hidden_remainder_y
      - .offset:         1718
        .size:           2
        .value_kind:     hidden_remainder_z
      - .offset:         1736
        .size:           8
        .value_kind:     hidden_global_offset_x
      - .offset:         1744
        .size:           8
        .value_kind:     hidden_global_offset_y
      - .offset:         1752
        .size:           8
        .value_kind:     hidden_global_offset_z
      - .offset:         1760
        .size:           2
        .value_kind:     hidden_grid_dims
      - .offset:         1816
        .size:           4
        .value_kind:     hidden_dynamic_lds_size
    .group_segment_fixed_size: 0
    .kernarg_segment_align: 8
    .kernarg_segment_size: 1952
    .language:       OpenCL C
    .language_version:
      - 2
      - 0
    .max_flat_workgroup_size: 512
    .name:           _ZN2at4cuda17kernelHistogram1DIaalLi1ELi2ELin1ELNS0_23CUDAHistogramMemoryTypeE0EZNS0_21CUDA_tensor_histogramIaaLb0EEEbNS_6TensorES4_S4_lNS_14AccumulateTypeIT0_Lb1EE4typeES8_NS0_13TensorArgTypeES9_S9_EUllE_EEvNS0_6detail10TensorInfoIT_T1_EESF_NSC_IKS6_SE_EElS8_S8_SE_T6_
    .private_segment_fixed_size: 0
    .sgpr_count:     59
    .sgpr_spill_count: 0
    .symbol:         _ZN2at4cuda17kernelHistogram1DIaalLi1ELi2ELin1ELNS0_23CUDAHistogramMemoryTypeE0EZNS0_21CUDA_tensor_histogramIaaLb0EEEbNS_6TensorES4_S4_lNS_14AccumulateTypeIT0_Lb1EE4typeES8_NS0_13TensorArgTypeES9_S9_EUllE_EEvNS0_6detail10TensorInfoIT_T1_EESF_NSC_IKS6_SE_EElS8_S8_SE_T6_.kd
    .uniform_work_group_size: 1
    .uses_dynamic_stack: false
    .vgpr_count:     28
    .vgpr_spill_count: 0
    .wavefront_size: 32
  - .args:
      - .offset:         0
        .size:           416
        .value_kind:     by_value
      - .offset:         416
        .size:           416
        .value_kind:     by_value
      - .offset:         832
        .size:           416
        .value_kind:     by_value
      - .offset:         1248
        .size:           8
        .value_kind:     by_value
      - .offset:         1256
        .size:           8
        .value_kind:     by_value
      - .offset:         1264
        .size:           8
        .value_kind:     by_value
      - .offset:         1272
        .size:           8
        .value_kind:     by_value
      - .offset:         1280
        .size:           416
        .value_kind:     by_value
      - .offset:         1696
        .size:           4
        .value_kind:     hidden_block_count_x
      - .offset:         1700
        .size:           4
        .value_kind:     hidden_block_count_y
      - .offset:         1704
        .size:           4
        .value_kind:     hidden_block_count_z
      - .offset:         1708
        .size:           2
        .value_kind:     hidden_group_size_x
      - .offset:         1710
        .size:           2
        .value_kind:     hidden_group_size_y
      - .offset:         1712
        .size:           2
        .value_kind:     hidden_group_size_z
      - .offset:         1714
        .size:           2
        .value_kind:     hidden_remainder_x
      - .offset:         1716
        .size:           2
        .value_kind:     hidden_remainder_y
      - .offset:         1718
        .size:           2
        .value_kind:     hidden_remainder_z
      - .offset:         1736
        .size:           8
        .value_kind:     hidden_global_offset_x
      - .offset:         1744
        .size:           8
        .value_kind:     hidden_global_offset_y
      - .offset:         1752
        .size:           8
        .value_kind:     hidden_global_offset_z
      - .offset:         1760
        .size:           2
        .value_kind:     hidden_grid_dims
    .group_segment_fixed_size: 0
    .kernarg_segment_align: 8
    .kernarg_segment_size: 1952
    .language:       OpenCL C
    .language_version:
      - 2
      - 0
    .max_flat_workgroup_size: 512
    .name:           _ZN2at4cuda17kernelHistogram1DIaalLi1ELi2ELin1ELNS0_23CUDAHistogramMemoryTypeE1EZNS0_21CUDA_tensor_histogramIaaLb0EEEbNS_6TensorES4_S4_lNS_14AccumulateTypeIT0_Lb1EE4typeES8_NS0_13TensorArgTypeES9_S9_EUllE_EEvNS0_6detail10TensorInfoIT_T1_EESF_NSC_IKS6_SE_EElS8_S8_SE_T6_
    .private_segment_fixed_size: 0
    .sgpr_count:     57
    .sgpr_spill_count: 0
    .symbol:         _ZN2at4cuda17kernelHistogram1DIaalLi1ELi2ELin1ELNS0_23CUDAHistogramMemoryTypeE1EZNS0_21CUDA_tensor_histogramIaaLb0EEEbNS_6TensorES4_S4_lNS_14AccumulateTypeIT0_Lb1EE4typeES8_NS0_13TensorArgTypeES9_S9_EUllE_EEvNS0_6detail10TensorInfoIT_T1_EESF_NSC_IKS6_SE_EElS8_S8_SE_T6_.kd
    .uniform_work_group_size: 1
    .uses_dynamic_stack: false
    .vgpr_count:     22
    .vgpr_spill_count: 0
    .wavefront_size: 32
  - .args:
      - .offset:         0
        .size:           416
        .value_kind:     by_value
      - .offset:         416
        .size:           416
        .value_kind:     by_value
      - .offset:         832
        .size:           416
        .value_kind:     by_value
      - .offset:         1248
        .size:           8
        .value_kind:     by_value
      - .offset:         1256
        .size:           8
        .value_kind:     by_value
      - .offset:         1264
        .size:           8
        .value_kind:     by_value
      - .offset:         1272
        .size:           8
        .value_kind:     by_value
      - .offset:         1280
        .size:           1
        .value_kind:     by_value
      - .offset:         1288
        .size:           4
        .value_kind:     hidden_block_count_x
      - .offset:         1292
        .size:           4
        .value_kind:     hidden_block_count_y
      - .offset:         1296
        .size:           4
        .value_kind:     hidden_block_count_z
      - .offset:         1300
        .size:           2
        .value_kind:     hidden_group_size_x
      - .offset:         1302
        .size:           2
        .value_kind:     hidden_group_size_y
      - .offset:         1304
        .size:           2
        .value_kind:     hidden_group_size_z
      - .offset:         1306
        .size:           2
        .value_kind:     hidden_remainder_x
      - .offset:         1308
        .size:           2
        .value_kind:     hidden_remainder_y
      - .offset:         1310
        .size:           2
        .value_kind:     hidden_remainder_z
      - .offset:         1328
        .size:           8
        .value_kind:     hidden_global_offset_x
      - .offset:         1336
        .size:           8
        .value_kind:     hidden_global_offset_y
      - .offset:         1344
        .size:           8
        .value_kind:     hidden_global_offset_z
      - .offset:         1352
        .size:           2
        .value_kind:     hidden_grid_dims
      - .offset:         1408
        .size:           4
        .value_kind:     hidden_dynamic_lds_size
    .group_segment_fixed_size: 0
    .kernarg_segment_align: 8
    .kernarg_segment_size: 1544
    .language:       OpenCL C
    .language_version:
      - 2
      - 0
    .max_flat_workgroup_size: 512
    .name:           _ZN2at4cuda17kernelHistogram1DIaalLi1ELi2ELin1ELNS0_23CUDAHistogramMemoryTypeE0EZNS0_21CUDA_tensor_histogramIaaLb0EEEbNS_6TensorES4_S4_lNS_14AccumulateTypeIT0_Lb1EE4typeES8_NS0_13TensorArgTypeES9_S9_EUllE0_EEvNS0_6detail10TensorInfoIT_T1_EESF_NSC_IKS6_SE_EElS8_S8_SE_T6_
    .private_segment_fixed_size: 0
    .sgpr_count:     55
    .sgpr_spill_count: 0
    .symbol:         _ZN2at4cuda17kernelHistogram1DIaalLi1ELi2ELin1ELNS0_23CUDAHistogramMemoryTypeE0EZNS0_21CUDA_tensor_histogramIaaLb0EEEbNS_6TensorES4_S4_lNS_14AccumulateTypeIT0_Lb1EE4typeES8_NS0_13TensorArgTypeES9_S9_EUllE0_EEvNS0_6detail10TensorInfoIT_T1_EESF_NSC_IKS6_SE_EElS8_S8_SE_T6_.kd
    .uniform_work_group_size: 1
    .uses_dynamic_stack: false
    .vgpr_count:     28
    .vgpr_spill_count: 0
    .wavefront_size: 32
  - .args:
      - .offset:         0
        .size:           416
        .value_kind:     by_value
      - .offset:         416
        .size:           416
        .value_kind:     by_value
      - .offset:         832
        .size:           416
        .value_kind:     by_value
      - .offset:         1248
        .size:           8
        .value_kind:     by_value
      - .offset:         1256
        .size:           8
        .value_kind:     by_value
      - .offset:         1264
        .size:           8
        .value_kind:     by_value
      - .offset:         1272
        .size:           8
        .value_kind:     by_value
      - .offset:         1280
        .size:           1
        .value_kind:     by_value
      - .offset:         1288
        .size:           4
        .value_kind:     hidden_block_count_x
      - .offset:         1292
        .size:           4
        .value_kind:     hidden_block_count_y
      - .offset:         1296
        .size:           4
        .value_kind:     hidden_block_count_z
      - .offset:         1300
        .size:           2
        .value_kind:     hidden_group_size_x
      - .offset:         1302
        .size:           2
        .value_kind:     hidden_group_size_y
      - .offset:         1304
        .size:           2
        .value_kind:     hidden_group_size_z
      - .offset:         1306
        .size:           2
        .value_kind:     hidden_remainder_x
      - .offset:         1308
        .size:           2
        .value_kind:     hidden_remainder_y
      - .offset:         1310
        .size:           2
        .value_kind:     hidden_remainder_z
      - .offset:         1328
        .size:           8
        .value_kind:     hidden_global_offset_x
      - .offset:         1336
        .size:           8
        .value_kind:     hidden_global_offset_y
      - .offset:         1344
        .size:           8
        .value_kind:     hidden_global_offset_z
      - .offset:         1352
        .size:           2
        .value_kind:     hidden_grid_dims
    .group_segment_fixed_size: 0
    .kernarg_segment_align: 8
    .kernarg_segment_size: 1544
    .language:       OpenCL C
    .language_version:
      - 2
      - 0
    .max_flat_workgroup_size: 512
    .name:           _ZN2at4cuda17kernelHistogram1DIaalLi1ELi2ELin1ELNS0_23CUDAHistogramMemoryTypeE1EZNS0_21CUDA_tensor_histogramIaaLb0EEEbNS_6TensorES4_S4_lNS_14AccumulateTypeIT0_Lb1EE4typeES8_NS0_13TensorArgTypeES9_S9_EUllE0_EEvNS0_6detail10TensorInfoIT_T1_EESF_NSC_IKS6_SE_EElS8_S8_SE_T6_
    .private_segment_fixed_size: 0
    .sgpr_count:     53
    .sgpr_spill_count: 0
    .symbol:         _ZN2at4cuda17kernelHistogram1DIaalLi1ELi2ELin1ELNS0_23CUDAHistogramMemoryTypeE1EZNS0_21CUDA_tensor_histogramIaaLb0EEEbNS_6TensorES4_S4_lNS_14AccumulateTypeIT0_Lb1EE4typeES8_NS0_13TensorArgTypeES9_S9_EUllE0_EEvNS0_6detail10TensorInfoIT_T1_EESF_NSC_IKS6_SE_EElS8_S8_SE_T6_.kd
    .uniform_work_group_size: 1
    .uses_dynamic_stack: false
    .vgpr_count:     22
    .vgpr_spill_count: 0
    .wavefront_size: 32
  - .args:
      - .offset:         0
        .size:           416
        .value_kind:     by_value
      - .offset:         416
        .size:           416
        .value_kind:     by_value
      - .offset:         832
        .size:           416
        .value_kind:     by_value
      - .offset:         1248
        .size:           8
        .value_kind:     by_value
      - .offset:         1256
        .size:           8
        .value_kind:     by_value
      - .offset:         1264
        .size:           8
        .value_kind:     by_value
      - .offset:         1272
        .size:           8
        .value_kind:     by_value
      - .offset:         1280
        .size:           416
        .value_kind:     by_value
      - .offset:         1696
        .size:           4
        .value_kind:     hidden_block_count_x
      - .offset:         1700
        .size:           4
        .value_kind:     hidden_block_count_y
      - .offset:         1704
        .size:           4
        .value_kind:     hidden_block_count_z
      - .offset:         1708
        .size:           2
        .value_kind:     hidden_group_size_x
      - .offset:         1710
        .size:           2
        .value_kind:     hidden_group_size_y
      - .offset:         1712
        .size:           2
        .value_kind:     hidden_group_size_z
      - .offset:         1714
        .size:           2
        .value_kind:     hidden_remainder_x
      - .offset:         1716
        .size:           2
        .value_kind:     hidden_remainder_y
      - .offset:         1718
        .size:           2
        .value_kind:     hidden_remainder_z
      - .offset:         1736
        .size:           8
        .value_kind:     hidden_global_offset_x
      - .offset:         1744
        .size:           8
        .value_kind:     hidden_global_offset_y
      - .offset:         1752
        .size:           8
        .value_kind:     hidden_global_offset_z
      - .offset:         1760
        .size:           2
        .value_kind:     hidden_grid_dims
      - .offset:         1816
        .size:           4
        .value_kind:     hidden_dynamic_lds_size
    .group_segment_fixed_size: 0
    .kernarg_segment_align: 8
    .kernarg_segment_size: 1952
    .language:       OpenCL C
    .language_version:
      - 2
      - 0
    .max_flat_workgroup_size: 512
    .name:           _ZN2at4cuda17kernelHistogram1DIiilLi1ELi2ELin1ELNS0_23CUDAHistogramMemoryTypeE0EZNS0_21CUDA_tensor_histogramIiiLb0EEEbNS_6TensorES4_S4_lNS_14AccumulateTypeIT0_Lb1EE4typeES8_NS0_13TensorArgTypeES9_S9_EUllE_EEvNS0_6detail10TensorInfoIT_T1_EESF_NSC_IKS6_SE_EElS8_S8_SE_T6_
    .private_segment_fixed_size: 0
    .sgpr_count:     59
    .sgpr_spill_count: 0
    .symbol:         _ZN2at4cuda17kernelHistogram1DIiilLi1ELi2ELin1ELNS0_23CUDAHistogramMemoryTypeE0EZNS0_21CUDA_tensor_histogramIiiLb0EEEbNS_6TensorES4_S4_lNS_14AccumulateTypeIT0_Lb1EE4typeES8_NS0_13TensorArgTypeES9_S9_EUllE_EEvNS0_6detail10TensorInfoIT_T1_EESF_NSC_IKS6_SE_EElS8_S8_SE_T6_.kd
    .uniform_work_group_size: 1
    .uses_dynamic_stack: false
    .vgpr_count:     28
    .vgpr_spill_count: 0
    .wavefront_size: 32
  - .args:
      - .offset:         0
        .size:           416
        .value_kind:     by_value
      - .offset:         416
        .size:           416
        .value_kind:     by_value
      - .offset:         832
        .size:           416
        .value_kind:     by_value
      - .offset:         1248
        .size:           8
        .value_kind:     by_value
      - .offset:         1256
        .size:           8
        .value_kind:     by_value
      - .offset:         1264
        .size:           8
        .value_kind:     by_value
      - .offset:         1272
        .size:           8
        .value_kind:     by_value
      - .offset:         1280
        .size:           416
        .value_kind:     by_value
      - .offset:         1696
        .size:           4
        .value_kind:     hidden_block_count_x
      - .offset:         1700
        .size:           4
        .value_kind:     hidden_block_count_y
      - .offset:         1704
        .size:           4
        .value_kind:     hidden_block_count_z
      - .offset:         1708
        .size:           2
        .value_kind:     hidden_group_size_x
      - .offset:         1710
        .size:           2
        .value_kind:     hidden_group_size_y
      - .offset:         1712
        .size:           2
        .value_kind:     hidden_group_size_z
      - .offset:         1714
        .size:           2
        .value_kind:     hidden_remainder_x
      - .offset:         1716
        .size:           2
        .value_kind:     hidden_remainder_y
      - .offset:         1718
        .size:           2
        .value_kind:     hidden_remainder_z
      - .offset:         1736
        .size:           8
        .value_kind:     hidden_global_offset_x
      - .offset:         1744
        .size:           8
        .value_kind:     hidden_global_offset_y
      - .offset:         1752
        .size:           8
        .value_kind:     hidden_global_offset_z
      - .offset:         1760
        .size:           2
        .value_kind:     hidden_grid_dims
    .group_segment_fixed_size: 0
    .kernarg_segment_align: 8
    .kernarg_segment_size: 1952
    .language:       OpenCL C
    .language_version:
      - 2
      - 0
    .max_flat_workgroup_size: 512
    .name:           _ZN2at4cuda17kernelHistogram1DIiilLi1ELi2ELin1ELNS0_23CUDAHistogramMemoryTypeE1EZNS0_21CUDA_tensor_histogramIiiLb0EEEbNS_6TensorES4_S4_lNS_14AccumulateTypeIT0_Lb1EE4typeES8_NS0_13TensorArgTypeES9_S9_EUllE_EEvNS0_6detail10TensorInfoIT_T1_EESF_NSC_IKS6_SE_EElS8_S8_SE_T6_
    .private_segment_fixed_size: 0
    .sgpr_count:     57
    .sgpr_spill_count: 0
    .symbol:         _ZN2at4cuda17kernelHistogram1DIiilLi1ELi2ELin1ELNS0_23CUDAHistogramMemoryTypeE1EZNS0_21CUDA_tensor_histogramIiiLb0EEEbNS_6TensorES4_S4_lNS_14AccumulateTypeIT0_Lb1EE4typeES8_NS0_13TensorArgTypeES9_S9_EUllE_EEvNS0_6detail10TensorInfoIT_T1_EESF_NSC_IKS6_SE_EElS8_S8_SE_T6_.kd
    .uniform_work_group_size: 1
    .uses_dynamic_stack: false
    .vgpr_count:     22
    .vgpr_spill_count: 0
    .wavefront_size: 32
  - .args:
      - .offset:         0
        .size:           416
        .value_kind:     by_value
      - .offset:         416
        .size:           416
        .value_kind:     by_value
      - .offset:         832
        .size:           416
        .value_kind:     by_value
      - .offset:         1248
        .size:           8
        .value_kind:     by_value
      - .offset:         1256
        .size:           8
        .value_kind:     by_value
      - .offset:         1264
        .size:           8
        .value_kind:     by_value
      - .offset:         1272
        .size:           8
        .value_kind:     by_value
      - .offset:         1280
        .size:           1
        .value_kind:     by_value
      - .offset:         1288
        .size:           4
        .value_kind:     hidden_block_count_x
      - .offset:         1292
        .size:           4
        .value_kind:     hidden_block_count_y
      - .offset:         1296
        .size:           4
        .value_kind:     hidden_block_count_z
      - .offset:         1300
        .size:           2
        .value_kind:     hidden_group_size_x
      - .offset:         1302
        .size:           2
        .value_kind:     hidden_group_size_y
      - .offset:         1304
        .size:           2
        .value_kind:     hidden_group_size_z
      - .offset:         1306
        .size:           2
        .value_kind:     hidden_remainder_x
      - .offset:         1308
        .size:           2
        .value_kind:     hidden_remainder_y
      - .offset:         1310
        .size:           2
        .value_kind:     hidden_remainder_z
      - .offset:         1328
        .size:           8
        .value_kind:     hidden_global_offset_x
      - .offset:         1336
        .size:           8
        .value_kind:     hidden_global_offset_y
      - .offset:         1344
        .size:           8
        .value_kind:     hidden_global_offset_z
      - .offset:         1352
        .size:           2
        .value_kind:     hidden_grid_dims
      - .offset:         1408
        .size:           4
        .value_kind:     hidden_dynamic_lds_size
    .group_segment_fixed_size: 0
    .kernarg_segment_align: 8
    .kernarg_segment_size: 1544
    .language:       OpenCL C
    .language_version:
      - 2
      - 0
    .max_flat_workgroup_size: 512
    .name:           _ZN2at4cuda17kernelHistogram1DIiilLi1ELi2ELin1ELNS0_23CUDAHistogramMemoryTypeE0EZNS0_21CUDA_tensor_histogramIiiLb0EEEbNS_6TensorES4_S4_lNS_14AccumulateTypeIT0_Lb1EE4typeES8_NS0_13TensorArgTypeES9_S9_EUllE0_EEvNS0_6detail10TensorInfoIT_T1_EESF_NSC_IKS6_SE_EElS8_S8_SE_T6_
    .private_segment_fixed_size: 0
    .sgpr_count:     55
    .sgpr_spill_count: 0
    .symbol:         _ZN2at4cuda17kernelHistogram1DIiilLi1ELi2ELin1ELNS0_23CUDAHistogramMemoryTypeE0EZNS0_21CUDA_tensor_histogramIiiLb0EEEbNS_6TensorES4_S4_lNS_14AccumulateTypeIT0_Lb1EE4typeES8_NS0_13TensorArgTypeES9_S9_EUllE0_EEvNS0_6detail10TensorInfoIT_T1_EESF_NSC_IKS6_SE_EElS8_S8_SE_T6_.kd
    .uniform_work_group_size: 1
    .uses_dynamic_stack: false
    .vgpr_count:     28
    .vgpr_spill_count: 0
    .wavefront_size: 32
  - .args:
      - .offset:         0
        .size:           416
        .value_kind:     by_value
      - .offset:         416
        .size:           416
        .value_kind:     by_value
      - .offset:         832
        .size:           416
        .value_kind:     by_value
      - .offset:         1248
        .size:           8
        .value_kind:     by_value
      - .offset:         1256
        .size:           8
        .value_kind:     by_value
      - .offset:         1264
        .size:           8
        .value_kind:     by_value
      - .offset:         1272
        .size:           8
        .value_kind:     by_value
      - .offset:         1280
        .size:           1
        .value_kind:     by_value
      - .offset:         1288
        .size:           4
        .value_kind:     hidden_block_count_x
      - .offset:         1292
        .size:           4
        .value_kind:     hidden_block_count_y
      - .offset:         1296
        .size:           4
        .value_kind:     hidden_block_count_z
      - .offset:         1300
        .size:           2
        .value_kind:     hidden_group_size_x
      - .offset:         1302
        .size:           2
        .value_kind:     hidden_group_size_y
      - .offset:         1304
        .size:           2
        .value_kind:     hidden_group_size_z
      - .offset:         1306
        .size:           2
        .value_kind:     hidden_remainder_x
      - .offset:         1308
        .size:           2
        .value_kind:     hidden_remainder_y
      - .offset:         1310
        .size:           2
        .value_kind:     hidden_remainder_z
      - .offset:         1328
        .size:           8
        .value_kind:     hidden_global_offset_x
      - .offset:         1336
        .size:           8
        .value_kind:     hidden_global_offset_y
      - .offset:         1344
        .size:           8
        .value_kind:     hidden_global_offset_z
      - .offset:         1352
        .size:           2
        .value_kind:     hidden_grid_dims
    .group_segment_fixed_size: 0
    .kernarg_segment_align: 8
    .kernarg_segment_size: 1544
    .language:       OpenCL C
    .language_version:
      - 2
      - 0
    .max_flat_workgroup_size: 512
    .name:           _ZN2at4cuda17kernelHistogram1DIiilLi1ELi2ELin1ELNS0_23CUDAHistogramMemoryTypeE1EZNS0_21CUDA_tensor_histogramIiiLb0EEEbNS_6TensorES4_S4_lNS_14AccumulateTypeIT0_Lb1EE4typeES8_NS0_13TensorArgTypeES9_S9_EUllE0_EEvNS0_6detail10TensorInfoIT_T1_EESF_NSC_IKS6_SE_EElS8_S8_SE_T6_
    .private_segment_fixed_size: 0
    .sgpr_count:     53
    .sgpr_spill_count: 0
    .symbol:         _ZN2at4cuda17kernelHistogram1DIiilLi1ELi2ELin1ELNS0_23CUDAHistogramMemoryTypeE1EZNS0_21CUDA_tensor_histogramIiiLb0EEEbNS_6TensorES4_S4_lNS_14AccumulateTypeIT0_Lb1EE4typeES8_NS0_13TensorArgTypeES9_S9_EUllE0_EEvNS0_6detail10TensorInfoIT_T1_EESF_NSC_IKS6_SE_EElS8_S8_SE_T6_.kd
    .uniform_work_group_size: 1
    .uses_dynamic_stack: false
    .vgpr_count:     24
    .vgpr_spill_count: 0
    .wavefront_size: 32
  - .args:
      - .offset:         0
        .size:           416
        .value_kind:     by_value
      - .offset:         416
        .size:           416
        .value_kind:     by_value
      - .offset:         832
        .size:           416
        .value_kind:     by_value
      - .offset:         1248
        .size:           8
        .value_kind:     by_value
      - .offset:         1256
        .size:           8
        .value_kind:     by_value
      - .offset:         1264
        .size:           8
        .value_kind:     by_value
      - .offset:         1272
        .size:           8
        .value_kind:     by_value
      - .offset:         1280
        .size:           416
        .value_kind:     by_value
      - .offset:         1696
        .size:           4
        .value_kind:     hidden_block_count_x
      - .offset:         1700
        .size:           4
        .value_kind:     hidden_block_count_y
      - .offset:         1704
        .size:           4
        .value_kind:     hidden_block_count_z
      - .offset:         1708
        .size:           2
        .value_kind:     hidden_group_size_x
      - .offset:         1710
        .size:           2
        .value_kind:     hidden_group_size_y
      - .offset:         1712
        .size:           2
        .value_kind:     hidden_group_size_z
      - .offset:         1714
        .size:           2
        .value_kind:     hidden_remainder_x
      - .offset:         1716
        .size:           2
        .value_kind:     hidden_remainder_y
      - .offset:         1718
        .size:           2
        .value_kind:     hidden_remainder_z
      - .offset:         1736
        .size:           8
        .value_kind:     hidden_global_offset_x
      - .offset:         1744
        .size:           8
        .value_kind:     hidden_global_offset_y
      - .offset:         1752
        .size:           8
        .value_kind:     hidden_global_offset_z
      - .offset:         1760
        .size:           2
        .value_kind:     hidden_grid_dims
      - .offset:         1816
        .size:           4
        .value_kind:     hidden_dynamic_lds_size
    .group_segment_fixed_size: 0
    .kernarg_segment_align: 8
    .kernarg_segment_size: 1952
    .language:       OpenCL C
    .language_version:
      - 2
      - 0
    .max_flat_workgroup_size: 512
    .name:           _ZN2at4cuda17kernelHistogram1DIsslLi1ELi2ELin1ELNS0_23CUDAHistogramMemoryTypeE0EZNS0_21CUDA_tensor_histogramIssLb0EEEbNS_6TensorES4_S4_lNS_14AccumulateTypeIT0_Lb1EE4typeES8_NS0_13TensorArgTypeES9_S9_EUllE_EEvNS0_6detail10TensorInfoIT_T1_EESF_NSC_IKS6_SE_EElS8_S8_SE_T6_
    .private_segment_fixed_size: 0
    .sgpr_count:     59
    .sgpr_spill_count: 0
    .symbol:         _ZN2at4cuda17kernelHistogram1DIsslLi1ELi2ELin1ELNS0_23CUDAHistogramMemoryTypeE0EZNS0_21CUDA_tensor_histogramIssLb0EEEbNS_6TensorES4_S4_lNS_14AccumulateTypeIT0_Lb1EE4typeES8_NS0_13TensorArgTypeES9_S9_EUllE_EEvNS0_6detail10TensorInfoIT_T1_EESF_NSC_IKS6_SE_EElS8_S8_SE_T6_.kd
    .uniform_work_group_size: 1
    .uses_dynamic_stack: false
    .vgpr_count:     28
    .vgpr_spill_count: 0
    .wavefront_size: 32
  - .args:
      - .offset:         0
        .size:           416
        .value_kind:     by_value
      - .offset:         416
        .size:           416
        .value_kind:     by_value
      - .offset:         832
        .size:           416
        .value_kind:     by_value
      - .offset:         1248
        .size:           8
        .value_kind:     by_value
      - .offset:         1256
        .size:           8
        .value_kind:     by_value
      - .offset:         1264
        .size:           8
        .value_kind:     by_value
      - .offset:         1272
        .size:           8
        .value_kind:     by_value
      - .offset:         1280
        .size:           416
        .value_kind:     by_value
      - .offset:         1696
        .size:           4
        .value_kind:     hidden_block_count_x
      - .offset:         1700
        .size:           4
        .value_kind:     hidden_block_count_y
      - .offset:         1704
        .size:           4
        .value_kind:     hidden_block_count_z
      - .offset:         1708
        .size:           2
        .value_kind:     hidden_group_size_x
      - .offset:         1710
        .size:           2
        .value_kind:     hidden_group_size_y
      - .offset:         1712
        .size:           2
        .value_kind:     hidden_group_size_z
      - .offset:         1714
        .size:           2
        .value_kind:     hidden_remainder_x
      - .offset:         1716
        .size:           2
        .value_kind:     hidden_remainder_y
      - .offset:         1718
        .size:           2
        .value_kind:     hidden_remainder_z
      - .offset:         1736
        .size:           8
        .value_kind:     hidden_global_offset_x
      - .offset:         1744
        .size:           8
        .value_kind:     hidden_global_offset_y
      - .offset:         1752
        .size:           8
        .value_kind:     hidden_global_offset_z
      - .offset:         1760
        .size:           2
        .value_kind:     hidden_grid_dims
    .group_segment_fixed_size: 0
    .kernarg_segment_align: 8
    .kernarg_segment_size: 1952
    .language:       OpenCL C
    .language_version:
      - 2
      - 0
    .max_flat_workgroup_size: 512
    .name:           _ZN2at4cuda17kernelHistogram1DIsslLi1ELi2ELin1ELNS0_23CUDAHistogramMemoryTypeE1EZNS0_21CUDA_tensor_histogramIssLb0EEEbNS_6TensorES4_S4_lNS_14AccumulateTypeIT0_Lb1EE4typeES8_NS0_13TensorArgTypeES9_S9_EUllE_EEvNS0_6detail10TensorInfoIT_T1_EESF_NSC_IKS6_SE_EElS8_S8_SE_T6_
    .private_segment_fixed_size: 0
    .sgpr_count:     57
    .sgpr_spill_count: 0
    .symbol:         _ZN2at4cuda17kernelHistogram1DIsslLi1ELi2ELin1ELNS0_23CUDAHistogramMemoryTypeE1EZNS0_21CUDA_tensor_histogramIssLb0EEEbNS_6TensorES4_S4_lNS_14AccumulateTypeIT0_Lb1EE4typeES8_NS0_13TensorArgTypeES9_S9_EUllE_EEvNS0_6detail10TensorInfoIT_T1_EESF_NSC_IKS6_SE_EElS8_S8_SE_T6_.kd
    .uniform_work_group_size: 1
    .uses_dynamic_stack: false
    .vgpr_count:     22
    .vgpr_spill_count: 0
    .wavefront_size: 32
  - .args:
      - .offset:         0
        .size:           416
        .value_kind:     by_value
      - .offset:         416
        .size:           416
        .value_kind:     by_value
      - .offset:         832
        .size:           416
        .value_kind:     by_value
      - .offset:         1248
        .size:           8
        .value_kind:     by_value
      - .offset:         1256
        .size:           8
        .value_kind:     by_value
      - .offset:         1264
        .size:           8
        .value_kind:     by_value
      - .offset:         1272
        .size:           8
        .value_kind:     by_value
      - .offset:         1280
        .size:           1
        .value_kind:     by_value
      - .offset:         1288
        .size:           4
        .value_kind:     hidden_block_count_x
      - .offset:         1292
        .size:           4
        .value_kind:     hidden_block_count_y
      - .offset:         1296
        .size:           4
        .value_kind:     hidden_block_count_z
      - .offset:         1300
        .size:           2
        .value_kind:     hidden_group_size_x
      - .offset:         1302
        .size:           2
        .value_kind:     hidden_group_size_y
      - .offset:         1304
        .size:           2
        .value_kind:     hidden_group_size_z
      - .offset:         1306
        .size:           2
        .value_kind:     hidden_remainder_x
      - .offset:         1308
        .size:           2
        .value_kind:     hidden_remainder_y
      - .offset:         1310
        .size:           2
        .value_kind:     hidden_remainder_z
      - .offset:         1328
        .size:           8
        .value_kind:     hidden_global_offset_x
      - .offset:         1336
        .size:           8
        .value_kind:     hidden_global_offset_y
      - .offset:         1344
        .size:           8
        .value_kind:     hidden_global_offset_z
      - .offset:         1352
        .size:           2
        .value_kind:     hidden_grid_dims
      - .offset:         1408
        .size:           4
        .value_kind:     hidden_dynamic_lds_size
    .group_segment_fixed_size: 0
    .kernarg_segment_align: 8
    .kernarg_segment_size: 1544
    .language:       OpenCL C
    .language_version:
      - 2
      - 0
    .max_flat_workgroup_size: 512
    .name:           _ZN2at4cuda17kernelHistogram1DIsslLi1ELi2ELin1ELNS0_23CUDAHistogramMemoryTypeE0EZNS0_21CUDA_tensor_histogramIssLb0EEEbNS_6TensorES4_S4_lNS_14AccumulateTypeIT0_Lb1EE4typeES8_NS0_13TensorArgTypeES9_S9_EUllE0_EEvNS0_6detail10TensorInfoIT_T1_EESF_NSC_IKS6_SE_EElS8_S8_SE_T6_
    .private_segment_fixed_size: 0
    .sgpr_count:     55
    .sgpr_spill_count: 0
    .symbol:         _ZN2at4cuda17kernelHistogram1DIsslLi1ELi2ELin1ELNS0_23CUDAHistogramMemoryTypeE0EZNS0_21CUDA_tensor_histogramIssLb0EEEbNS_6TensorES4_S4_lNS_14AccumulateTypeIT0_Lb1EE4typeES8_NS0_13TensorArgTypeES9_S9_EUllE0_EEvNS0_6detail10TensorInfoIT_T1_EESF_NSC_IKS6_SE_EElS8_S8_SE_T6_.kd
    .uniform_work_group_size: 1
    .uses_dynamic_stack: false
    .vgpr_count:     28
    .vgpr_spill_count: 0
    .wavefront_size: 32
  - .args:
      - .offset:         0
        .size:           416
        .value_kind:     by_value
      - .offset:         416
        .size:           416
        .value_kind:     by_value
      - .offset:         832
        .size:           416
        .value_kind:     by_value
      - .offset:         1248
        .size:           8
        .value_kind:     by_value
      - .offset:         1256
        .size:           8
        .value_kind:     by_value
      - .offset:         1264
        .size:           8
        .value_kind:     by_value
      - .offset:         1272
        .size:           8
        .value_kind:     by_value
      - .offset:         1280
        .size:           1
        .value_kind:     by_value
      - .offset:         1288
        .size:           4
        .value_kind:     hidden_block_count_x
      - .offset:         1292
        .size:           4
        .value_kind:     hidden_block_count_y
      - .offset:         1296
        .size:           4
        .value_kind:     hidden_block_count_z
      - .offset:         1300
        .size:           2
        .value_kind:     hidden_group_size_x
      - .offset:         1302
        .size:           2
        .value_kind:     hidden_group_size_y
      - .offset:         1304
        .size:           2
        .value_kind:     hidden_group_size_z
      - .offset:         1306
        .size:           2
        .value_kind:     hidden_remainder_x
      - .offset:         1308
        .size:           2
        .value_kind:     hidden_remainder_y
      - .offset:         1310
        .size:           2
        .value_kind:     hidden_remainder_z
      - .offset:         1328
        .size:           8
        .value_kind:     hidden_global_offset_x
      - .offset:         1336
        .size:           8
        .value_kind:     hidden_global_offset_y
      - .offset:         1344
        .size:           8
        .value_kind:     hidden_global_offset_z
      - .offset:         1352
        .size:           2
        .value_kind:     hidden_grid_dims
    .group_segment_fixed_size: 0
    .kernarg_segment_align: 8
    .kernarg_segment_size: 1544
    .language:       OpenCL C
    .language_version:
      - 2
      - 0
    .max_flat_workgroup_size: 512
    .name:           _ZN2at4cuda17kernelHistogram1DIsslLi1ELi2ELin1ELNS0_23CUDAHistogramMemoryTypeE1EZNS0_21CUDA_tensor_histogramIssLb0EEEbNS_6TensorES4_S4_lNS_14AccumulateTypeIT0_Lb1EE4typeES8_NS0_13TensorArgTypeES9_S9_EUllE0_EEvNS0_6detail10TensorInfoIT_T1_EESF_NSC_IKS6_SE_EElS8_S8_SE_T6_
    .private_segment_fixed_size: 0
    .sgpr_count:     53
    .sgpr_spill_count: 0
    .symbol:         _ZN2at4cuda17kernelHistogram1DIsslLi1ELi2ELin1ELNS0_23CUDAHistogramMemoryTypeE1EZNS0_21CUDA_tensor_histogramIssLb0EEEbNS_6TensorES4_S4_lNS_14AccumulateTypeIT0_Lb1EE4typeES8_NS0_13TensorArgTypeES9_S9_EUllE0_EEvNS0_6detail10TensorInfoIT_T1_EESF_NSC_IKS6_SE_EElS8_S8_SE_T6_.kd
    .uniform_work_group_size: 1
    .uses_dynamic_stack: false
    .vgpr_count:     22
    .vgpr_spill_count: 0
    .wavefront_size: 32
  - .args:
      - .offset:         0
        .size:           416
        .value_kind:     by_value
      - .offset:         416
        .size:           416
        .value_kind:     by_value
      - .offset:         832
        .size:           416
        .value_kind:     by_value
      - .offset:         1248
        .size:           8
        .value_kind:     by_value
      - .offset:         1256
        .size:           8
        .value_kind:     by_value
      - .offset:         1264
        .size:           8
        .value_kind:     by_value
      - .offset:         1272
        .size:           8
        .value_kind:     by_value
      - .offset:         1280
        .size:           416
        .value_kind:     by_value
      - .offset:         1696
        .size:           4
        .value_kind:     hidden_block_count_x
      - .offset:         1700
        .size:           4
        .value_kind:     hidden_block_count_y
      - .offset:         1704
        .size:           4
        .value_kind:     hidden_block_count_z
      - .offset:         1708
        .size:           2
        .value_kind:     hidden_group_size_x
      - .offset:         1710
        .size:           2
        .value_kind:     hidden_group_size_y
      - .offset:         1712
        .size:           2
        .value_kind:     hidden_group_size_z
      - .offset:         1714
        .size:           2
        .value_kind:     hidden_remainder_x
      - .offset:         1716
        .size:           2
        .value_kind:     hidden_remainder_y
      - .offset:         1718
        .size:           2
        .value_kind:     hidden_remainder_z
      - .offset:         1736
        .size:           8
        .value_kind:     hidden_global_offset_x
      - .offset:         1744
        .size:           8
        .value_kind:     hidden_global_offset_y
      - .offset:         1752
        .size:           8
        .value_kind:     hidden_global_offset_z
      - .offset:         1760
        .size:           2
        .value_kind:     hidden_grid_dims
      - .offset:         1816
        .size:           4
        .value_kind:     hidden_dynamic_lds_size
    .group_segment_fixed_size: 0
    .kernarg_segment_align: 8
    .kernarg_segment_size: 1952
    .language:       OpenCL C
    .language_version:
      - 2
      - 0
    .max_flat_workgroup_size: 512
    .name:           _ZN2at4cuda17kernelHistogram1DIddlLi1ELi2ELin1ELNS0_23CUDAHistogramMemoryTypeE0EZNS0_21CUDA_tensor_histogramIddLb0EEEbNS_6TensorES4_S4_lNS_14AccumulateTypeIT0_Lb1EE4typeES8_NS0_13TensorArgTypeES9_S9_EUllE_EEvNS0_6detail10TensorInfoIT_T1_EESF_NSC_IKS6_SE_EElS8_S8_SE_T6_
    .private_segment_fixed_size: 0
    .sgpr_count:     56
    .sgpr_spill_count: 0
    .symbol:         _ZN2at4cuda17kernelHistogram1DIddlLi1ELi2ELin1ELNS0_23CUDAHistogramMemoryTypeE0EZNS0_21CUDA_tensor_histogramIddLb0EEEbNS_6TensorES4_S4_lNS_14AccumulateTypeIT0_Lb1EE4typeES8_NS0_13TensorArgTypeES9_S9_EUllE_EEvNS0_6detail10TensorInfoIT_T1_EESF_NSC_IKS6_SE_EElS8_S8_SE_T6_.kd
    .uniform_work_group_size: 1
    .uses_dynamic_stack: false
    .vgpr_count:     34
    .vgpr_spill_count: 0
    .wavefront_size: 32
  - .args:
      - .offset:         0
        .size:           416
        .value_kind:     by_value
      - .offset:         416
        .size:           416
        .value_kind:     by_value
      - .offset:         832
        .size:           416
        .value_kind:     by_value
      - .offset:         1248
        .size:           8
        .value_kind:     by_value
      - .offset:         1256
        .size:           8
        .value_kind:     by_value
      - .offset:         1264
        .size:           8
        .value_kind:     by_value
      - .offset:         1272
        .size:           8
        .value_kind:     by_value
      - .offset:         1280
        .size:           416
        .value_kind:     by_value
      - .offset:         1696
        .size:           4
        .value_kind:     hidden_block_count_x
      - .offset:         1700
        .size:           4
        .value_kind:     hidden_block_count_y
      - .offset:         1704
        .size:           4
        .value_kind:     hidden_block_count_z
      - .offset:         1708
        .size:           2
        .value_kind:     hidden_group_size_x
      - .offset:         1710
        .size:           2
        .value_kind:     hidden_group_size_y
      - .offset:         1712
        .size:           2
        .value_kind:     hidden_group_size_z
      - .offset:         1714
        .size:           2
        .value_kind:     hidden_remainder_x
      - .offset:         1716
        .size:           2
        .value_kind:     hidden_remainder_y
      - .offset:         1718
        .size:           2
        .value_kind:     hidden_remainder_z
      - .offset:         1736
        .size:           8
        .value_kind:     hidden_global_offset_x
      - .offset:         1744
        .size:           8
        .value_kind:     hidden_global_offset_y
      - .offset:         1752
        .size:           8
        .value_kind:     hidden_global_offset_z
      - .offset:         1760
        .size:           2
        .value_kind:     hidden_grid_dims
    .group_segment_fixed_size: 0
    .kernarg_segment_align: 8
    .kernarg_segment_size: 1952
    .language:       OpenCL C
    .language_version:
      - 2
      - 0
    .max_flat_workgroup_size: 512
    .name:           _ZN2at4cuda17kernelHistogram1DIddlLi1ELi2ELin1ELNS0_23CUDAHistogramMemoryTypeE1EZNS0_21CUDA_tensor_histogramIddLb0EEEbNS_6TensorES4_S4_lNS_14AccumulateTypeIT0_Lb1EE4typeES8_NS0_13TensorArgTypeES9_S9_EUllE_EEvNS0_6detail10TensorInfoIT_T1_EESF_NSC_IKS6_SE_EElS8_S8_SE_T6_
    .private_segment_fixed_size: 0
    .sgpr_count:     54
    .sgpr_spill_count: 0
    .symbol:         _ZN2at4cuda17kernelHistogram1DIddlLi1ELi2ELin1ELNS0_23CUDAHistogramMemoryTypeE1EZNS0_21CUDA_tensor_histogramIddLb0EEEbNS_6TensorES4_S4_lNS_14AccumulateTypeIT0_Lb1EE4typeES8_NS0_13TensorArgTypeES9_S9_EUllE_EEvNS0_6detail10TensorInfoIT_T1_EESF_NSC_IKS6_SE_EElS8_S8_SE_T6_.kd
    .uniform_work_group_size: 1
    .uses_dynamic_stack: false
    .vgpr_count:     26
    .vgpr_spill_count: 0
    .wavefront_size: 32
  - .args:
      - .offset:         0
        .size:           416
        .value_kind:     by_value
      - .offset:         416
        .size:           416
        .value_kind:     by_value
      - .offset:         832
        .size:           416
        .value_kind:     by_value
      - .offset:         1248
        .size:           8
        .value_kind:     by_value
      - .offset:         1256
        .size:           8
        .value_kind:     by_value
      - .offset:         1264
        .size:           8
        .value_kind:     by_value
      - .offset:         1272
        .size:           8
        .value_kind:     by_value
      - .offset:         1280
        .size:           1
        .value_kind:     by_value
      - .offset:         1288
        .size:           4
        .value_kind:     hidden_block_count_x
      - .offset:         1292
        .size:           4
        .value_kind:     hidden_block_count_y
      - .offset:         1296
        .size:           4
        .value_kind:     hidden_block_count_z
      - .offset:         1300
        .size:           2
        .value_kind:     hidden_group_size_x
      - .offset:         1302
        .size:           2
        .value_kind:     hidden_group_size_y
      - .offset:         1304
        .size:           2
        .value_kind:     hidden_group_size_z
      - .offset:         1306
        .size:           2
        .value_kind:     hidden_remainder_x
      - .offset:         1308
        .size:           2
        .value_kind:     hidden_remainder_y
      - .offset:         1310
        .size:           2
        .value_kind:     hidden_remainder_z
      - .offset:         1328
        .size:           8
        .value_kind:     hidden_global_offset_x
      - .offset:         1336
        .size:           8
        .value_kind:     hidden_global_offset_y
      - .offset:         1344
        .size:           8
        .value_kind:     hidden_global_offset_z
      - .offset:         1352
        .size:           2
        .value_kind:     hidden_grid_dims
      - .offset:         1408
        .size:           4
        .value_kind:     hidden_dynamic_lds_size
    .group_segment_fixed_size: 0
    .kernarg_segment_align: 8
    .kernarg_segment_size: 1544
    .language:       OpenCL C
    .language_version:
      - 2
      - 0
    .max_flat_workgroup_size: 512
    .name:           _ZN2at4cuda17kernelHistogram1DIddlLi1ELi2ELin1ELNS0_23CUDAHistogramMemoryTypeE0EZNS0_21CUDA_tensor_histogramIddLb0EEEbNS_6TensorES4_S4_lNS_14AccumulateTypeIT0_Lb1EE4typeES8_NS0_13TensorArgTypeES9_S9_EUllE0_EEvNS0_6detail10TensorInfoIT_T1_EESF_NSC_IKS6_SE_EElS8_S8_SE_T6_
    .private_segment_fixed_size: 0
    .sgpr_count:     52
    .sgpr_spill_count: 0
    .symbol:         _ZN2at4cuda17kernelHistogram1DIddlLi1ELi2ELin1ELNS0_23CUDAHistogramMemoryTypeE0EZNS0_21CUDA_tensor_histogramIddLb0EEEbNS_6TensorES4_S4_lNS_14AccumulateTypeIT0_Lb1EE4typeES8_NS0_13TensorArgTypeES9_S9_EUllE0_EEvNS0_6detail10TensorInfoIT_T1_EESF_NSC_IKS6_SE_EElS8_S8_SE_T6_.kd
    .uniform_work_group_size: 1
    .uses_dynamic_stack: false
    .vgpr_count:     36
    .vgpr_spill_count: 0
    .wavefront_size: 32
  - .args:
      - .offset:         0
        .size:           416
        .value_kind:     by_value
      - .offset:         416
        .size:           416
        .value_kind:     by_value
      - .offset:         832
        .size:           416
        .value_kind:     by_value
      - .offset:         1248
        .size:           8
        .value_kind:     by_value
      - .offset:         1256
        .size:           8
        .value_kind:     by_value
      - .offset:         1264
        .size:           8
        .value_kind:     by_value
      - .offset:         1272
        .size:           8
        .value_kind:     by_value
      - .offset:         1280
        .size:           1
        .value_kind:     by_value
      - .offset:         1288
        .size:           4
        .value_kind:     hidden_block_count_x
      - .offset:         1292
        .size:           4
        .value_kind:     hidden_block_count_y
      - .offset:         1296
        .size:           4
        .value_kind:     hidden_block_count_z
      - .offset:         1300
        .size:           2
        .value_kind:     hidden_group_size_x
      - .offset:         1302
        .size:           2
        .value_kind:     hidden_group_size_y
      - .offset:         1304
        .size:           2
        .value_kind:     hidden_group_size_z
      - .offset:         1306
        .size:           2
        .value_kind:     hidden_remainder_x
      - .offset:         1308
        .size:           2
        .value_kind:     hidden_remainder_y
      - .offset:         1310
        .size:           2
        .value_kind:     hidden_remainder_z
      - .offset:         1328
        .size:           8
        .value_kind:     hidden_global_offset_x
      - .offset:         1336
        .size:           8
        .value_kind:     hidden_global_offset_y
      - .offset:         1344
        .size:           8
        .value_kind:     hidden_global_offset_z
      - .offset:         1352
        .size:           2
        .value_kind:     hidden_grid_dims
    .group_segment_fixed_size: 0
    .kernarg_segment_align: 8
    .kernarg_segment_size: 1544
    .language:       OpenCL C
    .language_version:
      - 2
      - 0
    .max_flat_workgroup_size: 512
    .name:           _ZN2at4cuda17kernelHistogram1DIddlLi1ELi2ELin1ELNS0_23CUDAHistogramMemoryTypeE1EZNS0_21CUDA_tensor_histogramIddLb0EEEbNS_6TensorES4_S4_lNS_14AccumulateTypeIT0_Lb1EE4typeES8_NS0_13TensorArgTypeES9_S9_EUllE0_EEvNS0_6detail10TensorInfoIT_T1_EESF_NSC_IKS6_SE_EElS8_S8_SE_T6_
    .private_segment_fixed_size: 0
    .sgpr_count:     50
    .sgpr_spill_count: 0
    .symbol:         _ZN2at4cuda17kernelHistogram1DIddlLi1ELi2ELin1ELNS0_23CUDAHistogramMemoryTypeE1EZNS0_21CUDA_tensor_histogramIddLb0EEEbNS_6TensorES4_S4_lNS_14AccumulateTypeIT0_Lb1EE4typeES8_NS0_13TensorArgTypeES9_S9_EUllE0_EEvNS0_6detail10TensorInfoIT_T1_EESF_NSC_IKS6_SE_EElS8_S8_SE_T6_.kd
    .uniform_work_group_size: 1
    .uses_dynamic_stack: false
    .vgpr_count:     28
    .vgpr_spill_count: 0
    .wavefront_size: 32
  - .args:
      - .offset:         0
        .size:           416
        .value_kind:     by_value
      - .offset:         416
        .size:           416
        .value_kind:     by_value
      - .offset:         832
        .size:           416
        .value_kind:     by_value
      - .offset:         1248
        .size:           8
        .value_kind:     by_value
      - .offset:         1256
        .size:           4
        .value_kind:     by_value
      - .offset:         1260
        .size:           4
        .value_kind:     by_value
      - .offset:         1264
        .size:           8
        .value_kind:     by_value
      - .offset:         1272
        .size:           416
        .value_kind:     by_value
      - .offset:         1688
        .size:           4
        .value_kind:     hidden_block_count_x
      - .offset:         1692
        .size:           4
        .value_kind:     hidden_block_count_y
      - .offset:         1696
        .size:           4
        .value_kind:     hidden_block_count_z
      - .offset:         1700
        .size:           2
        .value_kind:     hidden_group_size_x
      - .offset:         1702
        .size:           2
        .value_kind:     hidden_group_size_y
      - .offset:         1704
        .size:           2
        .value_kind:     hidden_group_size_z
      - .offset:         1706
        .size:           2
        .value_kind:     hidden_remainder_x
      - .offset:         1708
        .size:           2
        .value_kind:     hidden_remainder_y
      - .offset:         1710
        .size:           2
        .value_kind:     hidden_remainder_z
      - .offset:         1728
        .size:           8
        .value_kind:     hidden_global_offset_x
      - .offset:         1736
        .size:           8
        .value_kind:     hidden_global_offset_y
      - .offset:         1744
        .size:           8
        .value_kind:     hidden_global_offset_z
      - .offset:         1752
        .size:           2
        .value_kind:     hidden_grid_dims
      - .offset:         1808
        .size:           4
        .value_kind:     hidden_dynamic_lds_size
    .group_segment_fixed_size: 0
    .kernarg_segment_align: 8
    .kernarg_segment_size: 1944
    .language:       OpenCL C
    .language_version:
      - 2
      - 0
    .max_flat_workgroup_size: 512
    .name:           _ZN2at4cuda17kernelHistogram1DIfflLi1ELi2ELin1ELNS0_23CUDAHistogramMemoryTypeE0EZNS0_21CUDA_tensor_histogramIffLb0EEEbNS_6TensorES4_S4_lNS_14AccumulateTypeIT0_Lb1EE4typeES8_NS0_13TensorArgTypeES9_S9_EUllE_EEvNS0_6detail10TensorInfoIT_T1_EESF_NSC_IKS6_SE_EElS8_S8_SE_T6_
    .private_segment_fixed_size: 0
    .sgpr_count:     55
    .sgpr_spill_count: 0
    .symbol:         _ZN2at4cuda17kernelHistogram1DIfflLi1ELi2ELin1ELNS0_23CUDAHistogramMemoryTypeE0EZNS0_21CUDA_tensor_histogramIffLb0EEEbNS_6TensorES4_S4_lNS_14AccumulateTypeIT0_Lb1EE4typeES8_NS0_13TensorArgTypeES9_S9_EUllE_EEvNS0_6detail10TensorInfoIT_T1_EESF_NSC_IKS6_SE_EElS8_S8_SE_T6_.kd
    .uniform_work_group_size: 1
    .uses_dynamic_stack: false
    .vgpr_count:     28
    .vgpr_spill_count: 0
    .wavefront_size: 32
  - .args:
      - .offset:         0
        .size:           416
        .value_kind:     by_value
      - .offset:         416
        .size:           416
        .value_kind:     by_value
      - .offset:         832
        .size:           416
        .value_kind:     by_value
      - .offset:         1248
        .size:           8
        .value_kind:     by_value
      - .offset:         1256
        .size:           4
        .value_kind:     by_value
      - .offset:         1260
        .size:           4
        .value_kind:     by_value
      - .offset:         1264
        .size:           8
        .value_kind:     by_value
      - .offset:         1272
        .size:           416
        .value_kind:     by_value
      - .offset:         1688
        .size:           4
        .value_kind:     hidden_block_count_x
      - .offset:         1692
        .size:           4
        .value_kind:     hidden_block_count_y
      - .offset:         1696
        .size:           4
        .value_kind:     hidden_block_count_z
      - .offset:         1700
        .size:           2
        .value_kind:     hidden_group_size_x
      - .offset:         1702
        .size:           2
        .value_kind:     hidden_group_size_y
      - .offset:         1704
        .size:           2
        .value_kind:     hidden_group_size_z
      - .offset:         1706
        .size:           2
        .value_kind:     hidden_remainder_x
      - .offset:         1708
        .size:           2
        .value_kind:     hidden_remainder_y
      - .offset:         1710
        .size:           2
        .value_kind:     hidden_remainder_z
      - .offset:         1728
        .size:           8
        .value_kind:     hidden_global_offset_x
      - .offset:         1736
        .size:           8
        .value_kind:     hidden_global_offset_y
      - .offset:         1744
        .size:           8
        .value_kind:     hidden_global_offset_z
      - .offset:         1752
        .size:           2
        .value_kind:     hidden_grid_dims
    .group_segment_fixed_size: 0
    .kernarg_segment_align: 8
    .kernarg_segment_size: 1944
    .language:       OpenCL C
    .language_version:
      - 2
      - 0
    .max_flat_workgroup_size: 512
    .name:           _ZN2at4cuda17kernelHistogram1DIfflLi1ELi2ELin1ELNS0_23CUDAHistogramMemoryTypeE1EZNS0_21CUDA_tensor_histogramIffLb0EEEbNS_6TensorES4_S4_lNS_14AccumulateTypeIT0_Lb1EE4typeES8_NS0_13TensorArgTypeES9_S9_EUllE_EEvNS0_6detail10TensorInfoIT_T1_EESF_NSC_IKS6_SE_EElS8_S8_SE_T6_
    .private_segment_fixed_size: 0
    .sgpr_count:     53
    .sgpr_spill_count: 0
    .symbol:         _ZN2at4cuda17kernelHistogram1DIfflLi1ELi2ELin1ELNS0_23CUDAHistogramMemoryTypeE1EZNS0_21CUDA_tensor_histogramIffLb0EEEbNS_6TensorES4_S4_lNS_14AccumulateTypeIT0_Lb1EE4typeES8_NS0_13TensorArgTypeES9_S9_EUllE_EEvNS0_6detail10TensorInfoIT_T1_EESF_NSC_IKS6_SE_EElS8_S8_SE_T6_.kd
    .uniform_work_group_size: 1
    .uses_dynamic_stack: false
    .vgpr_count:     24
    .vgpr_spill_count: 0
    .wavefront_size: 32
  - .args:
      - .offset:         0
        .size:           416
        .value_kind:     by_value
      - .offset:         416
        .size:           416
        .value_kind:     by_value
      - .offset:         832
        .size:           416
        .value_kind:     by_value
      - .offset:         1248
        .size:           8
        .value_kind:     by_value
      - .offset:         1256
        .size:           4
        .value_kind:     by_value
      - .offset:         1260
        .size:           4
        .value_kind:     by_value
      - .offset:         1264
        .size:           8
        .value_kind:     by_value
      - .offset:         1272
        .size:           1
        .value_kind:     by_value
      - .offset:         1280
        .size:           4
        .value_kind:     hidden_block_count_x
      - .offset:         1284
        .size:           4
        .value_kind:     hidden_block_count_y
      - .offset:         1288
        .size:           4
        .value_kind:     hidden_block_count_z
      - .offset:         1292
        .size:           2
        .value_kind:     hidden_group_size_x
      - .offset:         1294
        .size:           2
        .value_kind:     hidden_group_size_y
      - .offset:         1296
        .size:           2
        .value_kind:     hidden_group_size_z
      - .offset:         1298
        .size:           2
        .value_kind:     hidden_remainder_x
      - .offset:         1300
        .size:           2
        .value_kind:     hidden_remainder_y
      - .offset:         1302
        .size:           2
        .value_kind:     hidden_remainder_z
      - .offset:         1320
        .size:           8
        .value_kind:     hidden_global_offset_x
      - .offset:         1328
        .size:           8
        .value_kind:     hidden_global_offset_y
      - .offset:         1336
        .size:           8
        .value_kind:     hidden_global_offset_z
      - .offset:         1344
        .size:           2
        .value_kind:     hidden_grid_dims
      - .offset:         1400
        .size:           4
        .value_kind:     hidden_dynamic_lds_size
    .group_segment_fixed_size: 0
    .kernarg_segment_align: 8
    .kernarg_segment_size: 1536
    .language:       OpenCL C
    .language_version:
      - 2
      - 0
    .max_flat_workgroup_size: 512
    .name:           _ZN2at4cuda17kernelHistogram1DIfflLi1ELi2ELin1ELNS0_23CUDAHistogramMemoryTypeE0EZNS0_21CUDA_tensor_histogramIffLb0EEEbNS_6TensorES4_S4_lNS_14AccumulateTypeIT0_Lb1EE4typeES8_NS0_13TensorArgTypeES9_S9_EUllE0_EEvNS0_6detail10TensorInfoIT_T1_EESF_NSC_IKS6_SE_EElS8_S8_SE_T6_
    .private_segment_fixed_size: 0
    .sgpr_count:     51
    .sgpr_spill_count: 0
    .symbol:         _ZN2at4cuda17kernelHistogram1DIfflLi1ELi2ELin1ELNS0_23CUDAHistogramMemoryTypeE0EZNS0_21CUDA_tensor_histogramIffLb0EEEbNS_6TensorES4_S4_lNS_14AccumulateTypeIT0_Lb1EE4typeES8_NS0_13TensorArgTypeES9_S9_EUllE0_EEvNS0_6detail10TensorInfoIT_T1_EESF_NSC_IKS6_SE_EElS8_S8_SE_T6_.kd
    .uniform_work_group_size: 1
    .uses_dynamic_stack: false
    .vgpr_count:     30
    .vgpr_spill_count: 0
    .wavefront_size: 32
  - .args:
      - .offset:         0
        .size:           416
        .value_kind:     by_value
      - .offset:         416
        .size:           416
        .value_kind:     by_value
      - .offset:         832
        .size:           416
        .value_kind:     by_value
      - .offset:         1248
        .size:           8
        .value_kind:     by_value
      - .offset:         1256
        .size:           4
        .value_kind:     by_value
      - .offset:         1260
        .size:           4
        .value_kind:     by_value
      - .offset:         1264
        .size:           8
        .value_kind:     by_value
      - .offset:         1272
        .size:           1
        .value_kind:     by_value
      - .offset:         1280
        .size:           4
        .value_kind:     hidden_block_count_x
      - .offset:         1284
        .size:           4
        .value_kind:     hidden_block_count_y
      - .offset:         1288
        .size:           4
        .value_kind:     hidden_block_count_z
      - .offset:         1292
        .size:           2
        .value_kind:     hidden_group_size_x
      - .offset:         1294
        .size:           2
        .value_kind:     hidden_group_size_y
      - .offset:         1296
        .size:           2
        .value_kind:     hidden_group_size_z
      - .offset:         1298
        .size:           2
        .value_kind:     hidden_remainder_x
      - .offset:         1300
        .size:           2
        .value_kind:     hidden_remainder_y
      - .offset:         1302
        .size:           2
        .value_kind:     hidden_remainder_z
      - .offset:         1320
        .size:           8
        .value_kind:     hidden_global_offset_x
      - .offset:         1328
        .size:           8
        .value_kind:     hidden_global_offset_y
      - .offset:         1336
        .size:           8
        .value_kind:     hidden_global_offset_z
      - .offset:         1344
        .size:           2
        .value_kind:     hidden_grid_dims
    .group_segment_fixed_size: 0
    .kernarg_segment_align: 8
    .kernarg_segment_size: 1536
    .language:       OpenCL C
    .language_version:
      - 2
      - 0
    .max_flat_workgroup_size: 512
    .name:           _ZN2at4cuda17kernelHistogram1DIfflLi1ELi2ELin1ELNS0_23CUDAHistogramMemoryTypeE1EZNS0_21CUDA_tensor_histogramIffLb0EEEbNS_6TensorES4_S4_lNS_14AccumulateTypeIT0_Lb1EE4typeES8_NS0_13TensorArgTypeES9_S9_EUllE0_EEvNS0_6detail10TensorInfoIT_T1_EESF_NSC_IKS6_SE_EElS8_S8_SE_T6_
    .private_segment_fixed_size: 0
    .sgpr_count:     49
    .sgpr_spill_count: 0
    .symbol:         _ZN2at4cuda17kernelHistogram1DIfflLi1ELi2ELin1ELNS0_23CUDAHistogramMemoryTypeE1EZNS0_21CUDA_tensor_histogramIffLb0EEEbNS_6TensorES4_S4_lNS_14AccumulateTypeIT0_Lb1EE4typeES8_NS0_13TensorArgTypeES9_S9_EUllE0_EEvNS0_6detail10TensorInfoIT_T1_EESF_NSC_IKS6_SE_EElS8_S8_SE_T6_.kd
    .uniform_work_group_size: 1
    .uses_dynamic_stack: false
    .vgpr_count:     24
    .vgpr_spill_count: 0
    .wavefront_size: 32
amdhsa.target:   amdgcn-amd-amdhsa--gfx1250
amdhsa.version:
  - 1
  - 2
...

	.end_amdgpu_metadata
